;; amdgpu-corpus repo=ROCm/rocSPARSE kind=compiled arch=gfx1100 opt=O3
	.text
	.amdgcn_target "amdgcn-amd-amdhsa--gfx1100"
	.amdhsa_code_object_version 6
	.section	.text._ZN9rocsparseL19gebsrmvn_2xn_kernelILj128ELj1ELj4EfEEvi20rocsparse_direction_NS_24const_host_device_scalarIT2_EEPKiS6_PKS3_S8_S4_PS3_21rocsparse_index_base_b,"axG",@progbits,_ZN9rocsparseL19gebsrmvn_2xn_kernelILj128ELj1ELj4EfEEvi20rocsparse_direction_NS_24const_host_device_scalarIT2_EEPKiS6_PKS3_S8_S4_PS3_21rocsparse_index_base_b,comdat
	.globl	_ZN9rocsparseL19gebsrmvn_2xn_kernelILj128ELj1ELj4EfEEvi20rocsparse_direction_NS_24const_host_device_scalarIT2_EEPKiS6_PKS3_S8_S4_PS3_21rocsparse_index_base_b ; -- Begin function _ZN9rocsparseL19gebsrmvn_2xn_kernelILj128ELj1ELj4EfEEvi20rocsparse_direction_NS_24const_host_device_scalarIT2_EEPKiS6_PKS3_S8_S4_PS3_21rocsparse_index_base_b
	.p2align	8
	.type	_ZN9rocsparseL19gebsrmvn_2xn_kernelILj128ELj1ELj4EfEEvi20rocsparse_direction_NS_24const_host_device_scalarIT2_EEPKiS6_PKS3_S8_S4_PS3_21rocsparse_index_base_b,@function
_ZN9rocsparseL19gebsrmvn_2xn_kernelILj128ELj1ELj4EfEEvi20rocsparse_direction_NS_24const_host_device_scalarIT2_EEPKiS6_PKS3_S8_S4_PS3_21rocsparse_index_base_b: ; @_ZN9rocsparseL19gebsrmvn_2xn_kernelILj128ELj1ELj4EfEEvi20rocsparse_direction_NS_24const_host_device_scalarIT2_EEPKiS6_PKS3_S8_S4_PS3_21rocsparse_index_base_b
; %bb.0:
	s_clause 0x2
	s_load_b64 s[18:19], s[0:1], 0x40
	s_load_b64 s[16:17], s[0:1], 0x8
	;; [unrolled: 1-line block ×3, first 2 shown]
	s_waitcnt lgkmcnt(0)
	s_bitcmp1_b32 s19, 0
	s_cselect_b32 s2, -1, 0
	s_delay_alu instid0(SALU_CYCLE_1)
	s_and_b32 vcc_lo, exec_lo, s2
	s_xor_b32 s2, s2, -1
	s_cbranch_vccnz .LBB0_2
; %bb.1:
	s_load_b32 s16, s[16:17], 0x0
.LBB0_2:
	s_and_not1_b32 vcc_lo, exec_lo, s2
	s_cbranch_vccnz .LBB0_4
; %bb.3:
	s_load_b32 s12, s[12:13], 0x0
.LBB0_4:
	s_waitcnt lgkmcnt(0)
	v_cmp_eq_f32_e64 s2, s16, 0
	v_cmp_eq_f32_e64 s3, s12, 1.0
	s_delay_alu instid0(VALU_DEP_1) | instskip(NEXT) | instid1(SALU_CYCLE_1)
	s_and_b32 s2, s2, s3
	s_and_b32 vcc_lo, exec_lo, s2
	s_cbranch_vccnz .LBB0_23
; %bb.5:
	s_load_b64 s[2:3], s[0:1], 0x0
	v_lshrrev_b32_e32 v1, 2, v0
	s_delay_alu instid0(VALU_DEP_1) | instskip(SKIP_1) | instid1(VALU_DEP_1)
	v_lshl_or_b32 v1, s15, 5, v1
	s_waitcnt lgkmcnt(0)
	v_cmp_gt_i32_e32 vcc_lo, s2, v1
	s_and_saveexec_b32 s2, vcc_lo
	s_cbranch_execz .LBB0_23
; %bb.6:
	s_load_b256 s[4:11], s[0:1], 0x10
	v_ashrrev_i32_e32 v2, 31, v1
	v_and_b32_e32 v0, 3, v0
	s_cmp_lg_u32 s3, 0
	s_delay_alu instid0(VALU_DEP_2) | instskip(SKIP_1) | instid1(VALU_DEP_1)
	v_lshlrev_b64 v[2:3], 2, v[1:2]
	s_waitcnt lgkmcnt(0)
	v_add_co_u32 v2, vcc_lo, s4, v2
	s_delay_alu instid0(VALU_DEP_2) | instskip(SKIP_4) | instid1(VALU_DEP_2)
	v_add_co_ci_u32_e32 v3, vcc_lo, s5, v3, vcc_lo
	global_load_b64 v[2:3], v[2:3], off
	s_waitcnt vmcnt(0)
	v_subrev_nc_u32_e32 v2, s18, v2
	v_subrev_nc_u32_e32 v8, s18, v3
	v_add_nc_u32_e32 v2, v2, v0
	s_delay_alu instid0(VALU_DEP_1)
	v_cmp_lt_i32_e64 s2, v2, v8
	s_cbranch_scc0 .LBB0_12
; %bb.7:
	v_mov_b32_e32 v7, 0
	v_mov_b32_e32 v9, 0
	s_mov_b32 s3, 0
	s_and_saveexec_b32 s4, s2
	s_cbranch_execz .LBB0_11
; %bb.8:
	v_dual_mov_b32 v4, 0 :: v_dual_lshlrev_b32 v3, 1, v2
	v_mov_b32_e32 v5, v2
	s_mov_b32 s5, 0
	s_delay_alu instid0(VALU_DEP_2)
	v_mov_b32_e32 v7, v4
	v_mov_b32_e32 v9, v4
	.p2align	6
.LBB0_9:                                ; =>This Inner Loop Header: Depth=1
	s_delay_alu instid0(VALU_DEP_3) | instskip(SKIP_1) | instid1(VALU_DEP_2)
	v_ashrrev_i32_e32 v6, 31, v5
	v_mov_b32_e32 v13, v4
	v_lshlrev_b64 v[10:11], 2, v[5:6]
	v_add_nc_u32_e32 v5, 4, v5
	s_delay_alu instid0(VALU_DEP_2) | instskip(NEXT) | instid1(VALU_DEP_3)
	v_add_co_u32 v10, vcc_lo, s6, v10
	v_add_co_ci_u32_e32 v11, vcc_lo, s7, v11, vcc_lo
	global_load_b32 v6, v[10:11], off
	v_lshlrev_b64 v[10:11], 2, v[3:4]
	v_add_nc_u32_e32 v3, 8, v3
	s_delay_alu instid0(VALU_DEP_2) | instskip(NEXT) | instid1(VALU_DEP_3)
	v_add_co_u32 v10, vcc_lo, s8, v10
	v_add_co_ci_u32_e32 v11, vcc_lo, s9, v11, vcc_lo
	s_waitcnt vmcnt(0)
	v_subrev_nc_u32_e32 v12, s18, v6
	s_delay_alu instid0(VALU_DEP_1) | instskip(NEXT) | instid1(VALU_DEP_1)
	v_lshlrev_b64 v[12:13], 2, v[12:13]
	v_add_co_u32 v12, vcc_lo, s10, v12
	s_delay_alu instid0(VALU_DEP_2)
	v_add_co_ci_u32_e32 v13, vcc_lo, s11, v13, vcc_lo
	v_cmp_ge_i32_e32 vcc_lo, v5, v8
	global_load_b64 v[10:11], v[10:11], off
	global_load_b32 v6, v[12:13], off
	s_or_b32 s5, vcc_lo, s5
	s_waitcnt vmcnt(0)
	v_fmac_f32_e32 v7, v10, v6
	v_fmac_f32_e32 v9, v11, v6
	s_and_not1_b32 exec_lo, exec_lo, s5
	s_cbranch_execnz .LBB0_9
; %bb.10:
	s_or_b32 exec_lo, exec_lo, s5
.LBB0_11:
	s_delay_alu instid0(SALU_CYCLE_1) | instskip(NEXT) | instid1(SALU_CYCLE_1)
	s_or_b32 exec_lo, exec_lo, s4
	s_and_not1_b32 vcc_lo, exec_lo, s3
	s_cbranch_vccz .LBB0_13
	s_branch .LBB0_18
.LBB0_12:
                                        ; implicit-def: $vgpr7
                                        ; implicit-def: $vgpr9
.LBB0_13:
	v_mov_b32_e32 v7, 0
	v_mov_b32_e32 v9, 0
	s_delay_alu instid0(VALU_DEP_3)
	s_and_saveexec_b32 s3, s2
	s_cbranch_execz .LBB0_17
; %bb.14:
	v_dual_mov_b32 v5, 0 :: v_dual_lshlrev_b32 v4, 1, v2
	s_mov_b32 s2, 0
	s_delay_alu instid0(VALU_DEP_1)
	v_mov_b32_e32 v7, v5
	v_mov_b32_e32 v9, v5
	.p2align	6
.LBB0_15:                               ; =>This Inner Loop Header: Depth=1
	v_ashrrev_i32_e32 v3, 31, v2
	v_mov_b32_e32 v13, v5
	s_delay_alu instid0(VALU_DEP_2) | instskip(SKIP_1) | instid1(VALU_DEP_2)
	v_lshlrev_b64 v[10:11], 2, v[2:3]
	v_add_nc_u32_e32 v2, 4, v2
	v_add_co_u32 v10, vcc_lo, s6, v10
	s_delay_alu instid0(VALU_DEP_3) | instskip(SKIP_2) | instid1(VALU_DEP_1)
	v_add_co_ci_u32_e32 v11, vcc_lo, s7, v11, vcc_lo
	global_load_b32 v3, v[10:11], off
	v_lshlrev_b64 v[10:11], 2, v[4:5]
	v_add_co_u32 v10, vcc_lo, s8, v10
	s_delay_alu instid0(VALU_DEP_2) | instskip(SKIP_2) | instid1(VALU_DEP_1)
	v_add_co_ci_u32_e32 v11, vcc_lo, s9, v11, vcc_lo
	s_waitcnt vmcnt(0)
	v_subrev_nc_u32_e32 v12, s18, v3
	v_lshlrev_b64 v[12:13], 2, v[12:13]
	s_delay_alu instid0(VALU_DEP_1) | instskip(NEXT) | instid1(VALU_DEP_2)
	v_add_co_u32 v12, vcc_lo, s10, v12
	v_add_co_ci_u32_e32 v13, vcc_lo, s11, v13, vcc_lo
	v_cmp_ge_i32_e32 vcc_lo, v2, v8
	global_load_b64 v[10:11], v[10:11], off
	global_load_b32 v3, v[12:13], off
	v_add_nc_u32_e32 v4, 8, v4
	s_or_b32 s2, vcc_lo, s2
	s_waitcnt vmcnt(0)
	v_fmac_f32_e32 v7, v10, v3
	v_fmac_f32_e32 v9, v11, v3
	s_and_not1_b32 exec_lo, exec_lo, s2
	s_cbranch_execnz .LBB0_15
; %bb.16:
	s_or_b32 exec_lo, exec_lo, s2
.LBB0_17:
	s_delay_alu instid0(SALU_CYCLE_1)
	s_or_b32 exec_lo, exec_lo, s3
.LBB0_18:
	v_mbcnt_lo_u32_b32 v2, -1, 0
	s_mov_b32 s2, -1
	s_delay_alu instid0(VALU_DEP_1) | instskip(SKIP_1) | instid1(VALU_DEP_2)
	v_xor_b32_e32 v3, 2, v2
	v_xor_b32_e32 v5, 1, v2
	v_cmp_gt_i32_e32 vcc_lo, 32, v3
	v_cndmask_b32_e32 v3, v2, v3, vcc_lo
	s_delay_alu instid0(VALU_DEP_3) | instskip(NEXT) | instid1(VALU_DEP_2)
	v_cmp_gt_i32_e32 vcc_lo, 32, v5
	v_dual_cndmask_b32 v2, v2, v5 :: v_dual_lshlrev_b32 v3, 2, v3
	v_cmp_eq_u32_e32 vcc_lo, 3, v0
	ds_bpermute_b32 v4, v3, v7
	ds_bpermute_b32 v3, v3, v9
	s_waitcnt lgkmcnt(1)
	v_dual_add_f32 v2, v7, v4 :: v_dual_lshlrev_b32 v5, 2, v2
	s_waitcnt lgkmcnt(0)
	v_add_f32_e32 v3, v9, v3
	ds_bpermute_b32 v4, v5, v2
	ds_bpermute_b32 v5, v5, v3
	s_and_b32 exec_lo, exec_lo, vcc_lo
	s_cbranch_execz .LBB0_23
; %bb.19:
	s_load_b64 s[0:1], s[0:1], 0x38
	s_waitcnt lgkmcnt(0)
	v_dual_add_f32 v0, v2, v4 :: v_dual_add_f32 v3, v3, v5
	v_cmp_eq_f32_e64 s3, s12, 0
	s_delay_alu instid0(VALU_DEP_2) | instskip(SKIP_1) | instid1(VALU_DEP_3)
	v_dual_mul_f32 v2, s16, v0 :: v_dual_mul_f32 v3, s16, v3
	v_lshlrev_b32_e32 v0, 1, v1
	s_and_b32 vcc_lo, exec_lo, s3
	s_cbranch_vccz .LBB0_21
; %bb.20:
	s_delay_alu instid0(VALU_DEP_1) | instskip(SKIP_1) | instid1(VALU_DEP_1)
	v_ashrrev_i32_e32 v1, 31, v0
	s_mov_b32 s2, 0
	v_lshlrev_b64 v[4:5], 2, v[0:1]
	s_delay_alu instid0(VALU_DEP_1) | instskip(NEXT) | instid1(VALU_DEP_2)
	v_add_co_u32 v4, vcc_lo, s0, v4
	v_add_co_ci_u32_e32 v5, vcc_lo, s1, v5, vcc_lo
	global_store_b64 v[4:5], v[2:3], off
.LBB0_21:
	s_and_not1_b32 vcc_lo, exec_lo, s2
	s_cbranch_vccnz .LBB0_23
; %bb.22:
	v_ashrrev_i32_e32 v1, 31, v0
	s_delay_alu instid0(VALU_DEP_1) | instskip(NEXT) | instid1(VALU_DEP_1)
	v_lshlrev_b64 v[0:1], 2, v[0:1]
	v_add_co_u32 v0, vcc_lo, s0, v0
	s_delay_alu instid0(VALU_DEP_2)
	v_add_co_ci_u32_e32 v1, vcc_lo, s1, v1, vcc_lo
	global_load_b64 v[4:5], v[0:1], off
	s_waitcnt vmcnt(0)
	v_dual_fmac_f32 v2, s12, v4 :: v_dual_fmac_f32 v3, s12, v5
	global_store_b64 v[0:1], v[2:3], off
.LBB0_23:
	s_nop 0
	s_sendmsg sendmsg(MSG_DEALLOC_VGPRS)
	s_endpgm
	.section	.rodata,"a",@progbits
	.p2align	6, 0x0
	.amdhsa_kernel _ZN9rocsparseL19gebsrmvn_2xn_kernelILj128ELj1ELj4EfEEvi20rocsparse_direction_NS_24const_host_device_scalarIT2_EEPKiS6_PKS3_S8_S4_PS3_21rocsparse_index_base_b
		.amdhsa_group_segment_fixed_size 0
		.amdhsa_private_segment_fixed_size 0
		.amdhsa_kernarg_size 72
		.amdhsa_user_sgpr_count 15
		.amdhsa_user_sgpr_dispatch_ptr 0
		.amdhsa_user_sgpr_queue_ptr 0
		.amdhsa_user_sgpr_kernarg_segment_ptr 1
		.amdhsa_user_sgpr_dispatch_id 0
		.amdhsa_user_sgpr_private_segment_size 0
		.amdhsa_wavefront_size32 1
		.amdhsa_uses_dynamic_stack 0
		.amdhsa_enable_private_segment 0
		.amdhsa_system_sgpr_workgroup_id_x 1
		.amdhsa_system_sgpr_workgroup_id_y 0
		.amdhsa_system_sgpr_workgroup_id_z 0
		.amdhsa_system_sgpr_workgroup_info 0
		.amdhsa_system_vgpr_workitem_id 0
		.amdhsa_next_free_vgpr 14
		.amdhsa_next_free_sgpr 20
		.amdhsa_reserve_vcc 1
		.amdhsa_float_round_mode_32 0
		.amdhsa_float_round_mode_16_64 0
		.amdhsa_float_denorm_mode_32 3
		.amdhsa_float_denorm_mode_16_64 3
		.amdhsa_dx10_clamp 1
		.amdhsa_ieee_mode 1
		.amdhsa_fp16_overflow 0
		.amdhsa_workgroup_processor_mode 1
		.amdhsa_memory_ordered 1
		.amdhsa_forward_progress 0
		.amdhsa_shared_vgpr_count 0
		.amdhsa_exception_fp_ieee_invalid_op 0
		.amdhsa_exception_fp_denorm_src 0
		.amdhsa_exception_fp_ieee_div_zero 0
		.amdhsa_exception_fp_ieee_overflow 0
		.amdhsa_exception_fp_ieee_underflow 0
		.amdhsa_exception_fp_ieee_inexact 0
		.amdhsa_exception_int_div_zero 0
	.end_amdhsa_kernel
	.section	.text._ZN9rocsparseL19gebsrmvn_2xn_kernelILj128ELj1ELj4EfEEvi20rocsparse_direction_NS_24const_host_device_scalarIT2_EEPKiS6_PKS3_S8_S4_PS3_21rocsparse_index_base_b,"axG",@progbits,_ZN9rocsparseL19gebsrmvn_2xn_kernelILj128ELj1ELj4EfEEvi20rocsparse_direction_NS_24const_host_device_scalarIT2_EEPKiS6_PKS3_S8_S4_PS3_21rocsparse_index_base_b,comdat
.Lfunc_end0:
	.size	_ZN9rocsparseL19gebsrmvn_2xn_kernelILj128ELj1ELj4EfEEvi20rocsparse_direction_NS_24const_host_device_scalarIT2_EEPKiS6_PKS3_S8_S4_PS3_21rocsparse_index_base_b, .Lfunc_end0-_ZN9rocsparseL19gebsrmvn_2xn_kernelILj128ELj1ELj4EfEEvi20rocsparse_direction_NS_24const_host_device_scalarIT2_EEPKiS6_PKS3_S8_S4_PS3_21rocsparse_index_base_b
                                        ; -- End function
	.section	.AMDGPU.csdata,"",@progbits
; Kernel info:
; codeLenInByte = 972
; NumSgprs: 22
; NumVgprs: 14
; ScratchSize: 0
; MemoryBound: 0
; FloatMode: 240
; IeeeMode: 1
; LDSByteSize: 0 bytes/workgroup (compile time only)
; SGPRBlocks: 2
; VGPRBlocks: 1
; NumSGPRsForWavesPerEU: 22
; NumVGPRsForWavesPerEU: 14
; Occupancy: 16
; WaveLimiterHint : 1
; COMPUTE_PGM_RSRC2:SCRATCH_EN: 0
; COMPUTE_PGM_RSRC2:USER_SGPR: 15
; COMPUTE_PGM_RSRC2:TRAP_HANDLER: 0
; COMPUTE_PGM_RSRC2:TGID_X_EN: 1
; COMPUTE_PGM_RSRC2:TGID_Y_EN: 0
; COMPUTE_PGM_RSRC2:TGID_Z_EN: 0
; COMPUTE_PGM_RSRC2:TIDIG_COMP_CNT: 0
	.section	.text._ZN9rocsparseL19gebsrmvn_2xn_kernelILj128ELj1ELj8EfEEvi20rocsparse_direction_NS_24const_host_device_scalarIT2_EEPKiS6_PKS3_S8_S4_PS3_21rocsparse_index_base_b,"axG",@progbits,_ZN9rocsparseL19gebsrmvn_2xn_kernelILj128ELj1ELj8EfEEvi20rocsparse_direction_NS_24const_host_device_scalarIT2_EEPKiS6_PKS3_S8_S4_PS3_21rocsparse_index_base_b,comdat
	.globl	_ZN9rocsparseL19gebsrmvn_2xn_kernelILj128ELj1ELj8EfEEvi20rocsparse_direction_NS_24const_host_device_scalarIT2_EEPKiS6_PKS3_S8_S4_PS3_21rocsparse_index_base_b ; -- Begin function _ZN9rocsparseL19gebsrmvn_2xn_kernelILj128ELj1ELj8EfEEvi20rocsparse_direction_NS_24const_host_device_scalarIT2_EEPKiS6_PKS3_S8_S4_PS3_21rocsparse_index_base_b
	.p2align	8
	.type	_ZN9rocsparseL19gebsrmvn_2xn_kernelILj128ELj1ELj8EfEEvi20rocsparse_direction_NS_24const_host_device_scalarIT2_EEPKiS6_PKS3_S8_S4_PS3_21rocsparse_index_base_b,@function
_ZN9rocsparseL19gebsrmvn_2xn_kernelILj128ELj1ELj8EfEEvi20rocsparse_direction_NS_24const_host_device_scalarIT2_EEPKiS6_PKS3_S8_S4_PS3_21rocsparse_index_base_b: ; @_ZN9rocsparseL19gebsrmvn_2xn_kernelILj128ELj1ELj8EfEEvi20rocsparse_direction_NS_24const_host_device_scalarIT2_EEPKiS6_PKS3_S8_S4_PS3_21rocsparse_index_base_b
; %bb.0:
	s_clause 0x2
	s_load_b64 s[18:19], s[0:1], 0x40
	s_load_b64 s[16:17], s[0:1], 0x8
	;; [unrolled: 1-line block ×3, first 2 shown]
	s_waitcnt lgkmcnt(0)
	s_bitcmp1_b32 s19, 0
	s_cselect_b32 s2, -1, 0
	s_delay_alu instid0(SALU_CYCLE_1)
	s_and_b32 vcc_lo, exec_lo, s2
	s_xor_b32 s2, s2, -1
	s_cbranch_vccnz .LBB1_2
; %bb.1:
	s_load_b32 s16, s[16:17], 0x0
.LBB1_2:
	s_and_not1_b32 vcc_lo, exec_lo, s2
	s_cbranch_vccnz .LBB1_4
; %bb.3:
	s_load_b32 s12, s[12:13], 0x0
.LBB1_4:
	s_waitcnt lgkmcnt(0)
	v_cmp_eq_f32_e64 s2, s16, 0
	v_cmp_eq_f32_e64 s3, s12, 1.0
	s_delay_alu instid0(VALU_DEP_1) | instskip(NEXT) | instid1(SALU_CYCLE_1)
	s_and_b32 s2, s2, s3
	s_and_b32 vcc_lo, exec_lo, s2
	s_cbranch_vccnz .LBB1_23
; %bb.5:
	s_load_b64 s[2:3], s[0:1], 0x0
	v_lshrrev_b32_e32 v1, 3, v0
	s_delay_alu instid0(VALU_DEP_1) | instskip(SKIP_1) | instid1(VALU_DEP_1)
	v_lshl_or_b32 v1, s15, 4, v1
	s_waitcnt lgkmcnt(0)
	v_cmp_gt_i32_e32 vcc_lo, s2, v1
	s_and_saveexec_b32 s2, vcc_lo
	s_cbranch_execz .LBB1_23
; %bb.6:
	s_load_b256 s[4:11], s[0:1], 0x10
	v_ashrrev_i32_e32 v2, 31, v1
	v_and_b32_e32 v0, 7, v0
	s_cmp_lg_u32 s3, 0
	s_delay_alu instid0(VALU_DEP_2) | instskip(SKIP_1) | instid1(VALU_DEP_1)
	v_lshlrev_b64 v[2:3], 2, v[1:2]
	s_waitcnt lgkmcnt(0)
	v_add_co_u32 v2, vcc_lo, s4, v2
	s_delay_alu instid0(VALU_DEP_2) | instskip(SKIP_4) | instid1(VALU_DEP_2)
	v_add_co_ci_u32_e32 v3, vcc_lo, s5, v3, vcc_lo
	global_load_b64 v[2:3], v[2:3], off
	s_waitcnt vmcnt(0)
	v_subrev_nc_u32_e32 v2, s18, v2
	v_subrev_nc_u32_e32 v9, s18, v3
	v_add_nc_u32_e32 v2, v2, v0
	s_delay_alu instid0(VALU_DEP_1)
	v_cmp_lt_i32_e64 s2, v2, v9
	s_cbranch_scc0 .LBB1_12
; %bb.7:
	v_dual_mov_b32 v7, 0 :: v_dual_mov_b32 v8, 0
	s_mov_b32 s3, 0
	s_delay_alu instid0(VALU_DEP_2)
	s_and_saveexec_b32 s4, s2
	s_cbranch_execz .LBB1_11
; %bb.8:
	v_dual_mov_b32 v4, 0 :: v_dual_lshlrev_b32 v3, 1, v2
	v_mov_b32_e32 v5, v2
	s_mov_b32 s5, 0
	s_delay_alu instid0(VALU_DEP_2)
	v_mov_b32_e32 v8, v4
	v_mov_b32_e32 v7, v4
	.p2align	6
.LBB1_9:                                ; =>This Inner Loop Header: Depth=1
	s_delay_alu instid0(VALU_DEP_3) | instskip(SKIP_1) | instid1(VALU_DEP_2)
	v_ashrrev_i32_e32 v6, 31, v5
	v_mov_b32_e32 v13, v4
	v_lshlrev_b64 v[10:11], 2, v[5:6]
	v_add_nc_u32_e32 v5, 8, v5
	s_delay_alu instid0(VALU_DEP_2) | instskip(NEXT) | instid1(VALU_DEP_3)
	v_add_co_u32 v10, vcc_lo, s6, v10
	v_add_co_ci_u32_e32 v11, vcc_lo, s7, v11, vcc_lo
	global_load_b32 v6, v[10:11], off
	v_lshlrev_b64 v[10:11], 2, v[3:4]
	v_add_nc_u32_e32 v3, 16, v3
	s_delay_alu instid0(VALU_DEP_2) | instskip(NEXT) | instid1(VALU_DEP_3)
	v_add_co_u32 v10, vcc_lo, s8, v10
	v_add_co_ci_u32_e32 v11, vcc_lo, s9, v11, vcc_lo
	s_waitcnt vmcnt(0)
	v_subrev_nc_u32_e32 v12, s18, v6
	s_delay_alu instid0(VALU_DEP_1) | instskip(NEXT) | instid1(VALU_DEP_1)
	v_lshlrev_b64 v[12:13], 2, v[12:13]
	v_add_co_u32 v12, vcc_lo, s10, v12
	s_delay_alu instid0(VALU_DEP_2)
	v_add_co_ci_u32_e32 v13, vcc_lo, s11, v13, vcc_lo
	v_cmp_ge_i32_e32 vcc_lo, v5, v9
	global_load_b64 v[10:11], v[10:11], off
	global_load_b32 v6, v[12:13], off
	s_or_b32 s5, vcc_lo, s5
	s_waitcnt vmcnt(0)
	v_fmac_f32_e32 v8, v11, v6
	v_fmac_f32_e32 v7, v10, v6
	s_and_not1_b32 exec_lo, exec_lo, s5
	s_cbranch_execnz .LBB1_9
; %bb.10:
	s_or_b32 exec_lo, exec_lo, s5
.LBB1_11:
	s_delay_alu instid0(SALU_CYCLE_1) | instskip(NEXT) | instid1(SALU_CYCLE_1)
	s_or_b32 exec_lo, exec_lo, s4
	s_and_not1_b32 vcc_lo, exec_lo, s3
	s_cbranch_vccz .LBB1_13
	s_branch .LBB1_18
.LBB1_12:
                                        ; implicit-def: $vgpr7
                                        ; implicit-def: $vgpr8
.LBB1_13:
	v_dual_mov_b32 v7, 0 :: v_dual_mov_b32 v8, 0
	s_delay_alu instid0(VALU_DEP_2)
	s_and_saveexec_b32 s3, s2
	s_cbranch_execz .LBB1_17
; %bb.14:
	v_dual_mov_b32 v5, 0 :: v_dual_lshlrev_b32 v4, 1, v2
	s_mov_b32 s2, 0
	s_delay_alu instid0(VALU_DEP_1)
	v_mov_b32_e32 v7, v5
	v_mov_b32_e32 v8, v5
	.p2align	6
.LBB1_15:                               ; =>This Inner Loop Header: Depth=1
	v_ashrrev_i32_e32 v3, 31, v2
	v_mov_b32_e32 v13, v5
	s_delay_alu instid0(VALU_DEP_2) | instskip(SKIP_1) | instid1(VALU_DEP_2)
	v_lshlrev_b64 v[10:11], 2, v[2:3]
	v_add_nc_u32_e32 v2, 8, v2
	v_add_co_u32 v10, vcc_lo, s6, v10
	s_delay_alu instid0(VALU_DEP_3) | instskip(SKIP_2) | instid1(VALU_DEP_1)
	v_add_co_ci_u32_e32 v11, vcc_lo, s7, v11, vcc_lo
	global_load_b32 v3, v[10:11], off
	v_lshlrev_b64 v[10:11], 2, v[4:5]
	v_add_co_u32 v10, vcc_lo, s8, v10
	s_delay_alu instid0(VALU_DEP_2) | instskip(SKIP_2) | instid1(VALU_DEP_1)
	v_add_co_ci_u32_e32 v11, vcc_lo, s9, v11, vcc_lo
	s_waitcnt vmcnt(0)
	v_subrev_nc_u32_e32 v12, s18, v3
	v_lshlrev_b64 v[12:13], 2, v[12:13]
	s_delay_alu instid0(VALU_DEP_1) | instskip(NEXT) | instid1(VALU_DEP_2)
	v_add_co_u32 v12, vcc_lo, s10, v12
	v_add_co_ci_u32_e32 v13, vcc_lo, s11, v13, vcc_lo
	v_cmp_ge_i32_e32 vcc_lo, v2, v9
	global_load_b64 v[10:11], v[10:11], off
	global_load_b32 v3, v[12:13], off
	v_add_nc_u32_e32 v4, 16, v4
	s_or_b32 s2, vcc_lo, s2
	s_waitcnt vmcnt(0)
	v_fmac_f32_e32 v7, v10, v3
	v_fmac_f32_e32 v8, v11, v3
	s_and_not1_b32 exec_lo, exec_lo, s2
	s_cbranch_execnz .LBB1_15
; %bb.16:
	s_or_b32 exec_lo, exec_lo, s2
.LBB1_17:
	s_delay_alu instid0(SALU_CYCLE_1)
	s_or_b32 exec_lo, exec_lo, s3
.LBB1_18:
	v_mbcnt_lo_u32_b32 v2, -1, 0
	s_mov_b32 s2, -1
	s_delay_alu instid0(VALU_DEP_1) | instskip(SKIP_1) | instid1(VALU_DEP_2)
	v_xor_b32_e32 v3, 4, v2
	v_xor_b32_e32 v5, 2, v2
	v_cmp_gt_i32_e32 vcc_lo, 32, v3
	v_cndmask_b32_e32 v3, v2, v3, vcc_lo
	s_delay_alu instid0(VALU_DEP_3) | instskip(NEXT) | instid1(VALU_DEP_2)
	v_cmp_gt_i32_e32 vcc_lo, 32, v5
	v_lshlrev_b32_e32 v3, 2, v3
	v_cndmask_b32_e32 v5, v2, v5, vcc_lo
	ds_bpermute_b32 v4, v3, v7
	s_waitcnt lgkmcnt(0)
	v_add_f32_e32 v4, v7, v4
	v_xor_b32_e32 v7, 1, v2
	s_delay_alu instid0(VALU_DEP_1)
	v_cmp_gt_i32_e32 vcc_lo, 32, v7
	v_dual_cndmask_b32 v2, v2, v7 :: v_dual_lshlrev_b32 v5, 2, v5
	ds_bpermute_b32 v6, v5, v4
	v_cmp_eq_u32_e32 vcc_lo, 7, v0
	v_lshlrev_b32_e32 v7, 2, v2
	s_waitcnt lgkmcnt(0)
	v_add_f32_e32 v2, v4, v6
	ds_bpermute_b32 v3, v3, v8
	ds_bpermute_b32 v4, v7, v2
	s_waitcnt lgkmcnt(1)
	v_add_f32_e32 v3, v8, v3
	ds_bpermute_b32 v5, v5, v3
	s_waitcnt lgkmcnt(0)
	v_add_f32_e32 v3, v3, v5
	ds_bpermute_b32 v5, v7, v3
	s_and_b32 exec_lo, exec_lo, vcc_lo
	s_cbranch_execz .LBB1_23
; %bb.19:
	s_load_b64 s[0:1], s[0:1], 0x38
	s_waitcnt lgkmcnt(0)
	v_dual_add_f32 v0, v2, v4 :: v_dual_add_f32 v3, v3, v5
	v_cmp_eq_f32_e64 s3, s12, 0
	s_delay_alu instid0(VALU_DEP_2) | instskip(SKIP_1) | instid1(VALU_DEP_3)
	v_dual_mul_f32 v2, s16, v0 :: v_dual_mul_f32 v3, s16, v3
	v_lshlrev_b32_e32 v0, 1, v1
	s_and_b32 vcc_lo, exec_lo, s3
	s_cbranch_vccz .LBB1_21
; %bb.20:
	s_delay_alu instid0(VALU_DEP_1) | instskip(SKIP_1) | instid1(VALU_DEP_1)
	v_ashrrev_i32_e32 v1, 31, v0
	s_mov_b32 s2, 0
	v_lshlrev_b64 v[4:5], 2, v[0:1]
	s_delay_alu instid0(VALU_DEP_1) | instskip(NEXT) | instid1(VALU_DEP_2)
	v_add_co_u32 v4, vcc_lo, s0, v4
	v_add_co_ci_u32_e32 v5, vcc_lo, s1, v5, vcc_lo
	global_store_b64 v[4:5], v[2:3], off
.LBB1_21:
	s_and_not1_b32 vcc_lo, exec_lo, s2
	s_cbranch_vccnz .LBB1_23
; %bb.22:
	v_ashrrev_i32_e32 v1, 31, v0
	s_delay_alu instid0(VALU_DEP_1) | instskip(NEXT) | instid1(VALU_DEP_1)
	v_lshlrev_b64 v[0:1], 2, v[0:1]
	v_add_co_u32 v0, vcc_lo, s0, v0
	s_delay_alu instid0(VALU_DEP_2)
	v_add_co_ci_u32_e32 v1, vcc_lo, s1, v1, vcc_lo
	global_load_b64 v[4:5], v[0:1], off
	s_waitcnt vmcnt(0)
	v_dual_fmac_f32 v2, s12, v4 :: v_dual_fmac_f32 v3, s12, v5
	global_store_b64 v[0:1], v[2:3], off
.LBB1_23:
	s_nop 0
	s_sendmsg sendmsg(MSG_DEALLOC_VGPRS)
	s_endpgm
	.section	.rodata,"a",@progbits
	.p2align	6, 0x0
	.amdhsa_kernel _ZN9rocsparseL19gebsrmvn_2xn_kernelILj128ELj1ELj8EfEEvi20rocsparse_direction_NS_24const_host_device_scalarIT2_EEPKiS6_PKS3_S8_S4_PS3_21rocsparse_index_base_b
		.amdhsa_group_segment_fixed_size 0
		.amdhsa_private_segment_fixed_size 0
		.amdhsa_kernarg_size 72
		.amdhsa_user_sgpr_count 15
		.amdhsa_user_sgpr_dispatch_ptr 0
		.amdhsa_user_sgpr_queue_ptr 0
		.amdhsa_user_sgpr_kernarg_segment_ptr 1
		.amdhsa_user_sgpr_dispatch_id 0
		.amdhsa_user_sgpr_private_segment_size 0
		.amdhsa_wavefront_size32 1
		.amdhsa_uses_dynamic_stack 0
		.amdhsa_enable_private_segment 0
		.amdhsa_system_sgpr_workgroup_id_x 1
		.amdhsa_system_sgpr_workgroup_id_y 0
		.amdhsa_system_sgpr_workgroup_id_z 0
		.amdhsa_system_sgpr_workgroup_info 0
		.amdhsa_system_vgpr_workitem_id 0
		.amdhsa_next_free_vgpr 14
		.amdhsa_next_free_sgpr 20
		.amdhsa_reserve_vcc 1
		.amdhsa_float_round_mode_32 0
		.amdhsa_float_round_mode_16_64 0
		.amdhsa_float_denorm_mode_32 3
		.amdhsa_float_denorm_mode_16_64 3
		.amdhsa_dx10_clamp 1
		.amdhsa_ieee_mode 1
		.amdhsa_fp16_overflow 0
		.amdhsa_workgroup_processor_mode 1
		.amdhsa_memory_ordered 1
		.amdhsa_forward_progress 0
		.amdhsa_shared_vgpr_count 0
		.amdhsa_exception_fp_ieee_invalid_op 0
		.amdhsa_exception_fp_denorm_src 0
		.amdhsa_exception_fp_ieee_div_zero 0
		.amdhsa_exception_fp_ieee_overflow 0
		.amdhsa_exception_fp_ieee_underflow 0
		.amdhsa_exception_fp_ieee_inexact 0
		.amdhsa_exception_int_div_zero 0
	.end_amdhsa_kernel
	.section	.text._ZN9rocsparseL19gebsrmvn_2xn_kernelILj128ELj1ELj8EfEEvi20rocsparse_direction_NS_24const_host_device_scalarIT2_EEPKiS6_PKS3_S8_S4_PS3_21rocsparse_index_base_b,"axG",@progbits,_ZN9rocsparseL19gebsrmvn_2xn_kernelILj128ELj1ELj8EfEEvi20rocsparse_direction_NS_24const_host_device_scalarIT2_EEPKiS6_PKS3_S8_S4_PS3_21rocsparse_index_base_b,comdat
.Lfunc_end1:
	.size	_ZN9rocsparseL19gebsrmvn_2xn_kernelILj128ELj1ELj8EfEEvi20rocsparse_direction_NS_24const_host_device_scalarIT2_EEPKiS6_PKS3_S8_S4_PS3_21rocsparse_index_base_b, .Lfunc_end1-_ZN9rocsparseL19gebsrmvn_2xn_kernelILj128ELj1ELj8EfEEvi20rocsparse_direction_NS_24const_host_device_scalarIT2_EEPKiS6_PKS3_S8_S4_PS3_21rocsparse_index_base_b
                                        ; -- End function
	.section	.AMDGPU.csdata,"",@progbits
; Kernel info:
; codeLenInByte = 1028
; NumSgprs: 22
; NumVgprs: 14
; ScratchSize: 0
; MemoryBound: 0
; FloatMode: 240
; IeeeMode: 1
; LDSByteSize: 0 bytes/workgroup (compile time only)
; SGPRBlocks: 2
; VGPRBlocks: 1
; NumSGPRsForWavesPerEU: 22
; NumVGPRsForWavesPerEU: 14
; Occupancy: 16
; WaveLimiterHint : 1
; COMPUTE_PGM_RSRC2:SCRATCH_EN: 0
; COMPUTE_PGM_RSRC2:USER_SGPR: 15
; COMPUTE_PGM_RSRC2:TRAP_HANDLER: 0
; COMPUTE_PGM_RSRC2:TGID_X_EN: 1
; COMPUTE_PGM_RSRC2:TGID_Y_EN: 0
; COMPUTE_PGM_RSRC2:TGID_Z_EN: 0
; COMPUTE_PGM_RSRC2:TIDIG_COMP_CNT: 0
	.section	.text._ZN9rocsparseL19gebsrmvn_2xn_kernelILj128ELj1ELj16EfEEvi20rocsparse_direction_NS_24const_host_device_scalarIT2_EEPKiS6_PKS3_S8_S4_PS3_21rocsparse_index_base_b,"axG",@progbits,_ZN9rocsparseL19gebsrmvn_2xn_kernelILj128ELj1ELj16EfEEvi20rocsparse_direction_NS_24const_host_device_scalarIT2_EEPKiS6_PKS3_S8_S4_PS3_21rocsparse_index_base_b,comdat
	.globl	_ZN9rocsparseL19gebsrmvn_2xn_kernelILj128ELj1ELj16EfEEvi20rocsparse_direction_NS_24const_host_device_scalarIT2_EEPKiS6_PKS3_S8_S4_PS3_21rocsparse_index_base_b ; -- Begin function _ZN9rocsparseL19gebsrmvn_2xn_kernelILj128ELj1ELj16EfEEvi20rocsparse_direction_NS_24const_host_device_scalarIT2_EEPKiS6_PKS3_S8_S4_PS3_21rocsparse_index_base_b
	.p2align	8
	.type	_ZN9rocsparseL19gebsrmvn_2xn_kernelILj128ELj1ELj16EfEEvi20rocsparse_direction_NS_24const_host_device_scalarIT2_EEPKiS6_PKS3_S8_S4_PS3_21rocsparse_index_base_b,@function
_ZN9rocsparseL19gebsrmvn_2xn_kernelILj128ELj1ELj16EfEEvi20rocsparse_direction_NS_24const_host_device_scalarIT2_EEPKiS6_PKS3_S8_S4_PS3_21rocsparse_index_base_b: ; @_ZN9rocsparseL19gebsrmvn_2xn_kernelILj128ELj1ELj16EfEEvi20rocsparse_direction_NS_24const_host_device_scalarIT2_EEPKiS6_PKS3_S8_S4_PS3_21rocsparse_index_base_b
; %bb.0:
	s_clause 0x2
	s_load_b64 s[18:19], s[0:1], 0x40
	s_load_b64 s[16:17], s[0:1], 0x8
	;; [unrolled: 1-line block ×3, first 2 shown]
	s_waitcnt lgkmcnt(0)
	s_bitcmp1_b32 s19, 0
	s_cselect_b32 s2, -1, 0
	s_delay_alu instid0(SALU_CYCLE_1)
	s_and_b32 vcc_lo, exec_lo, s2
	s_xor_b32 s2, s2, -1
	s_cbranch_vccnz .LBB2_2
; %bb.1:
	s_load_b32 s16, s[16:17], 0x0
.LBB2_2:
	s_and_not1_b32 vcc_lo, exec_lo, s2
	s_cbranch_vccnz .LBB2_4
; %bb.3:
	s_load_b32 s12, s[12:13], 0x0
.LBB2_4:
	s_waitcnt lgkmcnt(0)
	v_cmp_eq_f32_e64 s2, s16, 0
	v_cmp_eq_f32_e64 s3, s12, 1.0
	s_delay_alu instid0(VALU_DEP_1) | instskip(NEXT) | instid1(SALU_CYCLE_1)
	s_and_b32 s2, s2, s3
	s_and_b32 vcc_lo, exec_lo, s2
	s_cbranch_vccnz .LBB2_23
; %bb.5:
	s_load_b64 s[2:3], s[0:1], 0x0
	v_lshrrev_b32_e32 v1, 4, v0
	s_delay_alu instid0(VALU_DEP_1) | instskip(SKIP_1) | instid1(VALU_DEP_1)
	v_lshl_or_b32 v1, s15, 3, v1
	s_waitcnt lgkmcnt(0)
	v_cmp_gt_i32_e32 vcc_lo, s2, v1
	s_and_saveexec_b32 s2, vcc_lo
	s_cbranch_execz .LBB2_23
; %bb.6:
	s_load_b256 s[4:11], s[0:1], 0x10
	v_ashrrev_i32_e32 v2, 31, v1
	v_and_b32_e32 v0, 15, v0
	s_cmp_lg_u32 s3, 0
	s_delay_alu instid0(VALU_DEP_2) | instskip(SKIP_1) | instid1(VALU_DEP_1)
	v_lshlrev_b64 v[2:3], 2, v[1:2]
	s_waitcnt lgkmcnt(0)
	v_add_co_u32 v2, vcc_lo, s4, v2
	s_delay_alu instid0(VALU_DEP_2) | instskip(SKIP_4) | instid1(VALU_DEP_2)
	v_add_co_ci_u32_e32 v3, vcc_lo, s5, v3, vcc_lo
	global_load_b64 v[2:3], v[2:3], off
	s_waitcnt vmcnt(0)
	v_subrev_nc_u32_e32 v2, s18, v2
	v_subrev_nc_u32_e32 v9, s18, v3
	v_add_nc_u32_e32 v2, v2, v0
	s_delay_alu instid0(VALU_DEP_1)
	v_cmp_lt_i32_e64 s2, v2, v9
	s_cbranch_scc0 .LBB2_12
; %bb.7:
	v_dual_mov_b32 v7, 0 :: v_dual_mov_b32 v8, 0
	s_mov_b32 s3, 0
	s_delay_alu instid0(VALU_DEP_2)
	s_and_saveexec_b32 s4, s2
	s_cbranch_execz .LBB2_11
; %bb.8:
	v_dual_mov_b32 v4, 0 :: v_dual_lshlrev_b32 v3, 1, v2
	v_mov_b32_e32 v5, v2
	s_mov_b32 s5, 0
	s_delay_alu instid0(VALU_DEP_2)
	v_mov_b32_e32 v8, v4
	v_mov_b32_e32 v7, v4
	.p2align	6
.LBB2_9:                                ; =>This Inner Loop Header: Depth=1
	s_delay_alu instid0(VALU_DEP_3) | instskip(SKIP_1) | instid1(VALU_DEP_2)
	v_ashrrev_i32_e32 v6, 31, v5
	v_mov_b32_e32 v13, v4
	v_lshlrev_b64 v[10:11], 2, v[5:6]
	v_add_nc_u32_e32 v5, 16, v5
	s_delay_alu instid0(VALU_DEP_2) | instskip(NEXT) | instid1(VALU_DEP_3)
	v_add_co_u32 v10, vcc_lo, s6, v10
	v_add_co_ci_u32_e32 v11, vcc_lo, s7, v11, vcc_lo
	global_load_b32 v6, v[10:11], off
	v_lshlrev_b64 v[10:11], 2, v[3:4]
	v_add_nc_u32_e32 v3, 32, v3
	s_delay_alu instid0(VALU_DEP_2) | instskip(NEXT) | instid1(VALU_DEP_3)
	v_add_co_u32 v10, vcc_lo, s8, v10
	v_add_co_ci_u32_e32 v11, vcc_lo, s9, v11, vcc_lo
	s_waitcnt vmcnt(0)
	v_subrev_nc_u32_e32 v12, s18, v6
	s_delay_alu instid0(VALU_DEP_1) | instskip(NEXT) | instid1(VALU_DEP_1)
	v_lshlrev_b64 v[12:13], 2, v[12:13]
	v_add_co_u32 v12, vcc_lo, s10, v12
	s_delay_alu instid0(VALU_DEP_2)
	v_add_co_ci_u32_e32 v13, vcc_lo, s11, v13, vcc_lo
	v_cmp_ge_i32_e32 vcc_lo, v5, v9
	global_load_b64 v[10:11], v[10:11], off
	global_load_b32 v6, v[12:13], off
	s_or_b32 s5, vcc_lo, s5
	s_waitcnt vmcnt(0)
	v_fmac_f32_e32 v8, v11, v6
	v_fmac_f32_e32 v7, v10, v6
	s_and_not1_b32 exec_lo, exec_lo, s5
	s_cbranch_execnz .LBB2_9
; %bb.10:
	s_or_b32 exec_lo, exec_lo, s5
.LBB2_11:
	s_delay_alu instid0(SALU_CYCLE_1) | instskip(NEXT) | instid1(SALU_CYCLE_1)
	s_or_b32 exec_lo, exec_lo, s4
	s_and_not1_b32 vcc_lo, exec_lo, s3
	s_cbranch_vccz .LBB2_13
	s_branch .LBB2_18
.LBB2_12:
                                        ; implicit-def: $vgpr7
                                        ; implicit-def: $vgpr8
.LBB2_13:
	v_dual_mov_b32 v7, 0 :: v_dual_mov_b32 v8, 0
	s_delay_alu instid0(VALU_DEP_2)
	s_and_saveexec_b32 s3, s2
	s_cbranch_execz .LBB2_17
; %bb.14:
	v_dual_mov_b32 v5, 0 :: v_dual_lshlrev_b32 v4, 1, v2
	s_mov_b32 s2, 0
	s_delay_alu instid0(VALU_DEP_1)
	v_mov_b32_e32 v7, v5
	v_mov_b32_e32 v8, v5
	.p2align	6
.LBB2_15:                               ; =>This Inner Loop Header: Depth=1
	v_ashrrev_i32_e32 v3, 31, v2
	v_mov_b32_e32 v13, v5
	s_delay_alu instid0(VALU_DEP_2) | instskip(SKIP_1) | instid1(VALU_DEP_2)
	v_lshlrev_b64 v[10:11], 2, v[2:3]
	v_add_nc_u32_e32 v2, 16, v2
	v_add_co_u32 v10, vcc_lo, s6, v10
	s_delay_alu instid0(VALU_DEP_3) | instskip(SKIP_2) | instid1(VALU_DEP_1)
	v_add_co_ci_u32_e32 v11, vcc_lo, s7, v11, vcc_lo
	global_load_b32 v3, v[10:11], off
	v_lshlrev_b64 v[10:11], 2, v[4:5]
	v_add_co_u32 v10, vcc_lo, s8, v10
	s_delay_alu instid0(VALU_DEP_2) | instskip(SKIP_2) | instid1(VALU_DEP_1)
	v_add_co_ci_u32_e32 v11, vcc_lo, s9, v11, vcc_lo
	s_waitcnt vmcnt(0)
	v_subrev_nc_u32_e32 v12, s18, v3
	v_lshlrev_b64 v[12:13], 2, v[12:13]
	s_delay_alu instid0(VALU_DEP_1) | instskip(NEXT) | instid1(VALU_DEP_2)
	v_add_co_u32 v12, vcc_lo, s10, v12
	v_add_co_ci_u32_e32 v13, vcc_lo, s11, v13, vcc_lo
	v_cmp_ge_i32_e32 vcc_lo, v2, v9
	global_load_b64 v[10:11], v[10:11], off
	global_load_b32 v3, v[12:13], off
	v_add_nc_u32_e32 v4, 32, v4
	s_or_b32 s2, vcc_lo, s2
	s_waitcnt vmcnt(0)
	v_fmac_f32_e32 v7, v10, v3
	v_fmac_f32_e32 v8, v11, v3
	s_and_not1_b32 exec_lo, exec_lo, s2
	s_cbranch_execnz .LBB2_15
; %bb.16:
	s_or_b32 exec_lo, exec_lo, s2
.LBB2_17:
	s_delay_alu instid0(SALU_CYCLE_1)
	s_or_b32 exec_lo, exec_lo, s3
.LBB2_18:
	v_mbcnt_lo_u32_b32 v2, -1, 0
	s_mov_b32 s2, -1
	s_delay_alu instid0(VALU_DEP_1) | instskip(SKIP_1) | instid1(VALU_DEP_2)
	v_xor_b32_e32 v3, 8, v2
	v_xor_b32_e32 v5, 4, v2
	v_cmp_gt_i32_e32 vcc_lo, 32, v3
	v_cndmask_b32_e32 v3, v2, v3, vcc_lo
	s_delay_alu instid0(VALU_DEP_3) | instskip(NEXT) | instid1(VALU_DEP_2)
	v_cmp_gt_i32_e32 vcc_lo, 32, v5
	v_lshlrev_b32_e32 v3, 2, v3
	v_cndmask_b32_e32 v5, v2, v5, vcc_lo
	ds_bpermute_b32 v4, v3, v7
	s_waitcnt lgkmcnt(0)
	v_dual_add_f32 v4, v7, v4 :: v_dual_lshlrev_b32 v5, 2, v5
	v_xor_b32_e32 v7, 2, v2
	ds_bpermute_b32 v6, v5, v4
	v_cmp_gt_i32_e32 vcc_lo, 32, v7
	s_waitcnt lgkmcnt(0)
	v_add_f32_e32 v4, v4, v6
	ds_bpermute_b32 v3, v3, v8
	v_cndmask_b32_e32 v7, v2, v7, vcc_lo
	s_delay_alu instid0(VALU_DEP_1)
	v_lshlrev_b32_e32 v7, 2, v7
	s_waitcnt lgkmcnt(0)
	v_add_f32_e32 v3, v8, v3
	ds_bpermute_b32 v5, v5, v3
	s_waitcnt lgkmcnt(0)
	v_add_f32_e32 v3, v3, v5
	ds_bpermute_b32 v5, v7, v4
	ds_bpermute_b32 v6, v7, v3
	v_xor_b32_e32 v7, 1, v2
	s_delay_alu instid0(VALU_DEP_1) | instskip(SKIP_3) | instid1(VALU_DEP_2)
	v_cmp_gt_i32_e32 vcc_lo, 32, v7
	v_cndmask_b32_e32 v2, v2, v7, vcc_lo
	v_cmp_eq_u32_e32 vcc_lo, 15, v0
	s_waitcnt lgkmcnt(1)
	v_dual_add_f32 v2, v4, v5 :: v_dual_lshlrev_b32 v7, 2, v2
	s_waitcnt lgkmcnt(0)
	v_add_f32_e32 v3, v3, v6
	ds_bpermute_b32 v4, v7, v2
	ds_bpermute_b32 v5, v7, v3
	s_and_b32 exec_lo, exec_lo, vcc_lo
	s_cbranch_execz .LBB2_23
; %bb.19:
	s_load_b64 s[0:1], s[0:1], 0x38
	s_waitcnt lgkmcnt(0)
	v_dual_add_f32 v0, v2, v4 :: v_dual_add_f32 v3, v3, v5
	v_cmp_eq_f32_e64 s3, s12, 0
	s_delay_alu instid0(VALU_DEP_2) | instskip(SKIP_1) | instid1(VALU_DEP_3)
	v_dual_mul_f32 v2, s16, v0 :: v_dual_mul_f32 v3, s16, v3
	v_lshlrev_b32_e32 v0, 1, v1
	s_and_b32 vcc_lo, exec_lo, s3
	s_cbranch_vccz .LBB2_21
; %bb.20:
	s_delay_alu instid0(VALU_DEP_1) | instskip(SKIP_1) | instid1(VALU_DEP_1)
	v_ashrrev_i32_e32 v1, 31, v0
	s_mov_b32 s2, 0
	v_lshlrev_b64 v[4:5], 2, v[0:1]
	s_delay_alu instid0(VALU_DEP_1) | instskip(NEXT) | instid1(VALU_DEP_2)
	v_add_co_u32 v4, vcc_lo, s0, v4
	v_add_co_ci_u32_e32 v5, vcc_lo, s1, v5, vcc_lo
	global_store_b64 v[4:5], v[2:3], off
.LBB2_21:
	s_and_not1_b32 vcc_lo, exec_lo, s2
	s_cbranch_vccnz .LBB2_23
; %bb.22:
	v_ashrrev_i32_e32 v1, 31, v0
	s_delay_alu instid0(VALU_DEP_1) | instskip(NEXT) | instid1(VALU_DEP_1)
	v_lshlrev_b64 v[0:1], 2, v[0:1]
	v_add_co_u32 v0, vcc_lo, s0, v0
	s_delay_alu instid0(VALU_DEP_2)
	v_add_co_ci_u32_e32 v1, vcc_lo, s1, v1, vcc_lo
	global_load_b64 v[4:5], v[0:1], off
	s_waitcnt vmcnt(0)
	v_dual_fmac_f32 v2, s12, v4 :: v_dual_fmac_f32 v3, s12, v5
	global_store_b64 v[0:1], v[2:3], off
.LBB2_23:
	s_nop 0
	s_sendmsg sendmsg(MSG_DEALLOC_VGPRS)
	s_endpgm
	.section	.rodata,"a",@progbits
	.p2align	6, 0x0
	.amdhsa_kernel _ZN9rocsparseL19gebsrmvn_2xn_kernelILj128ELj1ELj16EfEEvi20rocsparse_direction_NS_24const_host_device_scalarIT2_EEPKiS6_PKS3_S8_S4_PS3_21rocsparse_index_base_b
		.amdhsa_group_segment_fixed_size 0
		.amdhsa_private_segment_fixed_size 0
		.amdhsa_kernarg_size 72
		.amdhsa_user_sgpr_count 15
		.amdhsa_user_sgpr_dispatch_ptr 0
		.amdhsa_user_sgpr_queue_ptr 0
		.amdhsa_user_sgpr_kernarg_segment_ptr 1
		.amdhsa_user_sgpr_dispatch_id 0
		.amdhsa_user_sgpr_private_segment_size 0
		.amdhsa_wavefront_size32 1
		.amdhsa_uses_dynamic_stack 0
		.amdhsa_enable_private_segment 0
		.amdhsa_system_sgpr_workgroup_id_x 1
		.amdhsa_system_sgpr_workgroup_id_y 0
		.amdhsa_system_sgpr_workgroup_id_z 0
		.amdhsa_system_sgpr_workgroup_info 0
		.amdhsa_system_vgpr_workitem_id 0
		.amdhsa_next_free_vgpr 14
		.amdhsa_next_free_sgpr 20
		.amdhsa_reserve_vcc 1
		.amdhsa_float_round_mode_32 0
		.amdhsa_float_round_mode_16_64 0
		.amdhsa_float_denorm_mode_32 3
		.amdhsa_float_denorm_mode_16_64 3
		.amdhsa_dx10_clamp 1
		.amdhsa_ieee_mode 1
		.amdhsa_fp16_overflow 0
		.amdhsa_workgroup_processor_mode 1
		.amdhsa_memory_ordered 1
		.amdhsa_forward_progress 0
		.amdhsa_shared_vgpr_count 0
		.amdhsa_exception_fp_ieee_invalid_op 0
		.amdhsa_exception_fp_denorm_src 0
		.amdhsa_exception_fp_ieee_div_zero 0
		.amdhsa_exception_fp_ieee_overflow 0
		.amdhsa_exception_fp_ieee_underflow 0
		.amdhsa_exception_fp_ieee_inexact 0
		.amdhsa_exception_int_div_zero 0
	.end_amdhsa_kernel
	.section	.text._ZN9rocsparseL19gebsrmvn_2xn_kernelILj128ELj1ELj16EfEEvi20rocsparse_direction_NS_24const_host_device_scalarIT2_EEPKiS6_PKS3_S8_S4_PS3_21rocsparse_index_base_b,"axG",@progbits,_ZN9rocsparseL19gebsrmvn_2xn_kernelILj128ELj1ELj16EfEEvi20rocsparse_direction_NS_24const_host_device_scalarIT2_EEPKiS6_PKS3_S8_S4_PS3_21rocsparse_index_base_b,comdat
.Lfunc_end2:
	.size	_ZN9rocsparseL19gebsrmvn_2xn_kernelILj128ELj1ELj16EfEEvi20rocsparse_direction_NS_24const_host_device_scalarIT2_EEPKiS6_PKS3_S8_S4_PS3_21rocsparse_index_base_b, .Lfunc_end2-_ZN9rocsparseL19gebsrmvn_2xn_kernelILj128ELj1ELj16EfEEvi20rocsparse_direction_NS_24const_host_device_scalarIT2_EEPKiS6_PKS3_S8_S4_PS3_21rocsparse_index_base_b
                                        ; -- End function
	.section	.AMDGPU.csdata,"",@progbits
; Kernel info:
; codeLenInByte = 1080
; NumSgprs: 22
; NumVgprs: 14
; ScratchSize: 0
; MemoryBound: 0
; FloatMode: 240
; IeeeMode: 1
; LDSByteSize: 0 bytes/workgroup (compile time only)
; SGPRBlocks: 2
; VGPRBlocks: 1
; NumSGPRsForWavesPerEU: 22
; NumVGPRsForWavesPerEU: 14
; Occupancy: 16
; WaveLimiterHint : 1
; COMPUTE_PGM_RSRC2:SCRATCH_EN: 0
; COMPUTE_PGM_RSRC2:USER_SGPR: 15
; COMPUTE_PGM_RSRC2:TRAP_HANDLER: 0
; COMPUTE_PGM_RSRC2:TGID_X_EN: 1
; COMPUTE_PGM_RSRC2:TGID_Y_EN: 0
; COMPUTE_PGM_RSRC2:TGID_Z_EN: 0
; COMPUTE_PGM_RSRC2:TIDIG_COMP_CNT: 0
	.section	.text._ZN9rocsparseL19gebsrmvn_2xn_kernelILj128ELj1ELj32EfEEvi20rocsparse_direction_NS_24const_host_device_scalarIT2_EEPKiS6_PKS3_S8_S4_PS3_21rocsparse_index_base_b,"axG",@progbits,_ZN9rocsparseL19gebsrmvn_2xn_kernelILj128ELj1ELj32EfEEvi20rocsparse_direction_NS_24const_host_device_scalarIT2_EEPKiS6_PKS3_S8_S4_PS3_21rocsparse_index_base_b,comdat
	.globl	_ZN9rocsparseL19gebsrmvn_2xn_kernelILj128ELj1ELj32EfEEvi20rocsparse_direction_NS_24const_host_device_scalarIT2_EEPKiS6_PKS3_S8_S4_PS3_21rocsparse_index_base_b ; -- Begin function _ZN9rocsparseL19gebsrmvn_2xn_kernelILj128ELj1ELj32EfEEvi20rocsparse_direction_NS_24const_host_device_scalarIT2_EEPKiS6_PKS3_S8_S4_PS3_21rocsparse_index_base_b
	.p2align	8
	.type	_ZN9rocsparseL19gebsrmvn_2xn_kernelILj128ELj1ELj32EfEEvi20rocsparse_direction_NS_24const_host_device_scalarIT2_EEPKiS6_PKS3_S8_S4_PS3_21rocsparse_index_base_b,@function
_ZN9rocsparseL19gebsrmvn_2xn_kernelILj128ELj1ELj32EfEEvi20rocsparse_direction_NS_24const_host_device_scalarIT2_EEPKiS6_PKS3_S8_S4_PS3_21rocsparse_index_base_b: ; @_ZN9rocsparseL19gebsrmvn_2xn_kernelILj128ELj1ELj32EfEEvi20rocsparse_direction_NS_24const_host_device_scalarIT2_EEPKiS6_PKS3_S8_S4_PS3_21rocsparse_index_base_b
; %bb.0:
	s_clause 0x2
	s_load_b64 s[18:19], s[0:1], 0x40
	s_load_b64 s[16:17], s[0:1], 0x8
	;; [unrolled: 1-line block ×3, first 2 shown]
	s_waitcnt lgkmcnt(0)
	s_bitcmp1_b32 s19, 0
	s_cselect_b32 s2, -1, 0
	s_delay_alu instid0(SALU_CYCLE_1)
	s_and_b32 vcc_lo, exec_lo, s2
	s_xor_b32 s2, s2, -1
	s_cbranch_vccnz .LBB3_2
; %bb.1:
	s_load_b32 s16, s[16:17], 0x0
.LBB3_2:
	s_and_not1_b32 vcc_lo, exec_lo, s2
	s_cbranch_vccnz .LBB3_4
; %bb.3:
	s_load_b32 s12, s[12:13], 0x0
.LBB3_4:
	s_waitcnt lgkmcnt(0)
	v_cmp_eq_f32_e64 s2, s16, 0
	v_cmp_eq_f32_e64 s3, s12, 1.0
	s_delay_alu instid0(VALU_DEP_1) | instskip(NEXT) | instid1(SALU_CYCLE_1)
	s_and_b32 s2, s2, s3
	s_and_b32 vcc_lo, exec_lo, s2
	s_cbranch_vccnz .LBB3_23
; %bb.5:
	s_load_b64 s[2:3], s[0:1], 0x0
	v_lshrrev_b32_e32 v1, 5, v0
	s_delay_alu instid0(VALU_DEP_1) | instskip(SKIP_1) | instid1(VALU_DEP_1)
	v_lshl_or_b32 v1, s15, 2, v1
	s_waitcnt lgkmcnt(0)
	v_cmp_gt_i32_e32 vcc_lo, s2, v1
	s_and_saveexec_b32 s2, vcc_lo
	s_cbranch_execz .LBB3_23
; %bb.6:
	s_load_b256 s[4:11], s[0:1], 0x10
	v_ashrrev_i32_e32 v2, 31, v1
	v_and_b32_e32 v0, 31, v0
	s_cmp_lg_u32 s3, 0
	s_delay_alu instid0(VALU_DEP_2) | instskip(SKIP_1) | instid1(VALU_DEP_1)
	v_lshlrev_b64 v[2:3], 2, v[1:2]
	s_waitcnt lgkmcnt(0)
	v_add_co_u32 v2, vcc_lo, s4, v2
	s_delay_alu instid0(VALU_DEP_2) | instskip(SKIP_4) | instid1(VALU_DEP_2)
	v_add_co_ci_u32_e32 v3, vcc_lo, s5, v3, vcc_lo
	global_load_b64 v[2:3], v[2:3], off
	s_waitcnt vmcnt(0)
	v_subrev_nc_u32_e32 v2, s18, v2
	v_subrev_nc_u32_e32 v9, s18, v3
	v_add_nc_u32_e32 v2, v2, v0
	s_delay_alu instid0(VALU_DEP_1)
	v_cmp_lt_i32_e64 s2, v2, v9
	s_cbranch_scc0 .LBB3_12
; %bb.7:
	v_dual_mov_b32 v7, 0 :: v_dual_mov_b32 v8, 0
	s_mov_b32 s3, 0
	s_delay_alu instid0(VALU_DEP_2)
	s_and_saveexec_b32 s4, s2
	s_cbranch_execz .LBB3_11
; %bb.8:
	v_dual_mov_b32 v4, 0 :: v_dual_lshlrev_b32 v3, 1, v2
	v_mov_b32_e32 v5, v2
	s_mov_b32 s5, 0
	s_delay_alu instid0(VALU_DEP_2)
	v_mov_b32_e32 v8, v4
	v_mov_b32_e32 v7, v4
	.p2align	6
.LBB3_9:                                ; =>This Inner Loop Header: Depth=1
	s_delay_alu instid0(VALU_DEP_3) | instskip(SKIP_1) | instid1(VALU_DEP_2)
	v_ashrrev_i32_e32 v6, 31, v5
	v_mov_b32_e32 v13, v4
	v_lshlrev_b64 v[10:11], 2, v[5:6]
	v_add_nc_u32_e32 v5, 32, v5
	s_delay_alu instid0(VALU_DEP_2) | instskip(NEXT) | instid1(VALU_DEP_3)
	v_add_co_u32 v10, vcc_lo, s6, v10
	v_add_co_ci_u32_e32 v11, vcc_lo, s7, v11, vcc_lo
	global_load_b32 v6, v[10:11], off
	v_lshlrev_b64 v[10:11], 2, v[3:4]
	v_add_nc_u32_e32 v3, 64, v3
	s_delay_alu instid0(VALU_DEP_2) | instskip(NEXT) | instid1(VALU_DEP_3)
	v_add_co_u32 v10, vcc_lo, s8, v10
	v_add_co_ci_u32_e32 v11, vcc_lo, s9, v11, vcc_lo
	s_waitcnt vmcnt(0)
	v_subrev_nc_u32_e32 v12, s18, v6
	s_delay_alu instid0(VALU_DEP_1) | instskip(NEXT) | instid1(VALU_DEP_1)
	v_lshlrev_b64 v[12:13], 2, v[12:13]
	v_add_co_u32 v12, vcc_lo, s10, v12
	s_delay_alu instid0(VALU_DEP_2)
	v_add_co_ci_u32_e32 v13, vcc_lo, s11, v13, vcc_lo
	v_cmp_ge_i32_e32 vcc_lo, v5, v9
	global_load_b64 v[10:11], v[10:11], off
	global_load_b32 v6, v[12:13], off
	s_or_b32 s5, vcc_lo, s5
	s_waitcnt vmcnt(0)
	v_fmac_f32_e32 v8, v11, v6
	v_fmac_f32_e32 v7, v10, v6
	s_and_not1_b32 exec_lo, exec_lo, s5
	s_cbranch_execnz .LBB3_9
; %bb.10:
	s_or_b32 exec_lo, exec_lo, s5
.LBB3_11:
	s_delay_alu instid0(SALU_CYCLE_1) | instskip(NEXT) | instid1(SALU_CYCLE_1)
	s_or_b32 exec_lo, exec_lo, s4
	s_and_not1_b32 vcc_lo, exec_lo, s3
	s_cbranch_vccz .LBB3_13
	s_branch .LBB3_18
.LBB3_12:
                                        ; implicit-def: $vgpr7
                                        ; implicit-def: $vgpr8
.LBB3_13:
	v_dual_mov_b32 v7, 0 :: v_dual_mov_b32 v8, 0
	s_delay_alu instid0(VALU_DEP_2)
	s_and_saveexec_b32 s3, s2
	s_cbranch_execz .LBB3_17
; %bb.14:
	v_dual_mov_b32 v5, 0 :: v_dual_lshlrev_b32 v4, 1, v2
	s_mov_b32 s2, 0
	s_delay_alu instid0(VALU_DEP_1)
	v_mov_b32_e32 v7, v5
	v_mov_b32_e32 v8, v5
	.p2align	6
.LBB3_15:                               ; =>This Inner Loop Header: Depth=1
	v_ashrrev_i32_e32 v3, 31, v2
	v_mov_b32_e32 v13, v5
	s_delay_alu instid0(VALU_DEP_2) | instskip(SKIP_1) | instid1(VALU_DEP_2)
	v_lshlrev_b64 v[10:11], 2, v[2:3]
	v_add_nc_u32_e32 v2, 32, v2
	v_add_co_u32 v10, vcc_lo, s6, v10
	s_delay_alu instid0(VALU_DEP_3) | instskip(SKIP_2) | instid1(VALU_DEP_1)
	v_add_co_ci_u32_e32 v11, vcc_lo, s7, v11, vcc_lo
	global_load_b32 v3, v[10:11], off
	v_lshlrev_b64 v[10:11], 2, v[4:5]
	v_add_co_u32 v10, vcc_lo, s8, v10
	s_delay_alu instid0(VALU_DEP_2) | instskip(SKIP_2) | instid1(VALU_DEP_1)
	v_add_co_ci_u32_e32 v11, vcc_lo, s9, v11, vcc_lo
	s_waitcnt vmcnt(0)
	v_subrev_nc_u32_e32 v12, s18, v3
	v_lshlrev_b64 v[12:13], 2, v[12:13]
	s_delay_alu instid0(VALU_DEP_1) | instskip(NEXT) | instid1(VALU_DEP_2)
	v_add_co_u32 v12, vcc_lo, s10, v12
	v_add_co_ci_u32_e32 v13, vcc_lo, s11, v13, vcc_lo
	v_cmp_ge_i32_e32 vcc_lo, v2, v9
	global_load_b64 v[10:11], v[10:11], off
	global_load_b32 v3, v[12:13], off
	v_add_nc_u32_e32 v4, 64, v4
	s_or_b32 s2, vcc_lo, s2
	s_waitcnt vmcnt(0)
	v_fmac_f32_e32 v7, v10, v3
	v_fmac_f32_e32 v8, v11, v3
	s_and_not1_b32 exec_lo, exec_lo, s2
	s_cbranch_execnz .LBB3_15
; %bb.16:
	s_or_b32 exec_lo, exec_lo, s2
.LBB3_17:
	s_delay_alu instid0(SALU_CYCLE_1)
	s_or_b32 exec_lo, exec_lo, s3
.LBB3_18:
	v_mbcnt_lo_u32_b32 v2, -1, 0
	s_mov_b32 s2, -1
	s_delay_alu instid0(VALU_DEP_1) | instskip(SKIP_1) | instid1(VALU_DEP_2)
	v_xor_b32_e32 v3, 16, v2
	v_xor_b32_e32 v5, 8, v2
	v_cmp_gt_i32_e32 vcc_lo, 32, v3
	v_cndmask_b32_e32 v3, v2, v3, vcc_lo
	s_delay_alu instid0(VALU_DEP_3) | instskip(NEXT) | instid1(VALU_DEP_2)
	v_cmp_gt_i32_e32 vcc_lo, 32, v5
	v_lshlrev_b32_e32 v3, 2, v3
	v_cndmask_b32_e32 v5, v2, v5, vcc_lo
	ds_bpermute_b32 v4, v3, v7
	s_waitcnt lgkmcnt(0)
	v_dual_add_f32 v4, v7, v4 :: v_dual_lshlrev_b32 v5, 2, v5
	v_xor_b32_e32 v7, 4, v2
	ds_bpermute_b32 v6, v5, v4
	v_cmp_gt_i32_e32 vcc_lo, 32, v7
	s_waitcnt lgkmcnt(0)
	v_add_f32_e32 v4, v4, v6
	ds_bpermute_b32 v3, v3, v8
	v_cndmask_b32_e32 v7, v2, v7, vcc_lo
	s_delay_alu instid0(VALU_DEP_1)
	v_lshlrev_b32_e32 v7, 2, v7
	s_waitcnt lgkmcnt(0)
	v_add_f32_e32 v3, v8, v3
	ds_bpermute_b32 v5, v5, v3
	s_waitcnt lgkmcnt(0)
	v_add_f32_e32 v3, v3, v5
	ds_bpermute_b32 v5, v7, v4
	ds_bpermute_b32 v6, v7, v3
	v_xor_b32_e32 v7, 2, v2
	s_delay_alu instid0(VALU_DEP_1) | instskip(SKIP_2) | instid1(VALU_DEP_1)
	v_cmp_gt_i32_e32 vcc_lo, 32, v7
	v_cndmask_b32_e32 v7, v2, v7, vcc_lo
	s_waitcnt lgkmcnt(1)
	v_dual_add_f32 v4, v4, v5 :: v_dual_lshlrev_b32 v7, 2, v7
	s_waitcnt lgkmcnt(0)
	v_add_f32_e32 v3, v3, v6
	ds_bpermute_b32 v5, v7, v4
	ds_bpermute_b32 v6, v7, v3
	v_xor_b32_e32 v7, 1, v2
	s_delay_alu instid0(VALU_DEP_1) | instskip(SKIP_3) | instid1(VALU_DEP_2)
	v_cmp_gt_i32_e32 vcc_lo, 32, v7
	v_cndmask_b32_e32 v2, v2, v7, vcc_lo
	v_cmp_eq_u32_e32 vcc_lo, 31, v0
	s_waitcnt lgkmcnt(1)
	v_dual_add_f32 v2, v4, v5 :: v_dual_lshlrev_b32 v7, 2, v2
	s_waitcnt lgkmcnt(0)
	v_add_f32_e32 v3, v3, v6
	ds_bpermute_b32 v4, v7, v2
	ds_bpermute_b32 v5, v7, v3
	s_and_b32 exec_lo, exec_lo, vcc_lo
	s_cbranch_execz .LBB3_23
; %bb.19:
	s_load_b64 s[0:1], s[0:1], 0x38
	s_waitcnt lgkmcnt(0)
	v_dual_add_f32 v0, v2, v4 :: v_dual_add_f32 v3, v3, v5
	v_cmp_eq_f32_e64 s3, s12, 0
	s_delay_alu instid0(VALU_DEP_2) | instskip(SKIP_1) | instid1(VALU_DEP_3)
	v_dual_mul_f32 v2, s16, v0 :: v_dual_mul_f32 v3, s16, v3
	v_lshlrev_b32_e32 v0, 1, v1
	s_and_b32 vcc_lo, exec_lo, s3
	s_cbranch_vccz .LBB3_21
; %bb.20:
	s_delay_alu instid0(VALU_DEP_1) | instskip(SKIP_1) | instid1(VALU_DEP_1)
	v_ashrrev_i32_e32 v1, 31, v0
	s_mov_b32 s2, 0
	v_lshlrev_b64 v[4:5], 2, v[0:1]
	s_delay_alu instid0(VALU_DEP_1) | instskip(NEXT) | instid1(VALU_DEP_2)
	v_add_co_u32 v4, vcc_lo, s0, v4
	v_add_co_ci_u32_e32 v5, vcc_lo, s1, v5, vcc_lo
	global_store_b64 v[4:5], v[2:3], off
.LBB3_21:
	s_and_not1_b32 vcc_lo, exec_lo, s2
	s_cbranch_vccnz .LBB3_23
; %bb.22:
	v_ashrrev_i32_e32 v1, 31, v0
	s_delay_alu instid0(VALU_DEP_1) | instskip(NEXT) | instid1(VALU_DEP_1)
	v_lshlrev_b64 v[0:1], 2, v[0:1]
	v_add_co_u32 v0, vcc_lo, s0, v0
	s_delay_alu instid0(VALU_DEP_2)
	v_add_co_ci_u32_e32 v1, vcc_lo, s1, v1, vcc_lo
	global_load_b64 v[4:5], v[0:1], off
	s_waitcnt vmcnt(0)
	v_dual_fmac_f32 v2, s12, v4 :: v_dual_fmac_f32 v3, s12, v5
	global_store_b64 v[0:1], v[2:3], off
.LBB3_23:
	s_nop 0
	s_sendmsg sendmsg(MSG_DEALLOC_VGPRS)
	s_endpgm
	.section	.rodata,"a",@progbits
	.p2align	6, 0x0
	.amdhsa_kernel _ZN9rocsparseL19gebsrmvn_2xn_kernelILj128ELj1ELj32EfEEvi20rocsparse_direction_NS_24const_host_device_scalarIT2_EEPKiS6_PKS3_S8_S4_PS3_21rocsparse_index_base_b
		.amdhsa_group_segment_fixed_size 0
		.amdhsa_private_segment_fixed_size 0
		.amdhsa_kernarg_size 72
		.amdhsa_user_sgpr_count 15
		.amdhsa_user_sgpr_dispatch_ptr 0
		.amdhsa_user_sgpr_queue_ptr 0
		.amdhsa_user_sgpr_kernarg_segment_ptr 1
		.amdhsa_user_sgpr_dispatch_id 0
		.amdhsa_user_sgpr_private_segment_size 0
		.amdhsa_wavefront_size32 1
		.amdhsa_uses_dynamic_stack 0
		.amdhsa_enable_private_segment 0
		.amdhsa_system_sgpr_workgroup_id_x 1
		.amdhsa_system_sgpr_workgroup_id_y 0
		.amdhsa_system_sgpr_workgroup_id_z 0
		.amdhsa_system_sgpr_workgroup_info 0
		.amdhsa_system_vgpr_workitem_id 0
		.amdhsa_next_free_vgpr 14
		.amdhsa_next_free_sgpr 20
		.amdhsa_reserve_vcc 1
		.amdhsa_float_round_mode_32 0
		.amdhsa_float_round_mode_16_64 0
		.amdhsa_float_denorm_mode_32 3
		.amdhsa_float_denorm_mode_16_64 3
		.amdhsa_dx10_clamp 1
		.amdhsa_ieee_mode 1
		.amdhsa_fp16_overflow 0
		.amdhsa_workgroup_processor_mode 1
		.amdhsa_memory_ordered 1
		.amdhsa_forward_progress 0
		.amdhsa_shared_vgpr_count 0
		.amdhsa_exception_fp_ieee_invalid_op 0
		.amdhsa_exception_fp_denorm_src 0
		.amdhsa_exception_fp_ieee_div_zero 0
		.amdhsa_exception_fp_ieee_overflow 0
		.amdhsa_exception_fp_ieee_underflow 0
		.amdhsa_exception_fp_ieee_inexact 0
		.amdhsa_exception_int_div_zero 0
	.end_amdhsa_kernel
	.section	.text._ZN9rocsparseL19gebsrmvn_2xn_kernelILj128ELj1ELj32EfEEvi20rocsparse_direction_NS_24const_host_device_scalarIT2_EEPKiS6_PKS3_S8_S4_PS3_21rocsparse_index_base_b,"axG",@progbits,_ZN9rocsparseL19gebsrmvn_2xn_kernelILj128ELj1ELj32EfEEvi20rocsparse_direction_NS_24const_host_device_scalarIT2_EEPKiS6_PKS3_S8_S4_PS3_21rocsparse_index_base_b,comdat
.Lfunc_end3:
	.size	_ZN9rocsparseL19gebsrmvn_2xn_kernelILj128ELj1ELj32EfEEvi20rocsparse_direction_NS_24const_host_device_scalarIT2_EEPKiS6_PKS3_S8_S4_PS3_21rocsparse_index_base_b, .Lfunc_end3-_ZN9rocsparseL19gebsrmvn_2xn_kernelILj128ELj1ELj32EfEEvi20rocsparse_direction_NS_24const_host_device_scalarIT2_EEPKiS6_PKS3_S8_S4_PS3_21rocsparse_index_base_b
                                        ; -- End function
	.section	.AMDGPU.csdata,"",@progbits
; Kernel info:
; codeLenInByte = 1132
; NumSgprs: 22
; NumVgprs: 14
; ScratchSize: 0
; MemoryBound: 0
; FloatMode: 240
; IeeeMode: 1
; LDSByteSize: 0 bytes/workgroup (compile time only)
; SGPRBlocks: 2
; VGPRBlocks: 1
; NumSGPRsForWavesPerEU: 22
; NumVGPRsForWavesPerEU: 14
; Occupancy: 16
; WaveLimiterHint : 1
; COMPUTE_PGM_RSRC2:SCRATCH_EN: 0
; COMPUTE_PGM_RSRC2:USER_SGPR: 15
; COMPUTE_PGM_RSRC2:TRAP_HANDLER: 0
; COMPUTE_PGM_RSRC2:TGID_X_EN: 1
; COMPUTE_PGM_RSRC2:TGID_Y_EN: 0
; COMPUTE_PGM_RSRC2:TGID_Z_EN: 0
; COMPUTE_PGM_RSRC2:TIDIG_COMP_CNT: 0
	.section	.text._ZN9rocsparseL19gebsrmvn_2xn_kernelILj128ELj1ELj64EfEEvi20rocsparse_direction_NS_24const_host_device_scalarIT2_EEPKiS6_PKS3_S8_S4_PS3_21rocsparse_index_base_b,"axG",@progbits,_ZN9rocsparseL19gebsrmvn_2xn_kernelILj128ELj1ELj64EfEEvi20rocsparse_direction_NS_24const_host_device_scalarIT2_EEPKiS6_PKS3_S8_S4_PS3_21rocsparse_index_base_b,comdat
	.globl	_ZN9rocsparseL19gebsrmvn_2xn_kernelILj128ELj1ELj64EfEEvi20rocsparse_direction_NS_24const_host_device_scalarIT2_EEPKiS6_PKS3_S8_S4_PS3_21rocsparse_index_base_b ; -- Begin function _ZN9rocsparseL19gebsrmvn_2xn_kernelILj128ELj1ELj64EfEEvi20rocsparse_direction_NS_24const_host_device_scalarIT2_EEPKiS6_PKS3_S8_S4_PS3_21rocsparse_index_base_b
	.p2align	8
	.type	_ZN9rocsparseL19gebsrmvn_2xn_kernelILj128ELj1ELj64EfEEvi20rocsparse_direction_NS_24const_host_device_scalarIT2_EEPKiS6_PKS3_S8_S4_PS3_21rocsparse_index_base_b,@function
_ZN9rocsparseL19gebsrmvn_2xn_kernelILj128ELj1ELj64EfEEvi20rocsparse_direction_NS_24const_host_device_scalarIT2_EEPKiS6_PKS3_S8_S4_PS3_21rocsparse_index_base_b: ; @_ZN9rocsparseL19gebsrmvn_2xn_kernelILj128ELj1ELj64EfEEvi20rocsparse_direction_NS_24const_host_device_scalarIT2_EEPKiS6_PKS3_S8_S4_PS3_21rocsparse_index_base_b
; %bb.0:
	s_clause 0x2
	s_load_b64 s[18:19], s[0:1], 0x40
	s_load_b64 s[16:17], s[0:1], 0x8
	;; [unrolled: 1-line block ×3, first 2 shown]
	s_waitcnt lgkmcnt(0)
	s_bitcmp1_b32 s19, 0
	s_cselect_b32 s2, -1, 0
	s_delay_alu instid0(SALU_CYCLE_1)
	s_and_b32 vcc_lo, exec_lo, s2
	s_xor_b32 s2, s2, -1
	s_cbranch_vccnz .LBB4_2
; %bb.1:
	s_load_b32 s16, s[16:17], 0x0
.LBB4_2:
	s_and_not1_b32 vcc_lo, exec_lo, s2
	s_cbranch_vccnz .LBB4_4
; %bb.3:
	s_load_b32 s12, s[12:13], 0x0
.LBB4_4:
	s_waitcnt lgkmcnt(0)
	v_cmp_eq_f32_e64 s2, s16, 0
	v_cmp_eq_f32_e64 s3, s12, 1.0
	s_delay_alu instid0(VALU_DEP_1) | instskip(NEXT) | instid1(SALU_CYCLE_1)
	s_and_b32 s2, s2, s3
	s_and_b32 vcc_lo, exec_lo, s2
	s_cbranch_vccnz .LBB4_23
; %bb.5:
	s_load_b64 s[2:3], s[0:1], 0x0
	v_lshrrev_b32_e32 v1, 6, v0
	s_delay_alu instid0(VALU_DEP_1) | instskip(SKIP_1) | instid1(VALU_DEP_1)
	v_lshl_or_b32 v1, s15, 1, v1
	s_waitcnt lgkmcnt(0)
	v_cmp_gt_i32_e32 vcc_lo, s2, v1
	s_and_saveexec_b32 s2, vcc_lo
	s_cbranch_execz .LBB4_23
; %bb.6:
	s_load_b256 s[4:11], s[0:1], 0x10
	v_ashrrev_i32_e32 v2, 31, v1
	v_and_b32_e32 v0, 63, v0
	s_cmp_lg_u32 s3, 0
	s_delay_alu instid0(VALU_DEP_2) | instskip(SKIP_1) | instid1(VALU_DEP_1)
	v_lshlrev_b64 v[2:3], 2, v[1:2]
	s_waitcnt lgkmcnt(0)
	v_add_co_u32 v2, vcc_lo, s4, v2
	s_delay_alu instid0(VALU_DEP_2) | instskip(SKIP_4) | instid1(VALU_DEP_2)
	v_add_co_ci_u32_e32 v3, vcc_lo, s5, v3, vcc_lo
	global_load_b64 v[2:3], v[2:3], off
	s_waitcnt vmcnt(0)
	v_subrev_nc_u32_e32 v2, s18, v2
	v_subrev_nc_u32_e32 v9, s18, v3
	v_add_nc_u32_e32 v2, v2, v0
	s_delay_alu instid0(VALU_DEP_1)
	v_cmp_lt_i32_e64 s2, v2, v9
	s_cbranch_scc0 .LBB4_12
; %bb.7:
	v_dual_mov_b32 v7, 0 :: v_dual_mov_b32 v8, 0
	s_mov_b32 s3, 0
	s_delay_alu instid0(VALU_DEP_2)
	s_and_saveexec_b32 s4, s2
	s_cbranch_execz .LBB4_11
; %bb.8:
	v_dual_mov_b32 v4, 0 :: v_dual_lshlrev_b32 v3, 1, v2
	v_mov_b32_e32 v5, v2
	s_mov_b32 s5, 0
	s_delay_alu instid0(VALU_DEP_2)
	v_mov_b32_e32 v8, v4
	v_mov_b32_e32 v7, v4
	s_set_inst_prefetch_distance 0x1
	.p2align	6
.LBB4_9:                                ; =>This Inner Loop Header: Depth=1
	v_ashrrev_i32_e32 v6, 31, v5
	v_mov_b32_e32 v13, v4
	s_delay_alu instid0(VALU_DEP_2) | instskip(SKIP_1) | instid1(VALU_DEP_2)
	v_lshlrev_b64 v[10:11], 2, v[5:6]
	v_add_nc_u32_e32 v5, 64, v5
	v_add_co_u32 v10, vcc_lo, s6, v10
	s_delay_alu instid0(VALU_DEP_3) | instskip(SKIP_3) | instid1(VALU_DEP_2)
	v_add_co_ci_u32_e32 v11, vcc_lo, s7, v11, vcc_lo
	global_load_b32 v6, v[10:11], off
	v_lshlrev_b64 v[10:11], 2, v[3:4]
	v_add_nc_u32_e32 v3, 0x80, v3
	v_add_co_u32 v10, vcc_lo, s8, v10
	s_delay_alu instid0(VALU_DEP_3) | instskip(SKIP_2) | instid1(VALU_DEP_1)
	v_add_co_ci_u32_e32 v11, vcc_lo, s9, v11, vcc_lo
	s_waitcnt vmcnt(0)
	v_subrev_nc_u32_e32 v12, s18, v6
	v_lshlrev_b64 v[12:13], 2, v[12:13]
	s_delay_alu instid0(VALU_DEP_1) | instskip(NEXT) | instid1(VALU_DEP_2)
	v_add_co_u32 v12, vcc_lo, s10, v12
	v_add_co_ci_u32_e32 v13, vcc_lo, s11, v13, vcc_lo
	v_cmp_ge_i32_e32 vcc_lo, v5, v9
	global_load_b64 v[10:11], v[10:11], off
	global_load_b32 v6, v[12:13], off
	s_or_b32 s5, vcc_lo, s5
	s_waitcnt vmcnt(0)
	v_fmac_f32_e32 v8, v11, v6
	v_fmac_f32_e32 v7, v10, v6
	s_and_not1_b32 exec_lo, exec_lo, s5
	s_cbranch_execnz .LBB4_9
; %bb.10:
	s_set_inst_prefetch_distance 0x2
	s_or_b32 exec_lo, exec_lo, s5
.LBB4_11:
	s_delay_alu instid0(SALU_CYCLE_1) | instskip(NEXT) | instid1(SALU_CYCLE_1)
	s_or_b32 exec_lo, exec_lo, s4
	s_and_not1_b32 vcc_lo, exec_lo, s3
	s_cbranch_vccz .LBB4_13
	s_branch .LBB4_18
.LBB4_12:
                                        ; implicit-def: $vgpr7
                                        ; implicit-def: $vgpr8
.LBB4_13:
	v_dual_mov_b32 v7, 0 :: v_dual_mov_b32 v8, 0
	s_delay_alu instid0(VALU_DEP_2)
	s_and_saveexec_b32 s3, s2
	s_cbranch_execz .LBB4_17
; %bb.14:
	v_dual_mov_b32 v5, 0 :: v_dual_lshlrev_b32 v4, 1, v2
	s_mov_b32 s2, 0
	s_delay_alu instid0(VALU_DEP_1)
	v_mov_b32_e32 v7, v5
	v_mov_b32_e32 v8, v5
	s_set_inst_prefetch_distance 0x1
	.p2align	6
.LBB4_15:                               ; =>This Inner Loop Header: Depth=1
	v_ashrrev_i32_e32 v3, 31, v2
	v_mov_b32_e32 v13, v5
	s_delay_alu instid0(VALU_DEP_2) | instskip(SKIP_1) | instid1(VALU_DEP_2)
	v_lshlrev_b64 v[10:11], 2, v[2:3]
	v_add_nc_u32_e32 v2, 64, v2
	v_add_co_u32 v10, vcc_lo, s6, v10
	s_delay_alu instid0(VALU_DEP_3) | instskip(SKIP_2) | instid1(VALU_DEP_1)
	v_add_co_ci_u32_e32 v11, vcc_lo, s7, v11, vcc_lo
	global_load_b32 v3, v[10:11], off
	v_lshlrev_b64 v[10:11], 2, v[4:5]
	v_add_co_u32 v10, vcc_lo, s8, v10
	s_delay_alu instid0(VALU_DEP_2) | instskip(SKIP_2) | instid1(VALU_DEP_1)
	v_add_co_ci_u32_e32 v11, vcc_lo, s9, v11, vcc_lo
	s_waitcnt vmcnt(0)
	v_subrev_nc_u32_e32 v12, s18, v3
	v_lshlrev_b64 v[12:13], 2, v[12:13]
	s_delay_alu instid0(VALU_DEP_1) | instskip(NEXT) | instid1(VALU_DEP_2)
	v_add_co_u32 v12, vcc_lo, s10, v12
	v_add_co_ci_u32_e32 v13, vcc_lo, s11, v13, vcc_lo
	v_cmp_ge_i32_e32 vcc_lo, v2, v9
	global_load_b64 v[10:11], v[10:11], off
	global_load_b32 v3, v[12:13], off
	v_add_nc_u32_e32 v4, 0x80, v4
	s_or_b32 s2, vcc_lo, s2
	s_waitcnt vmcnt(0)
	v_fmac_f32_e32 v7, v10, v3
	v_fmac_f32_e32 v8, v11, v3
	s_and_not1_b32 exec_lo, exec_lo, s2
	s_cbranch_execnz .LBB4_15
; %bb.16:
	s_set_inst_prefetch_distance 0x2
	s_or_b32 exec_lo, exec_lo, s2
.LBB4_17:
	s_delay_alu instid0(SALU_CYCLE_1)
	s_or_b32 exec_lo, exec_lo, s3
.LBB4_18:
	v_mbcnt_lo_u32_b32 v2, -1, 0
	s_mov_b32 s2, -1
	s_delay_alu instid0(VALU_DEP_1) | instskip(SKIP_1) | instid1(VALU_DEP_2)
	v_or_b32_e32 v3, 32, v2
	v_xor_b32_e32 v5, 16, v2
	v_cmp_gt_i32_e32 vcc_lo, 32, v3
	v_cndmask_b32_e32 v3, v2, v3, vcc_lo
	s_delay_alu instid0(VALU_DEP_3) | instskip(NEXT) | instid1(VALU_DEP_2)
	v_cmp_gt_i32_e32 vcc_lo, 32, v5
	v_lshlrev_b32_e32 v3, 2, v3
	v_cndmask_b32_e32 v5, v2, v5, vcc_lo
	ds_bpermute_b32 v4, v3, v7
	s_waitcnt lgkmcnt(0)
	v_dual_add_f32 v4, v7, v4 :: v_dual_lshlrev_b32 v5, 2, v5
	v_xor_b32_e32 v7, 8, v2
	ds_bpermute_b32 v6, v5, v4
	v_cmp_gt_i32_e32 vcc_lo, 32, v7
	s_waitcnt lgkmcnt(0)
	v_add_f32_e32 v4, v4, v6
	ds_bpermute_b32 v3, v3, v8
	v_cndmask_b32_e32 v7, v2, v7, vcc_lo
	s_delay_alu instid0(VALU_DEP_1)
	v_lshlrev_b32_e32 v7, 2, v7
	s_waitcnt lgkmcnt(0)
	v_add_f32_e32 v3, v8, v3
	ds_bpermute_b32 v5, v5, v3
	s_waitcnt lgkmcnt(0)
	v_add_f32_e32 v3, v3, v5
	ds_bpermute_b32 v5, v7, v4
	ds_bpermute_b32 v6, v7, v3
	v_xor_b32_e32 v7, 4, v2
	s_delay_alu instid0(VALU_DEP_1) | instskip(SKIP_2) | instid1(VALU_DEP_1)
	v_cmp_gt_i32_e32 vcc_lo, 32, v7
	v_cndmask_b32_e32 v7, v2, v7, vcc_lo
	s_waitcnt lgkmcnt(1)
	v_dual_add_f32 v4, v4, v5 :: v_dual_lshlrev_b32 v7, 2, v7
	s_waitcnt lgkmcnt(0)
	v_add_f32_e32 v3, v3, v6
	ds_bpermute_b32 v5, v7, v4
	ds_bpermute_b32 v6, v7, v3
	v_xor_b32_e32 v7, 2, v2
	s_delay_alu instid0(VALU_DEP_1) | instskip(SKIP_2) | instid1(VALU_DEP_1)
	v_cmp_gt_i32_e32 vcc_lo, 32, v7
	v_cndmask_b32_e32 v7, v2, v7, vcc_lo
	s_waitcnt lgkmcnt(1)
	v_dual_add_f32 v4, v4, v5 :: v_dual_lshlrev_b32 v7, 2, v7
	s_waitcnt lgkmcnt(0)
	v_add_f32_e32 v3, v3, v6
	ds_bpermute_b32 v5, v7, v4
	ds_bpermute_b32 v6, v7, v3
	v_xor_b32_e32 v7, 1, v2
	s_delay_alu instid0(VALU_DEP_1) | instskip(SKIP_3) | instid1(VALU_DEP_2)
	v_cmp_gt_i32_e32 vcc_lo, 32, v7
	v_cndmask_b32_e32 v2, v2, v7, vcc_lo
	v_cmp_eq_u32_e32 vcc_lo, 63, v0
	s_waitcnt lgkmcnt(1)
	v_dual_add_f32 v2, v4, v5 :: v_dual_lshlrev_b32 v7, 2, v2
	s_waitcnt lgkmcnt(0)
	v_add_f32_e32 v3, v3, v6
	ds_bpermute_b32 v4, v7, v2
	ds_bpermute_b32 v5, v7, v3
	s_and_b32 exec_lo, exec_lo, vcc_lo
	s_cbranch_execz .LBB4_23
; %bb.19:
	s_load_b64 s[0:1], s[0:1], 0x38
	s_waitcnt lgkmcnt(0)
	v_dual_add_f32 v0, v2, v4 :: v_dual_add_f32 v3, v3, v5
	v_cmp_eq_f32_e64 s3, s12, 0
	s_delay_alu instid0(VALU_DEP_2) | instskip(SKIP_1) | instid1(VALU_DEP_3)
	v_dual_mul_f32 v2, s16, v0 :: v_dual_mul_f32 v3, s16, v3
	v_lshlrev_b32_e32 v0, 1, v1
	s_and_b32 vcc_lo, exec_lo, s3
	s_cbranch_vccz .LBB4_21
; %bb.20:
	s_delay_alu instid0(VALU_DEP_1) | instskip(SKIP_1) | instid1(VALU_DEP_1)
	v_ashrrev_i32_e32 v1, 31, v0
	s_mov_b32 s2, 0
	v_lshlrev_b64 v[4:5], 2, v[0:1]
	s_delay_alu instid0(VALU_DEP_1) | instskip(NEXT) | instid1(VALU_DEP_2)
	v_add_co_u32 v4, vcc_lo, s0, v4
	v_add_co_ci_u32_e32 v5, vcc_lo, s1, v5, vcc_lo
	global_store_b64 v[4:5], v[2:3], off
.LBB4_21:
	s_and_not1_b32 vcc_lo, exec_lo, s2
	s_cbranch_vccnz .LBB4_23
; %bb.22:
	v_ashrrev_i32_e32 v1, 31, v0
	s_delay_alu instid0(VALU_DEP_1) | instskip(NEXT) | instid1(VALU_DEP_1)
	v_lshlrev_b64 v[0:1], 2, v[0:1]
	v_add_co_u32 v0, vcc_lo, s0, v0
	s_delay_alu instid0(VALU_DEP_2)
	v_add_co_ci_u32_e32 v1, vcc_lo, s1, v1, vcc_lo
	global_load_b64 v[4:5], v[0:1], off
	s_waitcnt vmcnt(0)
	v_dual_fmac_f32 v2, s12, v4 :: v_dual_fmac_f32 v3, s12, v5
	global_store_b64 v[0:1], v[2:3], off
.LBB4_23:
	s_nop 0
	s_sendmsg sendmsg(MSG_DEALLOC_VGPRS)
	s_endpgm
	.section	.rodata,"a",@progbits
	.p2align	6, 0x0
	.amdhsa_kernel _ZN9rocsparseL19gebsrmvn_2xn_kernelILj128ELj1ELj64EfEEvi20rocsparse_direction_NS_24const_host_device_scalarIT2_EEPKiS6_PKS3_S8_S4_PS3_21rocsparse_index_base_b
		.amdhsa_group_segment_fixed_size 0
		.amdhsa_private_segment_fixed_size 0
		.amdhsa_kernarg_size 72
		.amdhsa_user_sgpr_count 15
		.amdhsa_user_sgpr_dispatch_ptr 0
		.amdhsa_user_sgpr_queue_ptr 0
		.amdhsa_user_sgpr_kernarg_segment_ptr 1
		.amdhsa_user_sgpr_dispatch_id 0
		.amdhsa_user_sgpr_private_segment_size 0
		.amdhsa_wavefront_size32 1
		.amdhsa_uses_dynamic_stack 0
		.amdhsa_enable_private_segment 0
		.amdhsa_system_sgpr_workgroup_id_x 1
		.amdhsa_system_sgpr_workgroup_id_y 0
		.amdhsa_system_sgpr_workgroup_id_z 0
		.amdhsa_system_sgpr_workgroup_info 0
		.amdhsa_system_vgpr_workitem_id 0
		.amdhsa_next_free_vgpr 14
		.amdhsa_next_free_sgpr 20
		.amdhsa_reserve_vcc 1
		.amdhsa_float_round_mode_32 0
		.amdhsa_float_round_mode_16_64 0
		.amdhsa_float_denorm_mode_32 3
		.amdhsa_float_denorm_mode_16_64 3
		.amdhsa_dx10_clamp 1
		.amdhsa_ieee_mode 1
		.amdhsa_fp16_overflow 0
		.amdhsa_workgroup_processor_mode 1
		.amdhsa_memory_ordered 1
		.amdhsa_forward_progress 0
		.amdhsa_shared_vgpr_count 0
		.amdhsa_exception_fp_ieee_invalid_op 0
		.amdhsa_exception_fp_denorm_src 0
		.amdhsa_exception_fp_ieee_div_zero 0
		.amdhsa_exception_fp_ieee_overflow 0
		.amdhsa_exception_fp_ieee_underflow 0
		.amdhsa_exception_fp_ieee_inexact 0
		.amdhsa_exception_int_div_zero 0
	.end_amdhsa_kernel
	.section	.text._ZN9rocsparseL19gebsrmvn_2xn_kernelILj128ELj1ELj64EfEEvi20rocsparse_direction_NS_24const_host_device_scalarIT2_EEPKiS6_PKS3_S8_S4_PS3_21rocsparse_index_base_b,"axG",@progbits,_ZN9rocsparseL19gebsrmvn_2xn_kernelILj128ELj1ELj64EfEEvi20rocsparse_direction_NS_24const_host_device_scalarIT2_EEPKiS6_PKS3_S8_S4_PS3_21rocsparse_index_base_b,comdat
.Lfunc_end4:
	.size	_ZN9rocsparseL19gebsrmvn_2xn_kernelILj128ELj1ELj64EfEEvi20rocsparse_direction_NS_24const_host_device_scalarIT2_EEPKiS6_PKS3_S8_S4_PS3_21rocsparse_index_base_b, .Lfunc_end4-_ZN9rocsparseL19gebsrmvn_2xn_kernelILj128ELj1ELj64EfEEvi20rocsparse_direction_NS_24const_host_device_scalarIT2_EEPKiS6_PKS3_S8_S4_PS3_21rocsparse_index_base_b
                                        ; -- End function
	.section	.AMDGPU.csdata,"",@progbits
; Kernel info:
; codeLenInByte = 1204
; NumSgprs: 22
; NumVgprs: 14
; ScratchSize: 0
; MemoryBound: 0
; FloatMode: 240
; IeeeMode: 1
; LDSByteSize: 0 bytes/workgroup (compile time only)
; SGPRBlocks: 2
; VGPRBlocks: 1
; NumSGPRsForWavesPerEU: 22
; NumVGPRsForWavesPerEU: 14
; Occupancy: 16
; WaveLimiterHint : 1
; COMPUTE_PGM_RSRC2:SCRATCH_EN: 0
; COMPUTE_PGM_RSRC2:USER_SGPR: 15
; COMPUTE_PGM_RSRC2:TRAP_HANDLER: 0
; COMPUTE_PGM_RSRC2:TGID_X_EN: 1
; COMPUTE_PGM_RSRC2:TGID_Y_EN: 0
; COMPUTE_PGM_RSRC2:TGID_Z_EN: 0
; COMPUTE_PGM_RSRC2:TIDIG_COMP_CNT: 0
	.section	.text._ZN9rocsparseL19gebsrmvn_2xn_kernelILj128ELj3ELj4EfEEvi20rocsparse_direction_NS_24const_host_device_scalarIT2_EEPKiS6_PKS3_S8_S4_PS3_21rocsparse_index_base_b,"axG",@progbits,_ZN9rocsparseL19gebsrmvn_2xn_kernelILj128ELj3ELj4EfEEvi20rocsparse_direction_NS_24const_host_device_scalarIT2_EEPKiS6_PKS3_S8_S4_PS3_21rocsparse_index_base_b,comdat
	.globl	_ZN9rocsparseL19gebsrmvn_2xn_kernelILj128ELj3ELj4EfEEvi20rocsparse_direction_NS_24const_host_device_scalarIT2_EEPKiS6_PKS3_S8_S4_PS3_21rocsparse_index_base_b ; -- Begin function _ZN9rocsparseL19gebsrmvn_2xn_kernelILj128ELj3ELj4EfEEvi20rocsparse_direction_NS_24const_host_device_scalarIT2_EEPKiS6_PKS3_S8_S4_PS3_21rocsparse_index_base_b
	.p2align	8
	.type	_ZN9rocsparseL19gebsrmvn_2xn_kernelILj128ELj3ELj4EfEEvi20rocsparse_direction_NS_24const_host_device_scalarIT2_EEPKiS6_PKS3_S8_S4_PS3_21rocsparse_index_base_b,@function
_ZN9rocsparseL19gebsrmvn_2xn_kernelILj128ELj3ELj4EfEEvi20rocsparse_direction_NS_24const_host_device_scalarIT2_EEPKiS6_PKS3_S8_S4_PS3_21rocsparse_index_base_b: ; @_ZN9rocsparseL19gebsrmvn_2xn_kernelILj128ELj3ELj4EfEEvi20rocsparse_direction_NS_24const_host_device_scalarIT2_EEPKiS6_PKS3_S8_S4_PS3_21rocsparse_index_base_b
; %bb.0:
	s_clause 0x2
	s_load_b64 s[18:19], s[0:1], 0x40
	s_load_b64 s[16:17], s[0:1], 0x8
	;; [unrolled: 1-line block ×3, first 2 shown]
	s_waitcnt lgkmcnt(0)
	s_bitcmp1_b32 s19, 0
	s_cselect_b32 s2, -1, 0
	s_delay_alu instid0(SALU_CYCLE_1)
	s_and_b32 vcc_lo, exec_lo, s2
	s_xor_b32 s2, s2, -1
	s_cbranch_vccnz .LBB5_2
; %bb.1:
	s_load_b32 s16, s[16:17], 0x0
.LBB5_2:
	s_and_not1_b32 vcc_lo, exec_lo, s2
	s_cbranch_vccnz .LBB5_4
; %bb.3:
	s_load_b32 s12, s[12:13], 0x0
.LBB5_4:
	s_waitcnt lgkmcnt(0)
	v_cmp_eq_f32_e64 s2, s16, 0
	v_cmp_eq_f32_e64 s3, s12, 1.0
	s_delay_alu instid0(VALU_DEP_1) | instskip(NEXT) | instid1(SALU_CYCLE_1)
	s_and_b32 s2, s2, s3
	s_and_b32 vcc_lo, exec_lo, s2
	s_cbranch_vccnz .LBB5_23
; %bb.5:
	s_load_b64 s[2:3], s[0:1], 0x0
	v_lshrrev_b32_e32 v1, 2, v0
	s_delay_alu instid0(VALU_DEP_1) | instskip(SKIP_1) | instid1(VALU_DEP_1)
	v_lshl_or_b32 v1, s15, 5, v1
	s_waitcnt lgkmcnt(0)
	v_cmp_gt_i32_e32 vcc_lo, s2, v1
	s_and_saveexec_b32 s2, vcc_lo
	s_cbranch_execz .LBB5_23
; %bb.6:
	s_load_b256 s[4:11], s[0:1], 0x10
	v_ashrrev_i32_e32 v2, 31, v1
	v_and_b32_e32 v0, 3, v0
	s_cmp_lg_u32 s3, 0
	s_delay_alu instid0(VALU_DEP_2) | instskip(SKIP_1) | instid1(VALU_DEP_1)
	v_lshlrev_b64 v[2:3], 2, v[1:2]
	s_waitcnt lgkmcnt(0)
	v_add_co_u32 v2, vcc_lo, s4, v2
	s_delay_alu instid0(VALU_DEP_2) | instskip(SKIP_4) | instid1(VALU_DEP_2)
	v_add_co_ci_u32_e32 v3, vcc_lo, s5, v3, vcc_lo
	global_load_b64 v[2:3], v[2:3], off
	s_waitcnt vmcnt(0)
	v_subrev_nc_u32_e32 v2, s18, v2
	v_subrev_nc_u32_e32 v9, s18, v3
	v_add_nc_u32_e32 v2, v2, v0
	s_delay_alu instid0(VALU_DEP_1)
	v_cmp_lt_i32_e64 s2, v2, v9
	s_cbranch_scc0 .LBB5_12
; %bb.7:
	v_mov_b32_e32 v8, 0
	v_mov_b32_e32 v10, 0
	s_mov_b32 s3, 0
	s_and_saveexec_b32 s4, s2
	s_cbranch_execz .LBB5_11
; %bb.8:
	v_dual_mov_b32 v4, 0 :: v_dual_mov_b32 v5, v2
	v_mul_lo_u32 v3, v2, 6
	s_mov_b32 s5, 0
	s_delay_alu instid0(VALU_DEP_2)
	v_mov_b32_e32 v8, v4
	v_mov_b32_e32 v10, v4
.LBB5_9:                                ; =>This Inner Loop Header: Depth=1
	v_ashrrev_i32_e32 v6, 31, v5
	s_delay_alu instid0(VALU_DEP_4) | instskip(SKIP_1) | instid1(VALU_DEP_3)
	v_dual_mov_b32 v12, v4 :: v_dual_add_nc_u32 v11, 2, v3
	v_dual_mov_b32 v14, v4 :: v_dual_add_nc_u32 v13, 4, v3
	v_lshlrev_b64 v[6:7], 2, v[5:6]
	v_add_nc_u32_e32 v5, 4, v5
	s_delay_alu instid0(VALU_DEP_4) | instskip(NEXT) | instid1(VALU_DEP_4)
	v_lshlrev_b64 v[11:12], 2, v[11:12]
	v_lshlrev_b64 v[13:14], 2, v[13:14]
	s_delay_alu instid0(VALU_DEP_4) | instskip(SKIP_4) | instid1(VALU_DEP_2)
	v_add_co_u32 v6, vcc_lo, s6, v6
	v_add_co_ci_u32_e32 v7, vcc_lo, s7, v7, vcc_lo
	global_load_b32 v16, v[6:7], off
	v_lshlrev_b64 v[6:7], 2, v[3:4]
	v_add_nc_u32_e32 v3, 24, v3
	v_add_co_u32 v6, vcc_lo, s8, v6
	s_delay_alu instid0(VALU_DEP_3)
	v_add_co_ci_u32_e32 v7, vcc_lo, s9, v7, vcc_lo
	v_add_co_u32 v11, vcc_lo, s8, v11
	v_add_co_ci_u32_e32 v12, vcc_lo, s9, v12, vcc_lo
	v_add_co_u32 v20, vcc_lo, s8, v13
	v_add_co_ci_u32_e32 v21, vcc_lo, s9, v14, vcc_lo
	s_clause 0x1
	global_load_b64 v[6:7], v[6:7], off
	global_load_b64 v[11:12], v[11:12], off
	v_mov_b32_e32 v19, v4
	s_waitcnt vmcnt(2)
	v_subrev_nc_u32_e32 v13, s18, v16
	s_delay_alu instid0(VALU_DEP_1) | instskip(SKIP_1) | instid1(VALU_DEP_2)
	v_lshl_add_u32 v14, v13, 1, v13
	v_mov_b32_e32 v15, v4
	v_dual_mov_b32 v17, v4 :: v_dual_add_nc_u32 v18, 2, v14
	v_add_nc_u32_e32 v16, 1, v14
	s_delay_alu instid0(VALU_DEP_3) | instskip(NEXT) | instid1(VALU_DEP_2)
	v_lshlrev_b64 v[13:14], 2, v[14:15]
	v_lshlrev_b64 v[15:16], 2, v[16:17]
	s_delay_alu instid0(VALU_DEP_4) | instskip(NEXT) | instid1(VALU_DEP_3)
	v_lshlrev_b64 v[17:18], 2, v[18:19]
	v_add_co_u32 v13, vcc_lo, s10, v13
	s_delay_alu instid0(VALU_DEP_4)
	v_add_co_ci_u32_e32 v14, vcc_lo, s11, v14, vcc_lo
	global_load_b32 v19, v[13:14], off
	v_add_co_u32 v13, vcc_lo, s10, v15
	v_add_co_ci_u32_e32 v14, vcc_lo, s11, v16, vcc_lo
	v_add_co_u32 v15, vcc_lo, s10, v17
	v_add_co_ci_u32_e32 v16, vcc_lo, s11, v18, vcc_lo
	global_load_b32 v17, v[13:14], off
	global_load_b64 v[13:14], v[20:21], off
	global_load_b32 v15, v[15:16], off
	v_cmp_ge_i32_e32 vcc_lo, v5, v9
	s_or_b32 s5, vcc_lo, s5
	s_waitcnt vmcnt(3)
	v_fmac_f32_e32 v8, v6, v19
	v_fmac_f32_e32 v10, v7, v19
	s_waitcnt vmcnt(2)
	s_delay_alu instid0(VALU_DEP_2) | instskip(NEXT) | instid1(VALU_DEP_2)
	v_fmac_f32_e32 v8, v11, v17
	v_fmac_f32_e32 v10, v12, v17
	s_waitcnt vmcnt(0)
	s_delay_alu instid0(VALU_DEP_2) | instskip(NEXT) | instid1(VALU_DEP_2)
	v_fmac_f32_e32 v8, v13, v15
	v_fmac_f32_e32 v10, v14, v15
	s_and_not1_b32 exec_lo, exec_lo, s5
	s_cbranch_execnz .LBB5_9
; %bb.10:
	s_or_b32 exec_lo, exec_lo, s5
.LBB5_11:
	s_delay_alu instid0(SALU_CYCLE_1) | instskip(NEXT) | instid1(SALU_CYCLE_1)
	s_or_b32 exec_lo, exec_lo, s4
	s_and_not1_b32 vcc_lo, exec_lo, s3
	s_cbranch_vccz .LBB5_13
	s_branch .LBB5_18
.LBB5_12:
                                        ; implicit-def: $vgpr8
                                        ; implicit-def: $vgpr10
.LBB5_13:
	v_mov_b32_e32 v8, 0
	v_mov_b32_e32 v10, 0
	s_delay_alu instid0(VALU_DEP_3)
	s_and_saveexec_b32 s3, s2
	s_cbranch_execz .LBB5_17
; %bb.14:
	v_mad_u64_u32 v[4:5], null, v2, 6, 5
	v_dual_mov_b32 v7, 0 :: v_dual_mov_b32 v8, 0
	v_mov_b32_e32 v10, 0
	s_mov_b32 s2, 0
.LBB5_15:                               ; =>This Inner Loop Header: Depth=1
	v_ashrrev_i32_e32 v3, 31, v2
	s_delay_alu instid0(VALU_DEP_3) | instskip(SKIP_1) | instid1(VALU_DEP_3)
	v_dual_mov_b32 v12, v7 :: v_dual_add_nc_u32 v11, -2, v4
	v_mov_b32_e32 v13, v7
	v_lshlrev_b64 v[5:6], 2, v[2:3]
	v_add_nc_u32_e32 v2, 4, v2
	s_delay_alu instid0(VALU_DEP_4) | instskip(NEXT) | instid1(VALU_DEP_3)
	v_lshlrev_b64 v[11:12], 2, v[11:12]
	v_add_co_u32 v5, vcc_lo, s6, v5
	s_delay_alu instid0(VALU_DEP_4) | instskip(SKIP_2) | instid1(VALU_DEP_1)
	v_add_co_ci_u32_e32 v6, vcc_lo, s7, v6, vcc_lo
	global_load_b32 v3, v[5:6], off
	v_add_nc_u32_e32 v6, -5, v4
	v_lshlrev_b64 v[14:15], 2, v[6:7]
	s_delay_alu instid0(VALU_DEP_1) | instskip(NEXT) | instid1(VALU_DEP_2)
	v_add_co_u32 v14, vcc_lo, s8, v14
	v_add_co_ci_u32_e32 v15, vcc_lo, s9, v15, vcc_lo
	v_add_co_u32 v11, vcc_lo, s8, v11
	v_add_co_ci_u32_e32 v12, vcc_lo, s9, v12, vcc_lo
	s_clause 0x1
	global_load_b64 v[14:15], v[14:15], off
	global_load_b32 v24, v[11:12], off
	s_waitcnt vmcnt(2)
	v_subrev_nc_u32_e32 v3, s18, v3
	s_delay_alu instid0(VALU_DEP_1) | instskip(SKIP_1) | instid1(VALU_DEP_2)
	v_lshl_add_u32 v12, v3, 1, v3
	v_mov_b32_e32 v5, v7
	v_lshlrev_b64 v[18:19], 2, v[12:13]
	s_delay_alu instid0(VALU_DEP_2) | instskip(NEXT) | instid1(VALU_DEP_1)
	v_lshlrev_b64 v[5:6], 2, v[4:5]
	v_add_co_u32 v16, vcc_lo, s8, v5
	s_delay_alu instid0(VALU_DEP_2) | instskip(SKIP_3) | instid1(VALU_DEP_3)
	v_add_co_ci_u32_e32 v17, vcc_lo, s9, v6, vcc_lo
	v_add_nc_u32_e32 v6, 1, v12
	v_add_co_u32 v18, vcc_lo, s10, v18
	v_add_co_ci_u32_e32 v19, vcc_lo, s11, v19, vcc_lo
	v_lshlrev_b64 v[20:21], 2, v[6:7]
	v_add_nc_u32_e32 v6, -1, v4
	global_load_b32 v3, v[18:19], off
	v_lshlrev_b64 v[22:23], 2, v[6:7]
	v_add_nc_u32_e32 v6, -3, v4
	v_add_co_u32 v18, vcc_lo, s10, v20
	v_add_co_ci_u32_e32 v19, vcc_lo, s11, v21, vcc_lo
	s_delay_alu instid0(VALU_DEP_3) | instskip(SKIP_3) | instid1(VALU_DEP_3)
	v_lshlrev_b64 v[20:21], 2, v[6:7]
	v_add_nc_u32_e32 v6, 2, v12
	v_add_co_u32 v11, vcc_lo, s8, v22
	v_add_co_ci_u32_e32 v12, vcc_lo, s9, v23, vcc_lo
	v_lshlrev_b64 v[5:6], 2, v[6:7]
	global_load_b32 v13, v[18:19], off
	v_add_nc_u32_e32 v4, 24, v4
	global_load_b32 v18, v[11:12], off
	v_add_co_u32 v11, vcc_lo, s8, v20
	v_add_co_ci_u32_e32 v12, vcc_lo, s9, v21, vcc_lo
	v_add_co_u32 v5, vcc_lo, s10, v5
	v_add_co_ci_u32_e32 v6, vcc_lo, s11, v6, vcc_lo
	s_clause 0x1
	global_load_b32 v16, v[16:17], off
	global_load_b32 v11, v[11:12], off
	global_load_b32 v5, v[5:6], off
	v_cmp_ge_i32_e32 vcc_lo, v2, v9
	s_or_b32 s2, vcc_lo, s2
	s_waitcnt vmcnt(5)
	v_fmac_f32_e32 v8, v14, v3
	v_fmac_f32_e32 v10, v24, v3
	s_waitcnt vmcnt(4)
	s_delay_alu instid0(VALU_DEP_2) | instskip(SKIP_1) | instid1(VALU_DEP_2)
	v_fmac_f32_e32 v8, v15, v13
	s_waitcnt vmcnt(3)
	v_fmac_f32_e32 v10, v18, v13
	s_waitcnt vmcnt(0)
	s_delay_alu instid0(VALU_DEP_2) | instskip(NEXT) | instid1(VALU_DEP_2)
	v_fmac_f32_e32 v8, v11, v5
	v_fmac_f32_e32 v10, v16, v5
	s_and_not1_b32 exec_lo, exec_lo, s2
	s_cbranch_execnz .LBB5_15
; %bb.16:
	s_or_b32 exec_lo, exec_lo, s2
.LBB5_17:
	s_delay_alu instid0(SALU_CYCLE_1)
	s_or_b32 exec_lo, exec_lo, s3
.LBB5_18:
	v_mbcnt_lo_u32_b32 v2, -1, 0
	s_mov_b32 s2, -1
	s_delay_alu instid0(VALU_DEP_1) | instskip(SKIP_1) | instid1(VALU_DEP_2)
	v_xor_b32_e32 v3, 2, v2
	v_xor_b32_e32 v5, 1, v2
	v_cmp_gt_i32_e32 vcc_lo, 32, v3
	v_cndmask_b32_e32 v3, v2, v3, vcc_lo
	s_delay_alu instid0(VALU_DEP_3) | instskip(NEXT) | instid1(VALU_DEP_2)
	v_cmp_gt_i32_e32 vcc_lo, 32, v5
	v_dual_cndmask_b32 v2, v2, v5 :: v_dual_lshlrev_b32 v3, 2, v3
	v_cmp_eq_u32_e32 vcc_lo, 3, v0
	ds_bpermute_b32 v4, v3, v8
	ds_bpermute_b32 v3, v3, v10
	s_waitcnt lgkmcnt(1)
	v_dual_add_f32 v2, v8, v4 :: v_dual_lshlrev_b32 v5, 2, v2
	s_waitcnt lgkmcnt(0)
	v_add_f32_e32 v3, v10, v3
	ds_bpermute_b32 v4, v5, v2
	ds_bpermute_b32 v5, v5, v3
	s_and_b32 exec_lo, exec_lo, vcc_lo
	s_cbranch_execz .LBB5_23
; %bb.19:
	s_load_b64 s[0:1], s[0:1], 0x38
	s_waitcnt lgkmcnt(0)
	v_dual_add_f32 v0, v2, v4 :: v_dual_add_f32 v3, v3, v5
	v_cmp_eq_f32_e64 s3, s12, 0
	s_delay_alu instid0(VALU_DEP_2) | instskip(SKIP_1) | instid1(VALU_DEP_3)
	v_dual_mul_f32 v2, s16, v0 :: v_dual_mul_f32 v3, s16, v3
	v_lshlrev_b32_e32 v0, 1, v1
	s_and_b32 vcc_lo, exec_lo, s3
	s_cbranch_vccz .LBB5_21
; %bb.20:
	s_delay_alu instid0(VALU_DEP_1) | instskip(SKIP_1) | instid1(VALU_DEP_1)
	v_ashrrev_i32_e32 v1, 31, v0
	s_mov_b32 s2, 0
	v_lshlrev_b64 v[4:5], 2, v[0:1]
	s_delay_alu instid0(VALU_DEP_1) | instskip(NEXT) | instid1(VALU_DEP_2)
	v_add_co_u32 v4, vcc_lo, s0, v4
	v_add_co_ci_u32_e32 v5, vcc_lo, s1, v5, vcc_lo
	global_store_b64 v[4:5], v[2:3], off
.LBB5_21:
	s_and_not1_b32 vcc_lo, exec_lo, s2
	s_cbranch_vccnz .LBB5_23
; %bb.22:
	v_ashrrev_i32_e32 v1, 31, v0
	s_delay_alu instid0(VALU_DEP_1) | instskip(NEXT) | instid1(VALU_DEP_1)
	v_lshlrev_b64 v[0:1], 2, v[0:1]
	v_add_co_u32 v0, vcc_lo, s0, v0
	s_delay_alu instid0(VALU_DEP_2)
	v_add_co_ci_u32_e32 v1, vcc_lo, s1, v1, vcc_lo
	global_load_b64 v[4:5], v[0:1], off
	s_waitcnt vmcnt(0)
	v_dual_fmac_f32 v2, s12, v4 :: v_dual_fmac_f32 v3, s12, v5
	global_store_b64 v[0:1], v[2:3], off
.LBB5_23:
	s_nop 0
	s_sendmsg sendmsg(MSG_DEALLOC_VGPRS)
	s_endpgm
	.section	.rodata,"a",@progbits
	.p2align	6, 0x0
	.amdhsa_kernel _ZN9rocsparseL19gebsrmvn_2xn_kernelILj128ELj3ELj4EfEEvi20rocsparse_direction_NS_24const_host_device_scalarIT2_EEPKiS6_PKS3_S8_S4_PS3_21rocsparse_index_base_b
		.amdhsa_group_segment_fixed_size 0
		.amdhsa_private_segment_fixed_size 0
		.amdhsa_kernarg_size 72
		.amdhsa_user_sgpr_count 15
		.amdhsa_user_sgpr_dispatch_ptr 0
		.amdhsa_user_sgpr_queue_ptr 0
		.amdhsa_user_sgpr_kernarg_segment_ptr 1
		.amdhsa_user_sgpr_dispatch_id 0
		.amdhsa_user_sgpr_private_segment_size 0
		.amdhsa_wavefront_size32 1
		.amdhsa_uses_dynamic_stack 0
		.amdhsa_enable_private_segment 0
		.amdhsa_system_sgpr_workgroup_id_x 1
		.amdhsa_system_sgpr_workgroup_id_y 0
		.amdhsa_system_sgpr_workgroup_id_z 0
		.amdhsa_system_sgpr_workgroup_info 0
		.amdhsa_system_vgpr_workitem_id 0
		.amdhsa_next_free_vgpr 25
		.amdhsa_next_free_sgpr 20
		.amdhsa_reserve_vcc 1
		.amdhsa_float_round_mode_32 0
		.amdhsa_float_round_mode_16_64 0
		.amdhsa_float_denorm_mode_32 3
		.amdhsa_float_denorm_mode_16_64 3
		.amdhsa_dx10_clamp 1
		.amdhsa_ieee_mode 1
		.amdhsa_fp16_overflow 0
		.amdhsa_workgroup_processor_mode 1
		.amdhsa_memory_ordered 1
		.amdhsa_forward_progress 0
		.amdhsa_shared_vgpr_count 0
		.amdhsa_exception_fp_ieee_invalid_op 0
		.amdhsa_exception_fp_denorm_src 0
		.amdhsa_exception_fp_ieee_div_zero 0
		.amdhsa_exception_fp_ieee_overflow 0
		.amdhsa_exception_fp_ieee_underflow 0
		.amdhsa_exception_fp_ieee_inexact 0
		.amdhsa_exception_int_div_zero 0
	.end_amdhsa_kernel
	.section	.text._ZN9rocsparseL19gebsrmvn_2xn_kernelILj128ELj3ELj4EfEEvi20rocsparse_direction_NS_24const_host_device_scalarIT2_EEPKiS6_PKS3_S8_S4_PS3_21rocsparse_index_base_b,"axG",@progbits,_ZN9rocsparseL19gebsrmvn_2xn_kernelILj128ELj3ELj4EfEEvi20rocsparse_direction_NS_24const_host_device_scalarIT2_EEPKiS6_PKS3_S8_S4_PS3_21rocsparse_index_base_b,comdat
.Lfunc_end5:
	.size	_ZN9rocsparseL19gebsrmvn_2xn_kernelILj128ELj3ELj4EfEEvi20rocsparse_direction_NS_24const_host_device_scalarIT2_EEPKiS6_PKS3_S8_S4_PS3_21rocsparse_index_base_b, .Lfunc_end5-_ZN9rocsparseL19gebsrmvn_2xn_kernelILj128ELj3ELj4EfEEvi20rocsparse_direction_NS_24const_host_device_scalarIT2_EEPKiS6_PKS3_S8_S4_PS3_21rocsparse_index_base_b
                                        ; -- End function
	.section	.AMDGPU.csdata,"",@progbits
; Kernel info:
; codeLenInByte = 1444
; NumSgprs: 22
; NumVgprs: 25
; ScratchSize: 0
; MemoryBound: 0
; FloatMode: 240
; IeeeMode: 1
; LDSByteSize: 0 bytes/workgroup (compile time only)
; SGPRBlocks: 2
; VGPRBlocks: 3
; NumSGPRsForWavesPerEU: 22
; NumVGPRsForWavesPerEU: 25
; Occupancy: 16
; WaveLimiterHint : 1
; COMPUTE_PGM_RSRC2:SCRATCH_EN: 0
; COMPUTE_PGM_RSRC2:USER_SGPR: 15
; COMPUTE_PGM_RSRC2:TRAP_HANDLER: 0
; COMPUTE_PGM_RSRC2:TGID_X_EN: 1
; COMPUTE_PGM_RSRC2:TGID_Y_EN: 0
; COMPUTE_PGM_RSRC2:TGID_Z_EN: 0
; COMPUTE_PGM_RSRC2:TIDIG_COMP_CNT: 0
	.section	.text._ZN9rocsparseL19gebsrmvn_2xn_kernelILj128ELj3ELj8EfEEvi20rocsparse_direction_NS_24const_host_device_scalarIT2_EEPKiS6_PKS3_S8_S4_PS3_21rocsparse_index_base_b,"axG",@progbits,_ZN9rocsparseL19gebsrmvn_2xn_kernelILj128ELj3ELj8EfEEvi20rocsparse_direction_NS_24const_host_device_scalarIT2_EEPKiS6_PKS3_S8_S4_PS3_21rocsparse_index_base_b,comdat
	.globl	_ZN9rocsparseL19gebsrmvn_2xn_kernelILj128ELj3ELj8EfEEvi20rocsparse_direction_NS_24const_host_device_scalarIT2_EEPKiS6_PKS3_S8_S4_PS3_21rocsparse_index_base_b ; -- Begin function _ZN9rocsparseL19gebsrmvn_2xn_kernelILj128ELj3ELj8EfEEvi20rocsparse_direction_NS_24const_host_device_scalarIT2_EEPKiS6_PKS3_S8_S4_PS3_21rocsparse_index_base_b
	.p2align	8
	.type	_ZN9rocsparseL19gebsrmvn_2xn_kernelILj128ELj3ELj8EfEEvi20rocsparse_direction_NS_24const_host_device_scalarIT2_EEPKiS6_PKS3_S8_S4_PS3_21rocsparse_index_base_b,@function
_ZN9rocsparseL19gebsrmvn_2xn_kernelILj128ELj3ELj8EfEEvi20rocsparse_direction_NS_24const_host_device_scalarIT2_EEPKiS6_PKS3_S8_S4_PS3_21rocsparse_index_base_b: ; @_ZN9rocsparseL19gebsrmvn_2xn_kernelILj128ELj3ELj8EfEEvi20rocsparse_direction_NS_24const_host_device_scalarIT2_EEPKiS6_PKS3_S8_S4_PS3_21rocsparse_index_base_b
; %bb.0:
	s_clause 0x2
	s_load_b64 s[18:19], s[0:1], 0x40
	s_load_b64 s[16:17], s[0:1], 0x8
	;; [unrolled: 1-line block ×3, first 2 shown]
	s_waitcnt lgkmcnt(0)
	s_bitcmp1_b32 s19, 0
	s_cselect_b32 s2, -1, 0
	s_delay_alu instid0(SALU_CYCLE_1)
	s_and_b32 vcc_lo, exec_lo, s2
	s_xor_b32 s2, s2, -1
	s_cbranch_vccnz .LBB6_2
; %bb.1:
	s_load_b32 s16, s[16:17], 0x0
.LBB6_2:
	s_and_not1_b32 vcc_lo, exec_lo, s2
	s_cbranch_vccnz .LBB6_4
; %bb.3:
	s_load_b32 s12, s[12:13], 0x0
.LBB6_4:
	s_waitcnt lgkmcnt(0)
	v_cmp_eq_f32_e64 s2, s16, 0
	v_cmp_eq_f32_e64 s3, s12, 1.0
	s_delay_alu instid0(VALU_DEP_1) | instskip(NEXT) | instid1(SALU_CYCLE_1)
	s_and_b32 s2, s2, s3
	s_and_b32 vcc_lo, exec_lo, s2
	s_cbranch_vccnz .LBB6_23
; %bb.5:
	s_load_b64 s[2:3], s[0:1], 0x0
	v_lshrrev_b32_e32 v1, 3, v0
	s_delay_alu instid0(VALU_DEP_1) | instskip(SKIP_1) | instid1(VALU_DEP_1)
	v_lshl_or_b32 v1, s15, 4, v1
	s_waitcnt lgkmcnt(0)
	v_cmp_gt_i32_e32 vcc_lo, s2, v1
	s_and_saveexec_b32 s2, vcc_lo
	s_cbranch_execz .LBB6_23
; %bb.6:
	s_load_b256 s[4:11], s[0:1], 0x10
	v_ashrrev_i32_e32 v2, 31, v1
	v_and_b32_e32 v0, 7, v0
	s_cmp_lg_u32 s3, 0
	s_delay_alu instid0(VALU_DEP_2) | instskip(SKIP_1) | instid1(VALU_DEP_1)
	v_lshlrev_b64 v[2:3], 2, v[1:2]
	s_waitcnt lgkmcnt(0)
	v_add_co_u32 v2, vcc_lo, s4, v2
	s_delay_alu instid0(VALU_DEP_2) | instskip(SKIP_4) | instid1(VALU_DEP_2)
	v_add_co_ci_u32_e32 v3, vcc_lo, s5, v3, vcc_lo
	global_load_b64 v[2:3], v[2:3], off
	s_waitcnt vmcnt(0)
	v_subrev_nc_u32_e32 v2, s18, v2
	v_subrev_nc_u32_e32 v10, s18, v3
	v_add_nc_u32_e32 v2, v2, v0
	s_delay_alu instid0(VALU_DEP_1)
	v_cmp_lt_i32_e64 s2, v2, v10
	s_cbranch_scc0 .LBB6_12
; %bb.7:
	v_dual_mov_b32 v8, 0 :: v_dual_mov_b32 v9, 0
	s_mov_b32 s3, 0
	s_delay_alu instid0(VALU_DEP_2)
	s_and_saveexec_b32 s4, s2
	s_cbranch_execz .LBB6_11
; %bb.8:
	v_dual_mov_b32 v4, 0 :: v_dual_mov_b32 v5, v2
	v_mul_lo_u32 v3, v2, 6
	s_mov_b32 s5, 0
	s_delay_alu instid0(VALU_DEP_2)
	v_mov_b32_e32 v8, v4
	v_mov_b32_e32 v9, v4
.LBB6_9:                                ; =>This Inner Loop Header: Depth=1
	v_ashrrev_i32_e32 v6, 31, v5
	s_delay_alu instid0(VALU_DEP_4) | instskip(SKIP_1) | instid1(VALU_DEP_3)
	v_dual_mov_b32 v12, v4 :: v_dual_add_nc_u32 v11, 2, v3
	v_dual_mov_b32 v14, v4 :: v_dual_add_nc_u32 v13, 4, v3
	v_lshlrev_b64 v[6:7], 2, v[5:6]
	v_add_nc_u32_e32 v5, 8, v5
	s_delay_alu instid0(VALU_DEP_4) | instskip(NEXT) | instid1(VALU_DEP_4)
	v_lshlrev_b64 v[11:12], 2, v[11:12]
	v_lshlrev_b64 v[13:14], 2, v[13:14]
	s_delay_alu instid0(VALU_DEP_4) | instskip(SKIP_4) | instid1(VALU_DEP_2)
	v_add_co_u32 v6, vcc_lo, s6, v6
	v_add_co_ci_u32_e32 v7, vcc_lo, s7, v7, vcc_lo
	global_load_b32 v16, v[6:7], off
	v_lshlrev_b64 v[6:7], 2, v[3:4]
	v_add_nc_u32_e32 v3, 48, v3
	v_add_co_u32 v6, vcc_lo, s8, v6
	s_delay_alu instid0(VALU_DEP_3)
	v_add_co_ci_u32_e32 v7, vcc_lo, s9, v7, vcc_lo
	v_add_co_u32 v11, vcc_lo, s8, v11
	v_add_co_ci_u32_e32 v12, vcc_lo, s9, v12, vcc_lo
	v_add_co_u32 v20, vcc_lo, s8, v13
	v_add_co_ci_u32_e32 v21, vcc_lo, s9, v14, vcc_lo
	s_clause 0x1
	global_load_b64 v[6:7], v[6:7], off
	global_load_b64 v[11:12], v[11:12], off
	v_mov_b32_e32 v19, v4
	s_waitcnt vmcnt(2)
	v_subrev_nc_u32_e32 v13, s18, v16
	s_delay_alu instid0(VALU_DEP_1) | instskip(SKIP_1) | instid1(VALU_DEP_2)
	v_lshl_add_u32 v14, v13, 1, v13
	v_mov_b32_e32 v15, v4
	v_dual_mov_b32 v17, v4 :: v_dual_add_nc_u32 v18, 2, v14
	v_add_nc_u32_e32 v16, 1, v14
	s_delay_alu instid0(VALU_DEP_3) | instskip(NEXT) | instid1(VALU_DEP_2)
	v_lshlrev_b64 v[13:14], 2, v[14:15]
	v_lshlrev_b64 v[15:16], 2, v[16:17]
	s_delay_alu instid0(VALU_DEP_4) | instskip(NEXT) | instid1(VALU_DEP_3)
	v_lshlrev_b64 v[17:18], 2, v[18:19]
	v_add_co_u32 v13, vcc_lo, s10, v13
	s_delay_alu instid0(VALU_DEP_4)
	v_add_co_ci_u32_e32 v14, vcc_lo, s11, v14, vcc_lo
	global_load_b32 v19, v[13:14], off
	v_add_co_u32 v13, vcc_lo, s10, v15
	v_add_co_ci_u32_e32 v14, vcc_lo, s11, v16, vcc_lo
	v_add_co_u32 v15, vcc_lo, s10, v17
	v_add_co_ci_u32_e32 v16, vcc_lo, s11, v18, vcc_lo
	global_load_b32 v17, v[13:14], off
	global_load_b64 v[13:14], v[20:21], off
	global_load_b32 v15, v[15:16], off
	v_cmp_ge_i32_e32 vcc_lo, v5, v10
	s_or_b32 s5, vcc_lo, s5
	s_waitcnt vmcnt(3)
	v_fmac_f32_e32 v8, v6, v19
	v_fmac_f32_e32 v9, v7, v19
	s_waitcnt vmcnt(2)
	s_delay_alu instid0(VALU_DEP_2) | instskip(SKIP_1) | instid1(VALU_DEP_1)
	v_fmac_f32_e32 v8, v11, v17
	s_waitcnt vmcnt(0)
	v_dual_fmac_f32 v9, v12, v17 :: v_dual_fmac_f32 v8, v13, v15
	s_delay_alu instid0(VALU_DEP_1)
	v_fmac_f32_e32 v9, v14, v15
	s_and_not1_b32 exec_lo, exec_lo, s5
	s_cbranch_execnz .LBB6_9
; %bb.10:
	s_or_b32 exec_lo, exec_lo, s5
.LBB6_11:
	s_delay_alu instid0(SALU_CYCLE_1) | instskip(NEXT) | instid1(SALU_CYCLE_1)
	s_or_b32 exec_lo, exec_lo, s4
	s_and_not1_b32 vcc_lo, exec_lo, s3
	s_cbranch_vccz .LBB6_13
	s_branch .LBB6_18
.LBB6_12:
                                        ; implicit-def: $vgpr8
                                        ; implicit-def: $vgpr9
.LBB6_13:
	v_dual_mov_b32 v8, 0 :: v_dual_mov_b32 v9, 0
	s_delay_alu instid0(VALU_DEP_2)
	s_and_saveexec_b32 s3, s2
	s_cbranch_execz .LBB6_17
; %bb.14:
	v_mad_u64_u32 v[4:5], null, v2, 6, 5
	v_dual_mov_b32 v7, 0 :: v_dual_mov_b32 v8, 0
	v_mov_b32_e32 v9, 0
	s_mov_b32 s2, 0
.LBB6_15:                               ; =>This Inner Loop Header: Depth=1
	v_ashrrev_i32_e32 v3, 31, v2
	s_delay_alu instid0(VALU_DEP_3) | instskip(SKIP_1) | instid1(VALU_DEP_3)
	v_dual_mov_b32 v12, v7 :: v_dual_add_nc_u32 v11, -2, v4
	v_mov_b32_e32 v13, v7
	v_lshlrev_b64 v[5:6], 2, v[2:3]
	v_add_nc_u32_e32 v2, 8, v2
	s_delay_alu instid0(VALU_DEP_4) | instskip(NEXT) | instid1(VALU_DEP_3)
	v_lshlrev_b64 v[11:12], 2, v[11:12]
	v_add_co_u32 v5, vcc_lo, s6, v5
	s_delay_alu instid0(VALU_DEP_4) | instskip(SKIP_2) | instid1(VALU_DEP_1)
	v_add_co_ci_u32_e32 v6, vcc_lo, s7, v6, vcc_lo
	global_load_b32 v3, v[5:6], off
	v_add_nc_u32_e32 v6, -5, v4
	v_lshlrev_b64 v[14:15], 2, v[6:7]
	s_delay_alu instid0(VALU_DEP_1) | instskip(NEXT) | instid1(VALU_DEP_2)
	v_add_co_u32 v14, vcc_lo, s8, v14
	v_add_co_ci_u32_e32 v15, vcc_lo, s9, v15, vcc_lo
	v_add_co_u32 v11, vcc_lo, s8, v11
	v_add_co_ci_u32_e32 v12, vcc_lo, s9, v12, vcc_lo
	s_clause 0x1
	global_load_b64 v[14:15], v[14:15], off
	global_load_b32 v24, v[11:12], off
	s_waitcnt vmcnt(2)
	v_subrev_nc_u32_e32 v3, s18, v3
	s_delay_alu instid0(VALU_DEP_1) | instskip(SKIP_1) | instid1(VALU_DEP_2)
	v_lshl_add_u32 v12, v3, 1, v3
	v_mov_b32_e32 v5, v7
	v_lshlrev_b64 v[18:19], 2, v[12:13]
	s_delay_alu instid0(VALU_DEP_2) | instskip(NEXT) | instid1(VALU_DEP_1)
	v_lshlrev_b64 v[5:6], 2, v[4:5]
	v_add_co_u32 v16, vcc_lo, s8, v5
	s_delay_alu instid0(VALU_DEP_2) | instskip(SKIP_3) | instid1(VALU_DEP_3)
	v_add_co_ci_u32_e32 v17, vcc_lo, s9, v6, vcc_lo
	v_add_nc_u32_e32 v6, 1, v12
	v_add_co_u32 v18, vcc_lo, s10, v18
	v_add_co_ci_u32_e32 v19, vcc_lo, s11, v19, vcc_lo
	v_lshlrev_b64 v[20:21], 2, v[6:7]
	global_load_b32 v3, v[18:19], off
	v_add_nc_u32_e32 v6, -1, v4
	v_add_co_u32 v18, vcc_lo, s10, v20
	v_add_co_ci_u32_e32 v19, vcc_lo, s11, v21, vcc_lo
	global_load_b32 v13, v[18:19], off
	s_waitcnt vmcnt(1)
	v_fmac_f32_e32 v9, v24, v3
	v_lshlrev_b64 v[22:23], 2, v[6:7]
	v_add_nc_u32_e32 v6, -3, v4
	v_fmac_f32_e32 v8, v14, v3
	v_add_nc_u32_e32 v4, 48, v4
	s_delay_alu instid0(VALU_DEP_3) | instskip(SKIP_3) | instid1(VALU_DEP_3)
	v_lshlrev_b64 v[20:21], 2, v[6:7]
	v_add_nc_u32_e32 v6, 2, v12
	v_add_co_u32 v11, vcc_lo, s8, v22
	v_add_co_ci_u32_e32 v12, vcc_lo, s9, v23, vcc_lo
	v_lshlrev_b64 v[5:6], 2, v[6:7]
	s_waitcnt vmcnt(0)
	v_fmac_f32_e32 v8, v15, v13
	global_load_b32 v18, v[11:12], off
	v_add_co_u32 v11, vcc_lo, s8, v20
	v_add_co_ci_u32_e32 v12, vcc_lo, s9, v21, vcc_lo
	v_add_co_u32 v5, vcc_lo, s10, v5
	v_add_co_ci_u32_e32 v6, vcc_lo, s11, v6, vcc_lo
	s_clause 0x1
	global_load_b32 v16, v[16:17], off
	global_load_b32 v11, v[11:12], off
	;; [unrolled: 1-line block ×3, first 2 shown]
	v_cmp_ge_i32_e32 vcc_lo, v2, v10
	s_or_b32 s2, vcc_lo, s2
	s_waitcnt vmcnt(3)
	v_fmac_f32_e32 v9, v18, v13
	s_waitcnt vmcnt(0)
	s_delay_alu instid0(VALU_DEP_1)
	v_fmac_f32_e32 v9, v16, v5
	v_fmac_f32_e32 v8, v11, v5
	s_and_not1_b32 exec_lo, exec_lo, s2
	s_cbranch_execnz .LBB6_15
; %bb.16:
	s_or_b32 exec_lo, exec_lo, s2
.LBB6_17:
	s_delay_alu instid0(SALU_CYCLE_1)
	s_or_b32 exec_lo, exec_lo, s3
.LBB6_18:
	v_mbcnt_lo_u32_b32 v2, -1, 0
	s_mov_b32 s2, -1
	s_delay_alu instid0(VALU_DEP_1) | instskip(SKIP_2) | instid1(VALU_DEP_3)
	v_xor_b32_e32 v3, 4, v2
	v_xor_b32_e32 v5, 2, v2
	;; [unrolled: 1-line block ×3, first 2 shown]
	v_cmp_gt_i32_e32 vcc_lo, 32, v3
	v_cndmask_b32_e32 v3, v2, v3, vcc_lo
	s_delay_alu instid0(VALU_DEP_4) | instskip(NEXT) | instid1(VALU_DEP_2)
	v_cmp_gt_i32_e32 vcc_lo, 32, v5
	v_lshlrev_b32_e32 v3, 2, v3
	v_cndmask_b32_e32 v5, v2, v5, vcc_lo
	v_cmp_gt_i32_e32 vcc_lo, 32, v7
	ds_bpermute_b32 v4, v3, v8
	v_dual_cndmask_b32 v2, v2, v7 :: v_dual_lshlrev_b32 v5, 2, v5
	v_cmp_eq_u32_e32 vcc_lo, 7, v0
	s_waitcnt lgkmcnt(0)
	s_delay_alu instid0(VALU_DEP_2)
	v_dual_add_f32 v4, v8, v4 :: v_dual_lshlrev_b32 v7, 2, v2
	ds_bpermute_b32 v6, v5, v4
	s_waitcnt lgkmcnt(0)
	v_add_f32_e32 v2, v4, v6
	ds_bpermute_b32 v3, v3, v9
	ds_bpermute_b32 v4, v7, v2
	s_waitcnt lgkmcnt(1)
	v_add_f32_e32 v3, v9, v3
	ds_bpermute_b32 v5, v5, v3
	s_waitcnt lgkmcnt(0)
	v_add_f32_e32 v3, v3, v5
	ds_bpermute_b32 v5, v7, v3
	s_and_b32 exec_lo, exec_lo, vcc_lo
	s_cbranch_execz .LBB6_23
; %bb.19:
	s_load_b64 s[0:1], s[0:1], 0x38
	s_waitcnt lgkmcnt(0)
	v_dual_add_f32 v0, v2, v4 :: v_dual_add_f32 v3, v3, v5
	v_cmp_eq_f32_e64 s3, s12, 0
	s_delay_alu instid0(VALU_DEP_2) | instskip(SKIP_1) | instid1(VALU_DEP_3)
	v_dual_mul_f32 v2, s16, v0 :: v_dual_mul_f32 v3, s16, v3
	v_lshlrev_b32_e32 v0, 1, v1
	s_and_b32 vcc_lo, exec_lo, s3
	s_cbranch_vccz .LBB6_21
; %bb.20:
	s_delay_alu instid0(VALU_DEP_1) | instskip(SKIP_1) | instid1(VALU_DEP_1)
	v_ashrrev_i32_e32 v1, 31, v0
	s_mov_b32 s2, 0
	v_lshlrev_b64 v[4:5], 2, v[0:1]
	s_delay_alu instid0(VALU_DEP_1) | instskip(NEXT) | instid1(VALU_DEP_2)
	v_add_co_u32 v4, vcc_lo, s0, v4
	v_add_co_ci_u32_e32 v5, vcc_lo, s1, v5, vcc_lo
	global_store_b64 v[4:5], v[2:3], off
.LBB6_21:
	s_and_not1_b32 vcc_lo, exec_lo, s2
	s_cbranch_vccnz .LBB6_23
; %bb.22:
	v_ashrrev_i32_e32 v1, 31, v0
	s_delay_alu instid0(VALU_DEP_1) | instskip(NEXT) | instid1(VALU_DEP_1)
	v_lshlrev_b64 v[0:1], 2, v[0:1]
	v_add_co_u32 v0, vcc_lo, s0, v0
	s_delay_alu instid0(VALU_DEP_2)
	v_add_co_ci_u32_e32 v1, vcc_lo, s1, v1, vcc_lo
	global_load_b64 v[4:5], v[0:1], off
	s_waitcnt vmcnt(0)
	v_dual_fmac_f32 v2, s12, v4 :: v_dual_fmac_f32 v3, s12, v5
	global_store_b64 v[0:1], v[2:3], off
.LBB6_23:
	s_nop 0
	s_sendmsg sendmsg(MSG_DEALLOC_VGPRS)
	s_endpgm
	.section	.rodata,"a",@progbits
	.p2align	6, 0x0
	.amdhsa_kernel _ZN9rocsparseL19gebsrmvn_2xn_kernelILj128ELj3ELj8EfEEvi20rocsparse_direction_NS_24const_host_device_scalarIT2_EEPKiS6_PKS3_S8_S4_PS3_21rocsparse_index_base_b
		.amdhsa_group_segment_fixed_size 0
		.amdhsa_private_segment_fixed_size 0
		.amdhsa_kernarg_size 72
		.amdhsa_user_sgpr_count 15
		.amdhsa_user_sgpr_dispatch_ptr 0
		.amdhsa_user_sgpr_queue_ptr 0
		.amdhsa_user_sgpr_kernarg_segment_ptr 1
		.amdhsa_user_sgpr_dispatch_id 0
		.amdhsa_user_sgpr_private_segment_size 0
		.amdhsa_wavefront_size32 1
		.amdhsa_uses_dynamic_stack 0
		.amdhsa_enable_private_segment 0
		.amdhsa_system_sgpr_workgroup_id_x 1
		.amdhsa_system_sgpr_workgroup_id_y 0
		.amdhsa_system_sgpr_workgroup_id_z 0
		.amdhsa_system_sgpr_workgroup_info 0
		.amdhsa_system_vgpr_workitem_id 0
		.amdhsa_next_free_vgpr 25
		.amdhsa_next_free_sgpr 20
		.amdhsa_reserve_vcc 1
		.amdhsa_float_round_mode_32 0
		.amdhsa_float_round_mode_16_64 0
		.amdhsa_float_denorm_mode_32 3
		.amdhsa_float_denorm_mode_16_64 3
		.amdhsa_dx10_clamp 1
		.amdhsa_ieee_mode 1
		.amdhsa_fp16_overflow 0
		.amdhsa_workgroup_processor_mode 1
		.amdhsa_memory_ordered 1
		.amdhsa_forward_progress 0
		.amdhsa_shared_vgpr_count 0
		.amdhsa_exception_fp_ieee_invalid_op 0
		.amdhsa_exception_fp_denorm_src 0
		.amdhsa_exception_fp_ieee_div_zero 0
		.amdhsa_exception_fp_ieee_overflow 0
		.amdhsa_exception_fp_ieee_underflow 0
		.amdhsa_exception_fp_ieee_inexact 0
		.amdhsa_exception_int_div_zero 0
	.end_amdhsa_kernel
	.section	.text._ZN9rocsparseL19gebsrmvn_2xn_kernelILj128ELj3ELj8EfEEvi20rocsparse_direction_NS_24const_host_device_scalarIT2_EEPKiS6_PKS3_S8_S4_PS3_21rocsparse_index_base_b,"axG",@progbits,_ZN9rocsparseL19gebsrmvn_2xn_kernelILj128ELj3ELj8EfEEvi20rocsparse_direction_NS_24const_host_device_scalarIT2_EEPKiS6_PKS3_S8_S4_PS3_21rocsparse_index_base_b,comdat
.Lfunc_end6:
	.size	_ZN9rocsparseL19gebsrmvn_2xn_kernelILj128ELj3ELj8EfEEvi20rocsparse_direction_NS_24const_host_device_scalarIT2_EEPKiS6_PKS3_S8_S4_PS3_21rocsparse_index_base_b, .Lfunc_end6-_ZN9rocsparseL19gebsrmvn_2xn_kernelILj128ELj3ELj8EfEEvi20rocsparse_direction_NS_24const_host_device_scalarIT2_EEPKiS6_PKS3_S8_S4_PS3_21rocsparse_index_base_b
                                        ; -- End function
	.section	.AMDGPU.csdata,"",@progbits
; Kernel info:
; codeLenInByte = 1496
; NumSgprs: 22
; NumVgprs: 25
; ScratchSize: 0
; MemoryBound: 0
; FloatMode: 240
; IeeeMode: 1
; LDSByteSize: 0 bytes/workgroup (compile time only)
; SGPRBlocks: 2
; VGPRBlocks: 3
; NumSGPRsForWavesPerEU: 22
; NumVGPRsForWavesPerEU: 25
; Occupancy: 16
; WaveLimiterHint : 1
; COMPUTE_PGM_RSRC2:SCRATCH_EN: 0
; COMPUTE_PGM_RSRC2:USER_SGPR: 15
; COMPUTE_PGM_RSRC2:TRAP_HANDLER: 0
; COMPUTE_PGM_RSRC2:TGID_X_EN: 1
; COMPUTE_PGM_RSRC2:TGID_Y_EN: 0
; COMPUTE_PGM_RSRC2:TGID_Z_EN: 0
; COMPUTE_PGM_RSRC2:TIDIG_COMP_CNT: 0
	.section	.text._ZN9rocsparseL19gebsrmvn_2xn_kernelILj128ELj3ELj16EfEEvi20rocsparse_direction_NS_24const_host_device_scalarIT2_EEPKiS6_PKS3_S8_S4_PS3_21rocsparse_index_base_b,"axG",@progbits,_ZN9rocsparseL19gebsrmvn_2xn_kernelILj128ELj3ELj16EfEEvi20rocsparse_direction_NS_24const_host_device_scalarIT2_EEPKiS6_PKS3_S8_S4_PS3_21rocsparse_index_base_b,comdat
	.globl	_ZN9rocsparseL19gebsrmvn_2xn_kernelILj128ELj3ELj16EfEEvi20rocsparse_direction_NS_24const_host_device_scalarIT2_EEPKiS6_PKS3_S8_S4_PS3_21rocsparse_index_base_b ; -- Begin function _ZN9rocsparseL19gebsrmvn_2xn_kernelILj128ELj3ELj16EfEEvi20rocsparse_direction_NS_24const_host_device_scalarIT2_EEPKiS6_PKS3_S8_S4_PS3_21rocsparse_index_base_b
	.p2align	8
	.type	_ZN9rocsparseL19gebsrmvn_2xn_kernelILj128ELj3ELj16EfEEvi20rocsparse_direction_NS_24const_host_device_scalarIT2_EEPKiS6_PKS3_S8_S4_PS3_21rocsparse_index_base_b,@function
_ZN9rocsparseL19gebsrmvn_2xn_kernelILj128ELj3ELj16EfEEvi20rocsparse_direction_NS_24const_host_device_scalarIT2_EEPKiS6_PKS3_S8_S4_PS3_21rocsparse_index_base_b: ; @_ZN9rocsparseL19gebsrmvn_2xn_kernelILj128ELj3ELj16EfEEvi20rocsparse_direction_NS_24const_host_device_scalarIT2_EEPKiS6_PKS3_S8_S4_PS3_21rocsparse_index_base_b
; %bb.0:
	s_clause 0x2
	s_load_b64 s[18:19], s[0:1], 0x40
	s_load_b64 s[16:17], s[0:1], 0x8
	;; [unrolled: 1-line block ×3, first 2 shown]
	s_waitcnt lgkmcnt(0)
	s_bitcmp1_b32 s19, 0
	s_cselect_b32 s2, -1, 0
	s_delay_alu instid0(SALU_CYCLE_1)
	s_and_b32 vcc_lo, exec_lo, s2
	s_xor_b32 s2, s2, -1
	s_cbranch_vccnz .LBB7_2
; %bb.1:
	s_load_b32 s16, s[16:17], 0x0
.LBB7_2:
	s_and_not1_b32 vcc_lo, exec_lo, s2
	s_cbranch_vccnz .LBB7_4
; %bb.3:
	s_load_b32 s12, s[12:13], 0x0
.LBB7_4:
	s_waitcnt lgkmcnt(0)
	v_cmp_eq_f32_e64 s2, s16, 0
	v_cmp_eq_f32_e64 s3, s12, 1.0
	s_delay_alu instid0(VALU_DEP_1) | instskip(NEXT) | instid1(SALU_CYCLE_1)
	s_and_b32 s2, s2, s3
	s_and_b32 vcc_lo, exec_lo, s2
	s_cbranch_vccnz .LBB7_23
; %bb.5:
	s_load_b64 s[2:3], s[0:1], 0x0
	v_lshrrev_b32_e32 v1, 4, v0
	s_delay_alu instid0(VALU_DEP_1) | instskip(SKIP_1) | instid1(VALU_DEP_1)
	v_lshl_or_b32 v1, s15, 3, v1
	s_waitcnt lgkmcnt(0)
	v_cmp_gt_i32_e32 vcc_lo, s2, v1
	s_and_saveexec_b32 s2, vcc_lo
	s_cbranch_execz .LBB7_23
; %bb.6:
	s_load_b256 s[4:11], s[0:1], 0x10
	v_ashrrev_i32_e32 v2, 31, v1
	v_and_b32_e32 v0, 15, v0
	s_cmp_lg_u32 s3, 0
	s_delay_alu instid0(VALU_DEP_2) | instskip(SKIP_1) | instid1(VALU_DEP_1)
	v_lshlrev_b64 v[2:3], 2, v[1:2]
	s_waitcnt lgkmcnt(0)
	v_add_co_u32 v2, vcc_lo, s4, v2
	s_delay_alu instid0(VALU_DEP_2) | instskip(SKIP_4) | instid1(VALU_DEP_2)
	v_add_co_ci_u32_e32 v3, vcc_lo, s5, v3, vcc_lo
	global_load_b64 v[2:3], v[2:3], off
	s_waitcnt vmcnt(0)
	v_subrev_nc_u32_e32 v2, s18, v2
	v_subrev_nc_u32_e32 v10, s18, v3
	v_add_nc_u32_e32 v2, v2, v0
	s_delay_alu instid0(VALU_DEP_1)
	v_cmp_lt_i32_e64 s2, v2, v10
	s_cbranch_scc0 .LBB7_12
; %bb.7:
	v_dual_mov_b32 v8, 0 :: v_dual_mov_b32 v9, 0
	s_mov_b32 s3, 0
	s_delay_alu instid0(VALU_DEP_2)
	s_and_saveexec_b32 s4, s2
	s_cbranch_execz .LBB7_11
; %bb.8:
	v_dual_mov_b32 v4, 0 :: v_dual_mov_b32 v5, v2
	v_mul_lo_u32 v3, v2, 6
	s_mov_b32 s5, 0
	s_delay_alu instid0(VALU_DEP_2)
	v_mov_b32_e32 v8, v4
	v_mov_b32_e32 v9, v4
.LBB7_9:                                ; =>This Inner Loop Header: Depth=1
	v_ashrrev_i32_e32 v6, 31, v5
	s_delay_alu instid0(VALU_DEP_4) | instskip(SKIP_1) | instid1(VALU_DEP_3)
	v_dual_mov_b32 v12, v4 :: v_dual_add_nc_u32 v11, 2, v3
	v_dual_mov_b32 v14, v4 :: v_dual_add_nc_u32 v13, 4, v3
	v_lshlrev_b64 v[6:7], 2, v[5:6]
	v_add_nc_u32_e32 v5, 16, v5
	s_delay_alu instid0(VALU_DEP_4) | instskip(NEXT) | instid1(VALU_DEP_4)
	v_lshlrev_b64 v[11:12], 2, v[11:12]
	v_lshlrev_b64 v[13:14], 2, v[13:14]
	s_delay_alu instid0(VALU_DEP_4) | instskip(SKIP_4) | instid1(VALU_DEP_2)
	v_add_co_u32 v6, vcc_lo, s6, v6
	v_add_co_ci_u32_e32 v7, vcc_lo, s7, v7, vcc_lo
	global_load_b32 v16, v[6:7], off
	v_lshlrev_b64 v[6:7], 2, v[3:4]
	v_add_nc_u32_e32 v3, 0x60, v3
	v_add_co_u32 v6, vcc_lo, s8, v6
	s_delay_alu instid0(VALU_DEP_3)
	v_add_co_ci_u32_e32 v7, vcc_lo, s9, v7, vcc_lo
	v_add_co_u32 v11, vcc_lo, s8, v11
	v_add_co_ci_u32_e32 v12, vcc_lo, s9, v12, vcc_lo
	v_add_co_u32 v20, vcc_lo, s8, v13
	v_add_co_ci_u32_e32 v21, vcc_lo, s9, v14, vcc_lo
	s_clause 0x1
	global_load_b64 v[6:7], v[6:7], off
	global_load_b64 v[11:12], v[11:12], off
	v_mov_b32_e32 v19, v4
	s_waitcnt vmcnt(2)
	v_subrev_nc_u32_e32 v13, s18, v16
	s_delay_alu instid0(VALU_DEP_1) | instskip(SKIP_1) | instid1(VALU_DEP_2)
	v_lshl_add_u32 v14, v13, 1, v13
	v_mov_b32_e32 v15, v4
	v_dual_mov_b32 v17, v4 :: v_dual_add_nc_u32 v18, 2, v14
	v_add_nc_u32_e32 v16, 1, v14
	s_delay_alu instid0(VALU_DEP_3) | instskip(NEXT) | instid1(VALU_DEP_2)
	v_lshlrev_b64 v[13:14], 2, v[14:15]
	v_lshlrev_b64 v[15:16], 2, v[16:17]
	s_delay_alu instid0(VALU_DEP_4) | instskip(NEXT) | instid1(VALU_DEP_3)
	v_lshlrev_b64 v[17:18], 2, v[18:19]
	v_add_co_u32 v13, vcc_lo, s10, v13
	s_delay_alu instid0(VALU_DEP_4)
	v_add_co_ci_u32_e32 v14, vcc_lo, s11, v14, vcc_lo
	global_load_b32 v19, v[13:14], off
	v_add_co_u32 v13, vcc_lo, s10, v15
	v_add_co_ci_u32_e32 v14, vcc_lo, s11, v16, vcc_lo
	v_add_co_u32 v15, vcc_lo, s10, v17
	v_add_co_ci_u32_e32 v16, vcc_lo, s11, v18, vcc_lo
	global_load_b32 v17, v[13:14], off
	global_load_b64 v[13:14], v[20:21], off
	global_load_b32 v15, v[15:16], off
	v_cmp_ge_i32_e32 vcc_lo, v5, v10
	s_or_b32 s5, vcc_lo, s5
	s_waitcnt vmcnt(3)
	v_fmac_f32_e32 v8, v6, v19
	v_fmac_f32_e32 v9, v7, v19
	s_waitcnt vmcnt(2)
	s_delay_alu instid0(VALU_DEP_2) | instskip(SKIP_1) | instid1(VALU_DEP_1)
	v_fmac_f32_e32 v8, v11, v17
	s_waitcnt vmcnt(0)
	v_dual_fmac_f32 v9, v12, v17 :: v_dual_fmac_f32 v8, v13, v15
	s_delay_alu instid0(VALU_DEP_1)
	v_fmac_f32_e32 v9, v14, v15
	s_and_not1_b32 exec_lo, exec_lo, s5
	s_cbranch_execnz .LBB7_9
; %bb.10:
	s_or_b32 exec_lo, exec_lo, s5
.LBB7_11:
	s_delay_alu instid0(SALU_CYCLE_1) | instskip(NEXT) | instid1(SALU_CYCLE_1)
	s_or_b32 exec_lo, exec_lo, s4
	s_and_not1_b32 vcc_lo, exec_lo, s3
	s_cbranch_vccz .LBB7_13
	s_branch .LBB7_18
.LBB7_12:
                                        ; implicit-def: $vgpr8
                                        ; implicit-def: $vgpr9
.LBB7_13:
	v_dual_mov_b32 v8, 0 :: v_dual_mov_b32 v9, 0
	s_delay_alu instid0(VALU_DEP_2)
	s_and_saveexec_b32 s3, s2
	s_cbranch_execz .LBB7_17
; %bb.14:
	v_mad_u64_u32 v[4:5], null, v2, 6, 5
	v_dual_mov_b32 v7, 0 :: v_dual_mov_b32 v8, 0
	v_mov_b32_e32 v9, 0
	s_mov_b32 s2, 0
.LBB7_15:                               ; =>This Inner Loop Header: Depth=1
	v_ashrrev_i32_e32 v3, 31, v2
	s_delay_alu instid0(VALU_DEP_3) | instskip(SKIP_1) | instid1(VALU_DEP_3)
	v_dual_mov_b32 v12, v7 :: v_dual_add_nc_u32 v11, -2, v4
	v_mov_b32_e32 v13, v7
	v_lshlrev_b64 v[5:6], 2, v[2:3]
	v_add_nc_u32_e32 v2, 16, v2
	s_delay_alu instid0(VALU_DEP_4) | instskip(NEXT) | instid1(VALU_DEP_3)
	v_lshlrev_b64 v[11:12], 2, v[11:12]
	v_add_co_u32 v5, vcc_lo, s6, v5
	s_delay_alu instid0(VALU_DEP_4) | instskip(SKIP_2) | instid1(VALU_DEP_1)
	v_add_co_ci_u32_e32 v6, vcc_lo, s7, v6, vcc_lo
	global_load_b32 v3, v[5:6], off
	v_add_nc_u32_e32 v6, -5, v4
	v_lshlrev_b64 v[14:15], 2, v[6:7]
	s_delay_alu instid0(VALU_DEP_1) | instskip(NEXT) | instid1(VALU_DEP_2)
	v_add_co_u32 v14, vcc_lo, s8, v14
	v_add_co_ci_u32_e32 v15, vcc_lo, s9, v15, vcc_lo
	v_add_co_u32 v11, vcc_lo, s8, v11
	v_add_co_ci_u32_e32 v12, vcc_lo, s9, v12, vcc_lo
	s_clause 0x1
	global_load_b64 v[14:15], v[14:15], off
	global_load_b32 v24, v[11:12], off
	s_waitcnt vmcnt(2)
	v_subrev_nc_u32_e32 v3, s18, v3
	s_delay_alu instid0(VALU_DEP_1) | instskip(SKIP_1) | instid1(VALU_DEP_2)
	v_lshl_add_u32 v12, v3, 1, v3
	v_mov_b32_e32 v5, v7
	v_lshlrev_b64 v[18:19], 2, v[12:13]
	s_delay_alu instid0(VALU_DEP_2) | instskip(NEXT) | instid1(VALU_DEP_1)
	v_lshlrev_b64 v[5:6], 2, v[4:5]
	v_add_co_u32 v16, vcc_lo, s8, v5
	s_delay_alu instid0(VALU_DEP_2) | instskip(SKIP_3) | instid1(VALU_DEP_3)
	v_add_co_ci_u32_e32 v17, vcc_lo, s9, v6, vcc_lo
	v_add_nc_u32_e32 v6, 1, v12
	v_add_co_u32 v18, vcc_lo, s10, v18
	v_add_co_ci_u32_e32 v19, vcc_lo, s11, v19, vcc_lo
	v_lshlrev_b64 v[20:21], 2, v[6:7]
	global_load_b32 v3, v[18:19], off
	v_add_nc_u32_e32 v6, -1, v4
	v_add_co_u32 v18, vcc_lo, s10, v20
	v_add_co_ci_u32_e32 v19, vcc_lo, s11, v21, vcc_lo
	global_load_b32 v13, v[18:19], off
	s_waitcnt vmcnt(1)
	v_fmac_f32_e32 v9, v24, v3
	v_lshlrev_b64 v[22:23], 2, v[6:7]
	v_add_nc_u32_e32 v6, -3, v4
	v_fmac_f32_e32 v8, v14, v3
	v_add_nc_u32_e32 v4, 0x60, v4
	s_delay_alu instid0(VALU_DEP_3) | instskip(SKIP_3) | instid1(VALU_DEP_3)
	v_lshlrev_b64 v[20:21], 2, v[6:7]
	v_add_nc_u32_e32 v6, 2, v12
	v_add_co_u32 v11, vcc_lo, s8, v22
	v_add_co_ci_u32_e32 v12, vcc_lo, s9, v23, vcc_lo
	v_lshlrev_b64 v[5:6], 2, v[6:7]
	s_waitcnt vmcnt(0)
	v_fmac_f32_e32 v8, v15, v13
	global_load_b32 v18, v[11:12], off
	v_add_co_u32 v11, vcc_lo, s8, v20
	v_add_co_ci_u32_e32 v12, vcc_lo, s9, v21, vcc_lo
	v_add_co_u32 v5, vcc_lo, s10, v5
	v_add_co_ci_u32_e32 v6, vcc_lo, s11, v6, vcc_lo
	s_clause 0x1
	global_load_b32 v16, v[16:17], off
	global_load_b32 v11, v[11:12], off
	;; [unrolled: 1-line block ×3, first 2 shown]
	v_cmp_ge_i32_e32 vcc_lo, v2, v10
	s_or_b32 s2, vcc_lo, s2
	s_waitcnt vmcnt(3)
	v_fmac_f32_e32 v9, v18, v13
	s_waitcnt vmcnt(0)
	s_delay_alu instid0(VALU_DEP_1)
	v_fmac_f32_e32 v9, v16, v5
	v_fmac_f32_e32 v8, v11, v5
	s_and_not1_b32 exec_lo, exec_lo, s2
	s_cbranch_execnz .LBB7_15
; %bb.16:
	s_or_b32 exec_lo, exec_lo, s2
.LBB7_17:
	s_delay_alu instid0(SALU_CYCLE_1)
	s_or_b32 exec_lo, exec_lo, s3
.LBB7_18:
	v_mbcnt_lo_u32_b32 v2, -1, 0
	s_mov_b32 s2, -1
	s_delay_alu instid0(VALU_DEP_1) | instskip(SKIP_2) | instid1(VALU_DEP_3)
	v_xor_b32_e32 v3, 8, v2
	v_xor_b32_e32 v5, 4, v2
	;; [unrolled: 1-line block ×3, first 2 shown]
	v_cmp_gt_i32_e32 vcc_lo, 32, v3
	v_cndmask_b32_e32 v3, v2, v3, vcc_lo
	s_delay_alu instid0(VALU_DEP_4) | instskip(NEXT) | instid1(VALU_DEP_2)
	v_cmp_gt_i32_e32 vcc_lo, 32, v5
	v_lshlrev_b32_e32 v3, 2, v3
	v_cndmask_b32_e32 v5, v2, v5, vcc_lo
	v_cmp_gt_i32_e32 vcc_lo, 32, v7
	ds_bpermute_b32 v4, v3, v8
	v_lshlrev_b32_e32 v5, 2, v5
	v_cndmask_b32_e32 v7, v2, v7, vcc_lo
	s_waitcnt lgkmcnt(0)
	s_delay_alu instid0(VALU_DEP_1)
	v_dual_add_f32 v4, v8, v4 :: v_dual_lshlrev_b32 v7, 2, v7
	ds_bpermute_b32 v6, v5, v4
	s_waitcnt lgkmcnt(0)
	v_add_f32_e32 v4, v4, v6
	ds_bpermute_b32 v3, v3, v9
	s_waitcnt lgkmcnt(0)
	v_add_f32_e32 v3, v9, v3
	;; [unrolled: 3-line block ×3, first 2 shown]
	ds_bpermute_b32 v5, v7, v4
	ds_bpermute_b32 v6, v7, v3
	v_xor_b32_e32 v7, 1, v2
	s_delay_alu instid0(VALU_DEP_1) | instskip(SKIP_3) | instid1(VALU_DEP_2)
	v_cmp_gt_i32_e32 vcc_lo, 32, v7
	v_cndmask_b32_e32 v2, v2, v7, vcc_lo
	v_cmp_eq_u32_e32 vcc_lo, 15, v0
	s_waitcnt lgkmcnt(1)
	v_dual_add_f32 v2, v4, v5 :: v_dual_lshlrev_b32 v7, 2, v2
	s_waitcnt lgkmcnt(0)
	v_add_f32_e32 v3, v3, v6
	ds_bpermute_b32 v4, v7, v2
	ds_bpermute_b32 v5, v7, v3
	s_and_b32 exec_lo, exec_lo, vcc_lo
	s_cbranch_execz .LBB7_23
; %bb.19:
	s_load_b64 s[0:1], s[0:1], 0x38
	s_waitcnt lgkmcnt(0)
	v_dual_add_f32 v0, v2, v4 :: v_dual_add_f32 v3, v3, v5
	v_cmp_eq_f32_e64 s3, s12, 0
	s_delay_alu instid0(VALU_DEP_2) | instskip(SKIP_1) | instid1(VALU_DEP_3)
	v_dual_mul_f32 v2, s16, v0 :: v_dual_mul_f32 v3, s16, v3
	v_lshlrev_b32_e32 v0, 1, v1
	s_and_b32 vcc_lo, exec_lo, s3
	s_cbranch_vccz .LBB7_21
; %bb.20:
	s_delay_alu instid0(VALU_DEP_1) | instskip(SKIP_1) | instid1(VALU_DEP_1)
	v_ashrrev_i32_e32 v1, 31, v0
	s_mov_b32 s2, 0
	v_lshlrev_b64 v[4:5], 2, v[0:1]
	s_delay_alu instid0(VALU_DEP_1) | instskip(NEXT) | instid1(VALU_DEP_2)
	v_add_co_u32 v4, vcc_lo, s0, v4
	v_add_co_ci_u32_e32 v5, vcc_lo, s1, v5, vcc_lo
	global_store_b64 v[4:5], v[2:3], off
.LBB7_21:
	s_and_not1_b32 vcc_lo, exec_lo, s2
	s_cbranch_vccnz .LBB7_23
; %bb.22:
	v_ashrrev_i32_e32 v1, 31, v0
	s_delay_alu instid0(VALU_DEP_1) | instskip(NEXT) | instid1(VALU_DEP_1)
	v_lshlrev_b64 v[0:1], 2, v[0:1]
	v_add_co_u32 v0, vcc_lo, s0, v0
	s_delay_alu instid0(VALU_DEP_2)
	v_add_co_ci_u32_e32 v1, vcc_lo, s1, v1, vcc_lo
	global_load_b64 v[4:5], v[0:1], off
	s_waitcnt vmcnt(0)
	v_dual_fmac_f32 v2, s12, v4 :: v_dual_fmac_f32 v3, s12, v5
	global_store_b64 v[0:1], v[2:3], off
.LBB7_23:
	s_nop 0
	s_sendmsg sendmsg(MSG_DEALLOC_VGPRS)
	s_endpgm
	.section	.rodata,"a",@progbits
	.p2align	6, 0x0
	.amdhsa_kernel _ZN9rocsparseL19gebsrmvn_2xn_kernelILj128ELj3ELj16EfEEvi20rocsparse_direction_NS_24const_host_device_scalarIT2_EEPKiS6_PKS3_S8_S4_PS3_21rocsparse_index_base_b
		.amdhsa_group_segment_fixed_size 0
		.amdhsa_private_segment_fixed_size 0
		.amdhsa_kernarg_size 72
		.amdhsa_user_sgpr_count 15
		.amdhsa_user_sgpr_dispatch_ptr 0
		.amdhsa_user_sgpr_queue_ptr 0
		.amdhsa_user_sgpr_kernarg_segment_ptr 1
		.amdhsa_user_sgpr_dispatch_id 0
		.amdhsa_user_sgpr_private_segment_size 0
		.amdhsa_wavefront_size32 1
		.amdhsa_uses_dynamic_stack 0
		.amdhsa_enable_private_segment 0
		.amdhsa_system_sgpr_workgroup_id_x 1
		.amdhsa_system_sgpr_workgroup_id_y 0
		.amdhsa_system_sgpr_workgroup_id_z 0
		.amdhsa_system_sgpr_workgroup_info 0
		.amdhsa_system_vgpr_workitem_id 0
		.amdhsa_next_free_vgpr 25
		.amdhsa_next_free_sgpr 20
		.amdhsa_reserve_vcc 1
		.amdhsa_float_round_mode_32 0
		.amdhsa_float_round_mode_16_64 0
		.amdhsa_float_denorm_mode_32 3
		.amdhsa_float_denorm_mode_16_64 3
		.amdhsa_dx10_clamp 1
		.amdhsa_ieee_mode 1
		.amdhsa_fp16_overflow 0
		.amdhsa_workgroup_processor_mode 1
		.amdhsa_memory_ordered 1
		.amdhsa_forward_progress 0
		.amdhsa_shared_vgpr_count 0
		.amdhsa_exception_fp_ieee_invalid_op 0
		.amdhsa_exception_fp_denorm_src 0
		.amdhsa_exception_fp_ieee_div_zero 0
		.amdhsa_exception_fp_ieee_overflow 0
		.amdhsa_exception_fp_ieee_underflow 0
		.amdhsa_exception_fp_ieee_inexact 0
		.amdhsa_exception_int_div_zero 0
	.end_amdhsa_kernel
	.section	.text._ZN9rocsparseL19gebsrmvn_2xn_kernelILj128ELj3ELj16EfEEvi20rocsparse_direction_NS_24const_host_device_scalarIT2_EEPKiS6_PKS3_S8_S4_PS3_21rocsparse_index_base_b,"axG",@progbits,_ZN9rocsparseL19gebsrmvn_2xn_kernelILj128ELj3ELj16EfEEvi20rocsparse_direction_NS_24const_host_device_scalarIT2_EEPKiS6_PKS3_S8_S4_PS3_21rocsparse_index_base_b,comdat
.Lfunc_end7:
	.size	_ZN9rocsparseL19gebsrmvn_2xn_kernelILj128ELj3ELj16EfEEvi20rocsparse_direction_NS_24const_host_device_scalarIT2_EEPKiS6_PKS3_S8_S4_PS3_21rocsparse_index_base_b, .Lfunc_end7-_ZN9rocsparseL19gebsrmvn_2xn_kernelILj128ELj3ELj16EfEEvi20rocsparse_direction_NS_24const_host_device_scalarIT2_EEPKiS6_PKS3_S8_S4_PS3_21rocsparse_index_base_b
                                        ; -- End function
	.section	.AMDGPU.csdata,"",@progbits
; Kernel info:
; codeLenInByte = 1556
; NumSgprs: 22
; NumVgprs: 25
; ScratchSize: 0
; MemoryBound: 0
; FloatMode: 240
; IeeeMode: 1
; LDSByteSize: 0 bytes/workgroup (compile time only)
; SGPRBlocks: 2
; VGPRBlocks: 3
; NumSGPRsForWavesPerEU: 22
; NumVGPRsForWavesPerEU: 25
; Occupancy: 16
; WaveLimiterHint : 1
; COMPUTE_PGM_RSRC2:SCRATCH_EN: 0
; COMPUTE_PGM_RSRC2:USER_SGPR: 15
; COMPUTE_PGM_RSRC2:TRAP_HANDLER: 0
; COMPUTE_PGM_RSRC2:TGID_X_EN: 1
; COMPUTE_PGM_RSRC2:TGID_Y_EN: 0
; COMPUTE_PGM_RSRC2:TGID_Z_EN: 0
; COMPUTE_PGM_RSRC2:TIDIG_COMP_CNT: 0
	.section	.text._ZN9rocsparseL19gebsrmvn_2xn_kernelILj128ELj3ELj32EfEEvi20rocsparse_direction_NS_24const_host_device_scalarIT2_EEPKiS6_PKS3_S8_S4_PS3_21rocsparse_index_base_b,"axG",@progbits,_ZN9rocsparseL19gebsrmvn_2xn_kernelILj128ELj3ELj32EfEEvi20rocsparse_direction_NS_24const_host_device_scalarIT2_EEPKiS6_PKS3_S8_S4_PS3_21rocsparse_index_base_b,comdat
	.globl	_ZN9rocsparseL19gebsrmvn_2xn_kernelILj128ELj3ELj32EfEEvi20rocsparse_direction_NS_24const_host_device_scalarIT2_EEPKiS6_PKS3_S8_S4_PS3_21rocsparse_index_base_b ; -- Begin function _ZN9rocsparseL19gebsrmvn_2xn_kernelILj128ELj3ELj32EfEEvi20rocsparse_direction_NS_24const_host_device_scalarIT2_EEPKiS6_PKS3_S8_S4_PS3_21rocsparse_index_base_b
	.p2align	8
	.type	_ZN9rocsparseL19gebsrmvn_2xn_kernelILj128ELj3ELj32EfEEvi20rocsparse_direction_NS_24const_host_device_scalarIT2_EEPKiS6_PKS3_S8_S4_PS3_21rocsparse_index_base_b,@function
_ZN9rocsparseL19gebsrmvn_2xn_kernelILj128ELj3ELj32EfEEvi20rocsparse_direction_NS_24const_host_device_scalarIT2_EEPKiS6_PKS3_S8_S4_PS3_21rocsparse_index_base_b: ; @_ZN9rocsparseL19gebsrmvn_2xn_kernelILj128ELj3ELj32EfEEvi20rocsparse_direction_NS_24const_host_device_scalarIT2_EEPKiS6_PKS3_S8_S4_PS3_21rocsparse_index_base_b
; %bb.0:
	s_clause 0x2
	s_load_b64 s[18:19], s[0:1], 0x40
	s_load_b64 s[16:17], s[0:1], 0x8
	;; [unrolled: 1-line block ×3, first 2 shown]
	s_waitcnt lgkmcnt(0)
	s_bitcmp1_b32 s19, 0
	s_cselect_b32 s2, -1, 0
	s_delay_alu instid0(SALU_CYCLE_1)
	s_and_b32 vcc_lo, exec_lo, s2
	s_xor_b32 s2, s2, -1
	s_cbranch_vccnz .LBB8_2
; %bb.1:
	s_load_b32 s16, s[16:17], 0x0
.LBB8_2:
	s_and_not1_b32 vcc_lo, exec_lo, s2
	s_cbranch_vccnz .LBB8_4
; %bb.3:
	s_load_b32 s12, s[12:13], 0x0
.LBB8_4:
	s_waitcnt lgkmcnt(0)
	v_cmp_eq_f32_e64 s2, s16, 0
	v_cmp_eq_f32_e64 s3, s12, 1.0
	s_delay_alu instid0(VALU_DEP_1) | instskip(NEXT) | instid1(SALU_CYCLE_1)
	s_and_b32 s2, s2, s3
	s_and_b32 vcc_lo, exec_lo, s2
	s_cbranch_vccnz .LBB8_23
; %bb.5:
	s_load_b64 s[2:3], s[0:1], 0x0
	v_lshrrev_b32_e32 v1, 5, v0
	s_delay_alu instid0(VALU_DEP_1) | instskip(SKIP_1) | instid1(VALU_DEP_1)
	v_lshl_or_b32 v1, s15, 2, v1
	s_waitcnt lgkmcnt(0)
	v_cmp_gt_i32_e32 vcc_lo, s2, v1
	s_and_saveexec_b32 s2, vcc_lo
	s_cbranch_execz .LBB8_23
; %bb.6:
	s_load_b256 s[4:11], s[0:1], 0x10
	v_ashrrev_i32_e32 v2, 31, v1
	v_and_b32_e32 v0, 31, v0
	s_cmp_lg_u32 s3, 0
	s_delay_alu instid0(VALU_DEP_2) | instskip(SKIP_1) | instid1(VALU_DEP_1)
	v_lshlrev_b64 v[2:3], 2, v[1:2]
	s_waitcnt lgkmcnt(0)
	v_add_co_u32 v2, vcc_lo, s4, v2
	s_delay_alu instid0(VALU_DEP_2) | instskip(SKIP_4) | instid1(VALU_DEP_2)
	v_add_co_ci_u32_e32 v3, vcc_lo, s5, v3, vcc_lo
	global_load_b64 v[2:3], v[2:3], off
	s_waitcnt vmcnt(0)
	v_subrev_nc_u32_e32 v2, s18, v2
	v_subrev_nc_u32_e32 v10, s18, v3
	v_add_nc_u32_e32 v2, v2, v0
	s_delay_alu instid0(VALU_DEP_1)
	v_cmp_lt_i32_e64 s2, v2, v10
	s_cbranch_scc0 .LBB8_12
; %bb.7:
	v_dual_mov_b32 v8, 0 :: v_dual_mov_b32 v9, 0
	s_mov_b32 s3, 0
	s_delay_alu instid0(VALU_DEP_2)
	s_and_saveexec_b32 s4, s2
	s_cbranch_execz .LBB8_11
; %bb.8:
	v_dual_mov_b32 v4, 0 :: v_dual_mov_b32 v5, v2
	v_mul_lo_u32 v3, v2, 6
	s_mov_b32 s5, 0
	s_delay_alu instid0(VALU_DEP_2)
	v_mov_b32_e32 v8, v4
	v_mov_b32_e32 v9, v4
.LBB8_9:                                ; =>This Inner Loop Header: Depth=1
	v_ashrrev_i32_e32 v6, 31, v5
	s_delay_alu instid0(VALU_DEP_4) | instskip(SKIP_1) | instid1(VALU_DEP_3)
	v_dual_mov_b32 v12, v4 :: v_dual_add_nc_u32 v11, 2, v3
	v_dual_mov_b32 v14, v4 :: v_dual_add_nc_u32 v13, 4, v3
	v_lshlrev_b64 v[6:7], 2, v[5:6]
	v_add_nc_u32_e32 v5, 32, v5
	s_delay_alu instid0(VALU_DEP_4) | instskip(NEXT) | instid1(VALU_DEP_4)
	v_lshlrev_b64 v[11:12], 2, v[11:12]
	v_lshlrev_b64 v[13:14], 2, v[13:14]
	s_delay_alu instid0(VALU_DEP_4) | instskip(SKIP_4) | instid1(VALU_DEP_2)
	v_add_co_u32 v6, vcc_lo, s6, v6
	v_add_co_ci_u32_e32 v7, vcc_lo, s7, v7, vcc_lo
	global_load_b32 v16, v[6:7], off
	v_lshlrev_b64 v[6:7], 2, v[3:4]
	v_add_nc_u32_e32 v3, 0xc0, v3
	v_add_co_u32 v6, vcc_lo, s8, v6
	s_delay_alu instid0(VALU_DEP_3)
	v_add_co_ci_u32_e32 v7, vcc_lo, s9, v7, vcc_lo
	v_add_co_u32 v11, vcc_lo, s8, v11
	v_add_co_ci_u32_e32 v12, vcc_lo, s9, v12, vcc_lo
	v_add_co_u32 v20, vcc_lo, s8, v13
	v_add_co_ci_u32_e32 v21, vcc_lo, s9, v14, vcc_lo
	s_clause 0x1
	global_load_b64 v[6:7], v[6:7], off
	global_load_b64 v[11:12], v[11:12], off
	v_mov_b32_e32 v19, v4
	s_waitcnt vmcnt(2)
	v_subrev_nc_u32_e32 v13, s18, v16
	s_delay_alu instid0(VALU_DEP_1) | instskip(SKIP_1) | instid1(VALU_DEP_2)
	v_lshl_add_u32 v14, v13, 1, v13
	v_mov_b32_e32 v15, v4
	v_dual_mov_b32 v17, v4 :: v_dual_add_nc_u32 v18, 2, v14
	v_add_nc_u32_e32 v16, 1, v14
	s_delay_alu instid0(VALU_DEP_3) | instskip(NEXT) | instid1(VALU_DEP_2)
	v_lshlrev_b64 v[13:14], 2, v[14:15]
	v_lshlrev_b64 v[15:16], 2, v[16:17]
	s_delay_alu instid0(VALU_DEP_4) | instskip(NEXT) | instid1(VALU_DEP_3)
	v_lshlrev_b64 v[17:18], 2, v[18:19]
	v_add_co_u32 v13, vcc_lo, s10, v13
	s_delay_alu instid0(VALU_DEP_4)
	v_add_co_ci_u32_e32 v14, vcc_lo, s11, v14, vcc_lo
	global_load_b32 v19, v[13:14], off
	v_add_co_u32 v13, vcc_lo, s10, v15
	v_add_co_ci_u32_e32 v14, vcc_lo, s11, v16, vcc_lo
	v_add_co_u32 v15, vcc_lo, s10, v17
	v_add_co_ci_u32_e32 v16, vcc_lo, s11, v18, vcc_lo
	global_load_b32 v17, v[13:14], off
	global_load_b64 v[13:14], v[20:21], off
	global_load_b32 v15, v[15:16], off
	v_cmp_ge_i32_e32 vcc_lo, v5, v10
	s_or_b32 s5, vcc_lo, s5
	s_waitcnt vmcnt(3)
	v_fmac_f32_e32 v8, v6, v19
	v_fmac_f32_e32 v9, v7, v19
	s_waitcnt vmcnt(2)
	s_delay_alu instid0(VALU_DEP_2) | instskip(SKIP_1) | instid1(VALU_DEP_1)
	v_fmac_f32_e32 v8, v11, v17
	s_waitcnt vmcnt(0)
	v_dual_fmac_f32 v9, v12, v17 :: v_dual_fmac_f32 v8, v13, v15
	s_delay_alu instid0(VALU_DEP_1)
	v_fmac_f32_e32 v9, v14, v15
	s_and_not1_b32 exec_lo, exec_lo, s5
	s_cbranch_execnz .LBB8_9
; %bb.10:
	s_or_b32 exec_lo, exec_lo, s5
.LBB8_11:
	s_delay_alu instid0(SALU_CYCLE_1) | instskip(NEXT) | instid1(SALU_CYCLE_1)
	s_or_b32 exec_lo, exec_lo, s4
	s_and_not1_b32 vcc_lo, exec_lo, s3
	s_cbranch_vccz .LBB8_13
	s_branch .LBB8_18
.LBB8_12:
                                        ; implicit-def: $vgpr8
                                        ; implicit-def: $vgpr9
.LBB8_13:
	v_dual_mov_b32 v8, 0 :: v_dual_mov_b32 v9, 0
	s_delay_alu instid0(VALU_DEP_2)
	s_and_saveexec_b32 s3, s2
	s_cbranch_execz .LBB8_17
; %bb.14:
	v_mad_u64_u32 v[4:5], null, v2, 6, 5
	v_dual_mov_b32 v7, 0 :: v_dual_mov_b32 v8, 0
	v_mov_b32_e32 v9, 0
	s_mov_b32 s2, 0
.LBB8_15:                               ; =>This Inner Loop Header: Depth=1
	v_ashrrev_i32_e32 v3, 31, v2
	s_delay_alu instid0(VALU_DEP_3) | instskip(SKIP_1) | instid1(VALU_DEP_3)
	v_dual_mov_b32 v12, v7 :: v_dual_add_nc_u32 v11, -2, v4
	v_mov_b32_e32 v13, v7
	v_lshlrev_b64 v[5:6], 2, v[2:3]
	v_add_nc_u32_e32 v2, 32, v2
	s_delay_alu instid0(VALU_DEP_4) | instskip(NEXT) | instid1(VALU_DEP_3)
	v_lshlrev_b64 v[11:12], 2, v[11:12]
	v_add_co_u32 v5, vcc_lo, s6, v5
	s_delay_alu instid0(VALU_DEP_4) | instskip(SKIP_2) | instid1(VALU_DEP_1)
	v_add_co_ci_u32_e32 v6, vcc_lo, s7, v6, vcc_lo
	global_load_b32 v3, v[5:6], off
	v_add_nc_u32_e32 v6, -5, v4
	v_lshlrev_b64 v[14:15], 2, v[6:7]
	s_delay_alu instid0(VALU_DEP_1) | instskip(NEXT) | instid1(VALU_DEP_2)
	v_add_co_u32 v14, vcc_lo, s8, v14
	v_add_co_ci_u32_e32 v15, vcc_lo, s9, v15, vcc_lo
	v_add_co_u32 v11, vcc_lo, s8, v11
	v_add_co_ci_u32_e32 v12, vcc_lo, s9, v12, vcc_lo
	s_clause 0x1
	global_load_b64 v[14:15], v[14:15], off
	global_load_b32 v24, v[11:12], off
	s_waitcnt vmcnt(2)
	v_subrev_nc_u32_e32 v3, s18, v3
	s_delay_alu instid0(VALU_DEP_1) | instskip(SKIP_1) | instid1(VALU_DEP_2)
	v_lshl_add_u32 v12, v3, 1, v3
	v_mov_b32_e32 v5, v7
	v_lshlrev_b64 v[18:19], 2, v[12:13]
	s_delay_alu instid0(VALU_DEP_2) | instskip(NEXT) | instid1(VALU_DEP_1)
	v_lshlrev_b64 v[5:6], 2, v[4:5]
	v_add_co_u32 v16, vcc_lo, s8, v5
	s_delay_alu instid0(VALU_DEP_2) | instskip(SKIP_3) | instid1(VALU_DEP_3)
	v_add_co_ci_u32_e32 v17, vcc_lo, s9, v6, vcc_lo
	v_add_nc_u32_e32 v6, 1, v12
	v_add_co_u32 v18, vcc_lo, s10, v18
	v_add_co_ci_u32_e32 v19, vcc_lo, s11, v19, vcc_lo
	v_lshlrev_b64 v[20:21], 2, v[6:7]
	global_load_b32 v3, v[18:19], off
	v_add_nc_u32_e32 v6, -1, v4
	v_add_co_u32 v18, vcc_lo, s10, v20
	v_add_co_ci_u32_e32 v19, vcc_lo, s11, v21, vcc_lo
	global_load_b32 v13, v[18:19], off
	s_waitcnt vmcnt(1)
	v_fmac_f32_e32 v9, v24, v3
	v_lshlrev_b64 v[22:23], 2, v[6:7]
	v_add_nc_u32_e32 v6, -3, v4
	v_fmac_f32_e32 v8, v14, v3
	v_add_nc_u32_e32 v4, 0xc0, v4
	s_delay_alu instid0(VALU_DEP_3) | instskip(SKIP_3) | instid1(VALU_DEP_3)
	v_lshlrev_b64 v[20:21], 2, v[6:7]
	v_add_nc_u32_e32 v6, 2, v12
	v_add_co_u32 v11, vcc_lo, s8, v22
	v_add_co_ci_u32_e32 v12, vcc_lo, s9, v23, vcc_lo
	v_lshlrev_b64 v[5:6], 2, v[6:7]
	s_waitcnt vmcnt(0)
	v_fmac_f32_e32 v8, v15, v13
	global_load_b32 v18, v[11:12], off
	v_add_co_u32 v11, vcc_lo, s8, v20
	v_add_co_ci_u32_e32 v12, vcc_lo, s9, v21, vcc_lo
	v_add_co_u32 v5, vcc_lo, s10, v5
	v_add_co_ci_u32_e32 v6, vcc_lo, s11, v6, vcc_lo
	s_clause 0x1
	global_load_b32 v16, v[16:17], off
	global_load_b32 v11, v[11:12], off
	;; [unrolled: 1-line block ×3, first 2 shown]
	v_cmp_ge_i32_e32 vcc_lo, v2, v10
	s_or_b32 s2, vcc_lo, s2
	s_waitcnt vmcnt(3)
	v_fmac_f32_e32 v9, v18, v13
	s_waitcnt vmcnt(0)
	s_delay_alu instid0(VALU_DEP_1)
	v_fmac_f32_e32 v9, v16, v5
	v_fmac_f32_e32 v8, v11, v5
	s_and_not1_b32 exec_lo, exec_lo, s2
	s_cbranch_execnz .LBB8_15
; %bb.16:
	s_or_b32 exec_lo, exec_lo, s2
.LBB8_17:
	s_delay_alu instid0(SALU_CYCLE_1)
	s_or_b32 exec_lo, exec_lo, s3
.LBB8_18:
	v_mbcnt_lo_u32_b32 v2, -1, 0
	s_mov_b32 s2, -1
	s_delay_alu instid0(VALU_DEP_1) | instskip(SKIP_2) | instid1(VALU_DEP_3)
	v_xor_b32_e32 v3, 16, v2
	v_xor_b32_e32 v5, 8, v2
	;; [unrolled: 1-line block ×3, first 2 shown]
	v_cmp_gt_i32_e32 vcc_lo, 32, v3
	v_cndmask_b32_e32 v3, v2, v3, vcc_lo
	s_delay_alu instid0(VALU_DEP_4) | instskip(NEXT) | instid1(VALU_DEP_2)
	v_cmp_gt_i32_e32 vcc_lo, 32, v5
	v_lshlrev_b32_e32 v3, 2, v3
	v_cndmask_b32_e32 v5, v2, v5, vcc_lo
	v_cmp_gt_i32_e32 vcc_lo, 32, v7
	ds_bpermute_b32 v4, v3, v8
	v_lshlrev_b32_e32 v5, 2, v5
	v_cndmask_b32_e32 v7, v2, v7, vcc_lo
	s_waitcnt lgkmcnt(0)
	s_delay_alu instid0(VALU_DEP_1)
	v_dual_add_f32 v4, v8, v4 :: v_dual_lshlrev_b32 v7, 2, v7
	ds_bpermute_b32 v6, v5, v4
	s_waitcnt lgkmcnt(0)
	v_add_f32_e32 v4, v4, v6
	ds_bpermute_b32 v3, v3, v9
	s_waitcnt lgkmcnt(0)
	v_add_f32_e32 v3, v9, v3
	;; [unrolled: 3-line block ×3, first 2 shown]
	ds_bpermute_b32 v5, v7, v4
	ds_bpermute_b32 v6, v7, v3
	v_xor_b32_e32 v7, 2, v2
	s_delay_alu instid0(VALU_DEP_1) | instskip(SKIP_2) | instid1(VALU_DEP_1)
	v_cmp_gt_i32_e32 vcc_lo, 32, v7
	s_waitcnt lgkmcnt(1)
	v_dual_cndmask_b32 v7, v2, v7 :: v_dual_add_f32 v4, v4, v5
	v_lshlrev_b32_e32 v7, 2, v7
	s_waitcnt lgkmcnt(0)
	v_add_f32_e32 v3, v3, v6
	ds_bpermute_b32 v5, v7, v4
	ds_bpermute_b32 v6, v7, v3
	v_xor_b32_e32 v7, 1, v2
	s_delay_alu instid0(VALU_DEP_1) | instskip(SKIP_3) | instid1(VALU_DEP_2)
	v_cmp_gt_i32_e32 vcc_lo, 32, v7
	v_cndmask_b32_e32 v2, v2, v7, vcc_lo
	v_cmp_eq_u32_e32 vcc_lo, 31, v0
	s_waitcnt lgkmcnt(1)
	v_dual_add_f32 v2, v4, v5 :: v_dual_lshlrev_b32 v7, 2, v2
	s_waitcnt lgkmcnt(0)
	v_add_f32_e32 v3, v3, v6
	ds_bpermute_b32 v4, v7, v2
	ds_bpermute_b32 v5, v7, v3
	s_and_b32 exec_lo, exec_lo, vcc_lo
	s_cbranch_execz .LBB8_23
; %bb.19:
	s_load_b64 s[0:1], s[0:1], 0x38
	s_waitcnt lgkmcnt(0)
	v_dual_add_f32 v0, v2, v4 :: v_dual_add_f32 v3, v3, v5
	v_cmp_eq_f32_e64 s3, s12, 0
	s_delay_alu instid0(VALU_DEP_2) | instskip(SKIP_1) | instid1(VALU_DEP_3)
	v_dual_mul_f32 v2, s16, v0 :: v_dual_mul_f32 v3, s16, v3
	v_lshlrev_b32_e32 v0, 1, v1
	s_and_b32 vcc_lo, exec_lo, s3
	s_cbranch_vccz .LBB8_21
; %bb.20:
	s_delay_alu instid0(VALU_DEP_1) | instskip(SKIP_1) | instid1(VALU_DEP_1)
	v_ashrrev_i32_e32 v1, 31, v0
	s_mov_b32 s2, 0
	v_lshlrev_b64 v[4:5], 2, v[0:1]
	s_delay_alu instid0(VALU_DEP_1) | instskip(NEXT) | instid1(VALU_DEP_2)
	v_add_co_u32 v4, vcc_lo, s0, v4
	v_add_co_ci_u32_e32 v5, vcc_lo, s1, v5, vcc_lo
	global_store_b64 v[4:5], v[2:3], off
.LBB8_21:
	s_and_not1_b32 vcc_lo, exec_lo, s2
	s_cbranch_vccnz .LBB8_23
; %bb.22:
	v_ashrrev_i32_e32 v1, 31, v0
	s_delay_alu instid0(VALU_DEP_1) | instskip(NEXT) | instid1(VALU_DEP_1)
	v_lshlrev_b64 v[0:1], 2, v[0:1]
	v_add_co_u32 v0, vcc_lo, s0, v0
	s_delay_alu instid0(VALU_DEP_2)
	v_add_co_ci_u32_e32 v1, vcc_lo, s1, v1, vcc_lo
	global_load_b64 v[4:5], v[0:1], off
	s_waitcnt vmcnt(0)
	v_dual_fmac_f32 v2, s12, v4 :: v_dual_fmac_f32 v3, s12, v5
	global_store_b64 v[0:1], v[2:3], off
.LBB8_23:
	s_nop 0
	s_sendmsg sendmsg(MSG_DEALLOC_VGPRS)
	s_endpgm
	.section	.rodata,"a",@progbits
	.p2align	6, 0x0
	.amdhsa_kernel _ZN9rocsparseL19gebsrmvn_2xn_kernelILj128ELj3ELj32EfEEvi20rocsparse_direction_NS_24const_host_device_scalarIT2_EEPKiS6_PKS3_S8_S4_PS3_21rocsparse_index_base_b
		.amdhsa_group_segment_fixed_size 0
		.amdhsa_private_segment_fixed_size 0
		.amdhsa_kernarg_size 72
		.amdhsa_user_sgpr_count 15
		.amdhsa_user_sgpr_dispatch_ptr 0
		.amdhsa_user_sgpr_queue_ptr 0
		.amdhsa_user_sgpr_kernarg_segment_ptr 1
		.amdhsa_user_sgpr_dispatch_id 0
		.amdhsa_user_sgpr_private_segment_size 0
		.amdhsa_wavefront_size32 1
		.amdhsa_uses_dynamic_stack 0
		.amdhsa_enable_private_segment 0
		.amdhsa_system_sgpr_workgroup_id_x 1
		.amdhsa_system_sgpr_workgroup_id_y 0
		.amdhsa_system_sgpr_workgroup_id_z 0
		.amdhsa_system_sgpr_workgroup_info 0
		.amdhsa_system_vgpr_workitem_id 0
		.amdhsa_next_free_vgpr 25
		.amdhsa_next_free_sgpr 20
		.amdhsa_reserve_vcc 1
		.amdhsa_float_round_mode_32 0
		.amdhsa_float_round_mode_16_64 0
		.amdhsa_float_denorm_mode_32 3
		.amdhsa_float_denorm_mode_16_64 3
		.amdhsa_dx10_clamp 1
		.amdhsa_ieee_mode 1
		.amdhsa_fp16_overflow 0
		.amdhsa_workgroup_processor_mode 1
		.amdhsa_memory_ordered 1
		.amdhsa_forward_progress 0
		.amdhsa_shared_vgpr_count 0
		.amdhsa_exception_fp_ieee_invalid_op 0
		.amdhsa_exception_fp_denorm_src 0
		.amdhsa_exception_fp_ieee_div_zero 0
		.amdhsa_exception_fp_ieee_overflow 0
		.amdhsa_exception_fp_ieee_underflow 0
		.amdhsa_exception_fp_ieee_inexact 0
		.amdhsa_exception_int_div_zero 0
	.end_amdhsa_kernel
	.section	.text._ZN9rocsparseL19gebsrmvn_2xn_kernelILj128ELj3ELj32EfEEvi20rocsparse_direction_NS_24const_host_device_scalarIT2_EEPKiS6_PKS3_S8_S4_PS3_21rocsparse_index_base_b,"axG",@progbits,_ZN9rocsparseL19gebsrmvn_2xn_kernelILj128ELj3ELj32EfEEvi20rocsparse_direction_NS_24const_host_device_scalarIT2_EEPKiS6_PKS3_S8_S4_PS3_21rocsparse_index_base_b,comdat
.Lfunc_end8:
	.size	_ZN9rocsparseL19gebsrmvn_2xn_kernelILj128ELj3ELj32EfEEvi20rocsparse_direction_NS_24const_host_device_scalarIT2_EEPKiS6_PKS3_S8_S4_PS3_21rocsparse_index_base_b, .Lfunc_end8-_ZN9rocsparseL19gebsrmvn_2xn_kernelILj128ELj3ELj32EfEEvi20rocsparse_direction_NS_24const_host_device_scalarIT2_EEPKiS6_PKS3_S8_S4_PS3_21rocsparse_index_base_b
                                        ; -- End function
	.section	.AMDGPU.csdata,"",@progbits
; Kernel info:
; codeLenInByte = 1608
; NumSgprs: 22
; NumVgprs: 25
; ScratchSize: 0
; MemoryBound: 0
; FloatMode: 240
; IeeeMode: 1
; LDSByteSize: 0 bytes/workgroup (compile time only)
; SGPRBlocks: 2
; VGPRBlocks: 3
; NumSGPRsForWavesPerEU: 22
; NumVGPRsForWavesPerEU: 25
; Occupancy: 16
; WaveLimiterHint : 1
; COMPUTE_PGM_RSRC2:SCRATCH_EN: 0
; COMPUTE_PGM_RSRC2:USER_SGPR: 15
; COMPUTE_PGM_RSRC2:TRAP_HANDLER: 0
; COMPUTE_PGM_RSRC2:TGID_X_EN: 1
; COMPUTE_PGM_RSRC2:TGID_Y_EN: 0
; COMPUTE_PGM_RSRC2:TGID_Z_EN: 0
; COMPUTE_PGM_RSRC2:TIDIG_COMP_CNT: 0
	.section	.text._ZN9rocsparseL19gebsrmvn_2xn_kernelILj128ELj3ELj64EfEEvi20rocsparse_direction_NS_24const_host_device_scalarIT2_EEPKiS6_PKS3_S8_S4_PS3_21rocsparse_index_base_b,"axG",@progbits,_ZN9rocsparseL19gebsrmvn_2xn_kernelILj128ELj3ELj64EfEEvi20rocsparse_direction_NS_24const_host_device_scalarIT2_EEPKiS6_PKS3_S8_S4_PS3_21rocsparse_index_base_b,comdat
	.globl	_ZN9rocsparseL19gebsrmvn_2xn_kernelILj128ELj3ELj64EfEEvi20rocsparse_direction_NS_24const_host_device_scalarIT2_EEPKiS6_PKS3_S8_S4_PS3_21rocsparse_index_base_b ; -- Begin function _ZN9rocsparseL19gebsrmvn_2xn_kernelILj128ELj3ELj64EfEEvi20rocsparse_direction_NS_24const_host_device_scalarIT2_EEPKiS6_PKS3_S8_S4_PS3_21rocsparse_index_base_b
	.p2align	8
	.type	_ZN9rocsparseL19gebsrmvn_2xn_kernelILj128ELj3ELj64EfEEvi20rocsparse_direction_NS_24const_host_device_scalarIT2_EEPKiS6_PKS3_S8_S4_PS3_21rocsparse_index_base_b,@function
_ZN9rocsparseL19gebsrmvn_2xn_kernelILj128ELj3ELj64EfEEvi20rocsparse_direction_NS_24const_host_device_scalarIT2_EEPKiS6_PKS3_S8_S4_PS3_21rocsparse_index_base_b: ; @_ZN9rocsparseL19gebsrmvn_2xn_kernelILj128ELj3ELj64EfEEvi20rocsparse_direction_NS_24const_host_device_scalarIT2_EEPKiS6_PKS3_S8_S4_PS3_21rocsparse_index_base_b
; %bb.0:
	s_clause 0x2
	s_load_b64 s[18:19], s[0:1], 0x40
	s_load_b64 s[16:17], s[0:1], 0x8
	;; [unrolled: 1-line block ×3, first 2 shown]
	s_waitcnt lgkmcnt(0)
	s_bitcmp1_b32 s19, 0
	s_cselect_b32 s2, -1, 0
	s_delay_alu instid0(SALU_CYCLE_1)
	s_and_b32 vcc_lo, exec_lo, s2
	s_xor_b32 s2, s2, -1
	s_cbranch_vccnz .LBB9_2
; %bb.1:
	s_load_b32 s16, s[16:17], 0x0
.LBB9_2:
	s_and_not1_b32 vcc_lo, exec_lo, s2
	s_cbranch_vccnz .LBB9_4
; %bb.3:
	s_load_b32 s12, s[12:13], 0x0
.LBB9_4:
	s_waitcnt lgkmcnt(0)
	v_cmp_eq_f32_e64 s2, s16, 0
	v_cmp_eq_f32_e64 s3, s12, 1.0
	s_delay_alu instid0(VALU_DEP_1) | instskip(NEXT) | instid1(SALU_CYCLE_1)
	s_and_b32 s2, s2, s3
	s_and_b32 vcc_lo, exec_lo, s2
	s_cbranch_vccnz .LBB9_23
; %bb.5:
	s_load_b64 s[2:3], s[0:1], 0x0
	v_lshrrev_b32_e32 v1, 6, v0
	s_delay_alu instid0(VALU_DEP_1) | instskip(SKIP_1) | instid1(VALU_DEP_1)
	v_lshl_or_b32 v1, s15, 1, v1
	s_waitcnt lgkmcnt(0)
	v_cmp_gt_i32_e32 vcc_lo, s2, v1
	s_and_saveexec_b32 s2, vcc_lo
	s_cbranch_execz .LBB9_23
; %bb.6:
	s_load_b256 s[4:11], s[0:1], 0x10
	v_ashrrev_i32_e32 v2, 31, v1
	v_and_b32_e32 v0, 63, v0
	s_cmp_lg_u32 s3, 0
	s_delay_alu instid0(VALU_DEP_2) | instskip(SKIP_1) | instid1(VALU_DEP_1)
	v_lshlrev_b64 v[2:3], 2, v[1:2]
	s_waitcnt lgkmcnt(0)
	v_add_co_u32 v2, vcc_lo, s4, v2
	s_delay_alu instid0(VALU_DEP_2) | instskip(SKIP_4) | instid1(VALU_DEP_2)
	v_add_co_ci_u32_e32 v3, vcc_lo, s5, v3, vcc_lo
	global_load_b64 v[2:3], v[2:3], off
	s_waitcnt vmcnt(0)
	v_subrev_nc_u32_e32 v2, s18, v2
	v_subrev_nc_u32_e32 v10, s18, v3
	v_add_nc_u32_e32 v2, v2, v0
	s_delay_alu instid0(VALU_DEP_1)
	v_cmp_lt_i32_e64 s2, v2, v10
	s_cbranch_scc0 .LBB9_12
; %bb.7:
	v_dual_mov_b32 v8, 0 :: v_dual_mov_b32 v9, 0
	s_mov_b32 s3, 0
	s_delay_alu instid0(VALU_DEP_2)
	s_and_saveexec_b32 s4, s2
	s_cbranch_execz .LBB9_11
; %bb.8:
	v_dual_mov_b32 v4, 0 :: v_dual_mov_b32 v5, v2
	v_mul_lo_u32 v3, v2, 6
	s_mov_b32 s5, 0
	s_delay_alu instid0(VALU_DEP_2)
	v_mov_b32_e32 v8, v4
	v_mov_b32_e32 v9, v4
.LBB9_9:                                ; =>This Inner Loop Header: Depth=1
	v_ashrrev_i32_e32 v6, 31, v5
	s_delay_alu instid0(VALU_DEP_4) | instskip(SKIP_1) | instid1(VALU_DEP_3)
	v_dual_mov_b32 v12, v4 :: v_dual_add_nc_u32 v11, 2, v3
	v_dual_mov_b32 v14, v4 :: v_dual_add_nc_u32 v13, 4, v3
	v_lshlrev_b64 v[6:7], 2, v[5:6]
	v_add_nc_u32_e32 v5, 64, v5
	s_delay_alu instid0(VALU_DEP_4) | instskip(NEXT) | instid1(VALU_DEP_4)
	v_lshlrev_b64 v[11:12], 2, v[11:12]
	v_lshlrev_b64 v[13:14], 2, v[13:14]
	s_delay_alu instid0(VALU_DEP_4) | instskip(SKIP_4) | instid1(VALU_DEP_2)
	v_add_co_u32 v6, vcc_lo, s6, v6
	v_add_co_ci_u32_e32 v7, vcc_lo, s7, v7, vcc_lo
	global_load_b32 v16, v[6:7], off
	v_lshlrev_b64 v[6:7], 2, v[3:4]
	v_add_nc_u32_e32 v3, 0x180, v3
	v_add_co_u32 v6, vcc_lo, s8, v6
	s_delay_alu instid0(VALU_DEP_3)
	v_add_co_ci_u32_e32 v7, vcc_lo, s9, v7, vcc_lo
	v_add_co_u32 v11, vcc_lo, s8, v11
	v_add_co_ci_u32_e32 v12, vcc_lo, s9, v12, vcc_lo
	v_add_co_u32 v20, vcc_lo, s8, v13
	v_add_co_ci_u32_e32 v21, vcc_lo, s9, v14, vcc_lo
	s_clause 0x1
	global_load_b64 v[6:7], v[6:7], off
	global_load_b64 v[11:12], v[11:12], off
	v_mov_b32_e32 v19, v4
	s_waitcnt vmcnt(2)
	v_subrev_nc_u32_e32 v13, s18, v16
	s_delay_alu instid0(VALU_DEP_1) | instskip(SKIP_1) | instid1(VALU_DEP_2)
	v_lshl_add_u32 v14, v13, 1, v13
	v_mov_b32_e32 v15, v4
	v_dual_mov_b32 v17, v4 :: v_dual_add_nc_u32 v18, 2, v14
	v_add_nc_u32_e32 v16, 1, v14
	s_delay_alu instid0(VALU_DEP_3) | instskip(NEXT) | instid1(VALU_DEP_2)
	v_lshlrev_b64 v[13:14], 2, v[14:15]
	v_lshlrev_b64 v[15:16], 2, v[16:17]
	s_delay_alu instid0(VALU_DEP_4) | instskip(NEXT) | instid1(VALU_DEP_3)
	v_lshlrev_b64 v[17:18], 2, v[18:19]
	v_add_co_u32 v13, vcc_lo, s10, v13
	s_delay_alu instid0(VALU_DEP_4)
	v_add_co_ci_u32_e32 v14, vcc_lo, s11, v14, vcc_lo
	global_load_b32 v19, v[13:14], off
	v_add_co_u32 v13, vcc_lo, s10, v15
	v_add_co_ci_u32_e32 v14, vcc_lo, s11, v16, vcc_lo
	v_add_co_u32 v15, vcc_lo, s10, v17
	v_add_co_ci_u32_e32 v16, vcc_lo, s11, v18, vcc_lo
	global_load_b32 v17, v[13:14], off
	global_load_b64 v[13:14], v[20:21], off
	global_load_b32 v15, v[15:16], off
	v_cmp_ge_i32_e32 vcc_lo, v5, v10
	s_or_b32 s5, vcc_lo, s5
	s_waitcnt vmcnt(3)
	v_fmac_f32_e32 v8, v6, v19
	v_fmac_f32_e32 v9, v7, v19
	s_waitcnt vmcnt(2)
	s_delay_alu instid0(VALU_DEP_2) | instskip(SKIP_1) | instid1(VALU_DEP_1)
	v_fmac_f32_e32 v8, v11, v17
	s_waitcnt vmcnt(0)
	v_dual_fmac_f32 v9, v12, v17 :: v_dual_fmac_f32 v8, v13, v15
	s_delay_alu instid0(VALU_DEP_1)
	v_fmac_f32_e32 v9, v14, v15
	s_and_not1_b32 exec_lo, exec_lo, s5
	s_cbranch_execnz .LBB9_9
; %bb.10:
	s_or_b32 exec_lo, exec_lo, s5
.LBB9_11:
	s_delay_alu instid0(SALU_CYCLE_1) | instskip(NEXT) | instid1(SALU_CYCLE_1)
	s_or_b32 exec_lo, exec_lo, s4
	s_and_not1_b32 vcc_lo, exec_lo, s3
	s_cbranch_vccz .LBB9_13
	s_branch .LBB9_18
.LBB9_12:
                                        ; implicit-def: $vgpr8
                                        ; implicit-def: $vgpr9
.LBB9_13:
	v_dual_mov_b32 v8, 0 :: v_dual_mov_b32 v9, 0
	s_delay_alu instid0(VALU_DEP_2)
	s_and_saveexec_b32 s3, s2
	s_cbranch_execz .LBB9_17
; %bb.14:
	v_mad_u64_u32 v[4:5], null, v2, 6, 5
	v_dual_mov_b32 v7, 0 :: v_dual_mov_b32 v8, 0
	v_mov_b32_e32 v9, 0
	s_mov_b32 s2, 0
.LBB9_15:                               ; =>This Inner Loop Header: Depth=1
	v_ashrrev_i32_e32 v3, 31, v2
	s_delay_alu instid0(VALU_DEP_3) | instskip(SKIP_1) | instid1(VALU_DEP_3)
	v_dual_mov_b32 v12, v7 :: v_dual_add_nc_u32 v11, -2, v4
	v_mov_b32_e32 v13, v7
	v_lshlrev_b64 v[5:6], 2, v[2:3]
	v_add_nc_u32_e32 v2, 64, v2
	s_delay_alu instid0(VALU_DEP_4) | instskip(NEXT) | instid1(VALU_DEP_3)
	v_lshlrev_b64 v[11:12], 2, v[11:12]
	v_add_co_u32 v5, vcc_lo, s6, v5
	s_delay_alu instid0(VALU_DEP_4) | instskip(SKIP_2) | instid1(VALU_DEP_1)
	v_add_co_ci_u32_e32 v6, vcc_lo, s7, v6, vcc_lo
	global_load_b32 v3, v[5:6], off
	v_add_nc_u32_e32 v6, -5, v4
	v_lshlrev_b64 v[14:15], 2, v[6:7]
	s_delay_alu instid0(VALU_DEP_1) | instskip(NEXT) | instid1(VALU_DEP_2)
	v_add_co_u32 v14, vcc_lo, s8, v14
	v_add_co_ci_u32_e32 v15, vcc_lo, s9, v15, vcc_lo
	v_add_co_u32 v11, vcc_lo, s8, v11
	v_add_co_ci_u32_e32 v12, vcc_lo, s9, v12, vcc_lo
	s_clause 0x1
	global_load_b64 v[14:15], v[14:15], off
	global_load_b32 v24, v[11:12], off
	s_waitcnt vmcnt(2)
	v_subrev_nc_u32_e32 v3, s18, v3
	s_delay_alu instid0(VALU_DEP_1) | instskip(SKIP_1) | instid1(VALU_DEP_2)
	v_lshl_add_u32 v12, v3, 1, v3
	v_mov_b32_e32 v5, v7
	v_lshlrev_b64 v[18:19], 2, v[12:13]
	s_delay_alu instid0(VALU_DEP_2) | instskip(NEXT) | instid1(VALU_DEP_1)
	v_lshlrev_b64 v[5:6], 2, v[4:5]
	v_add_co_u32 v16, vcc_lo, s8, v5
	s_delay_alu instid0(VALU_DEP_2) | instskip(SKIP_3) | instid1(VALU_DEP_3)
	v_add_co_ci_u32_e32 v17, vcc_lo, s9, v6, vcc_lo
	v_add_nc_u32_e32 v6, 1, v12
	v_add_co_u32 v18, vcc_lo, s10, v18
	v_add_co_ci_u32_e32 v19, vcc_lo, s11, v19, vcc_lo
	v_lshlrev_b64 v[20:21], 2, v[6:7]
	global_load_b32 v3, v[18:19], off
	v_add_nc_u32_e32 v6, -1, v4
	v_add_co_u32 v18, vcc_lo, s10, v20
	v_add_co_ci_u32_e32 v19, vcc_lo, s11, v21, vcc_lo
	global_load_b32 v13, v[18:19], off
	s_waitcnt vmcnt(1)
	v_fmac_f32_e32 v9, v24, v3
	v_lshlrev_b64 v[22:23], 2, v[6:7]
	v_add_nc_u32_e32 v6, -3, v4
	v_fmac_f32_e32 v8, v14, v3
	v_add_nc_u32_e32 v4, 0x180, v4
	s_delay_alu instid0(VALU_DEP_3) | instskip(SKIP_3) | instid1(VALU_DEP_3)
	v_lshlrev_b64 v[20:21], 2, v[6:7]
	v_add_nc_u32_e32 v6, 2, v12
	v_add_co_u32 v11, vcc_lo, s8, v22
	v_add_co_ci_u32_e32 v12, vcc_lo, s9, v23, vcc_lo
	v_lshlrev_b64 v[5:6], 2, v[6:7]
	s_waitcnt vmcnt(0)
	v_fmac_f32_e32 v8, v15, v13
	global_load_b32 v18, v[11:12], off
	v_add_co_u32 v11, vcc_lo, s8, v20
	v_add_co_ci_u32_e32 v12, vcc_lo, s9, v21, vcc_lo
	v_add_co_u32 v5, vcc_lo, s10, v5
	v_add_co_ci_u32_e32 v6, vcc_lo, s11, v6, vcc_lo
	s_clause 0x1
	global_load_b32 v16, v[16:17], off
	global_load_b32 v11, v[11:12], off
	;; [unrolled: 1-line block ×3, first 2 shown]
	v_cmp_ge_i32_e32 vcc_lo, v2, v10
	s_or_b32 s2, vcc_lo, s2
	s_waitcnt vmcnt(3)
	v_fmac_f32_e32 v9, v18, v13
	s_waitcnt vmcnt(0)
	s_delay_alu instid0(VALU_DEP_1)
	v_fmac_f32_e32 v9, v16, v5
	v_fmac_f32_e32 v8, v11, v5
	s_and_not1_b32 exec_lo, exec_lo, s2
	s_cbranch_execnz .LBB9_15
; %bb.16:
	s_or_b32 exec_lo, exec_lo, s2
.LBB9_17:
	s_delay_alu instid0(SALU_CYCLE_1)
	s_or_b32 exec_lo, exec_lo, s3
.LBB9_18:
	v_mbcnt_lo_u32_b32 v2, -1, 0
	s_mov_b32 s2, -1
	s_delay_alu instid0(VALU_DEP_1) | instskip(SKIP_2) | instid1(VALU_DEP_3)
	v_or_b32_e32 v3, 32, v2
	v_xor_b32_e32 v5, 16, v2
	v_xor_b32_e32 v7, 8, v2
	v_cmp_gt_i32_e32 vcc_lo, 32, v3
	v_cndmask_b32_e32 v3, v2, v3, vcc_lo
	s_delay_alu instid0(VALU_DEP_4) | instskip(NEXT) | instid1(VALU_DEP_2)
	v_cmp_gt_i32_e32 vcc_lo, 32, v5
	v_lshlrev_b32_e32 v3, 2, v3
	v_cndmask_b32_e32 v5, v2, v5, vcc_lo
	v_cmp_gt_i32_e32 vcc_lo, 32, v7
	ds_bpermute_b32 v4, v3, v8
	v_lshlrev_b32_e32 v5, 2, v5
	v_cndmask_b32_e32 v7, v2, v7, vcc_lo
	s_waitcnt lgkmcnt(0)
	s_delay_alu instid0(VALU_DEP_1)
	v_dual_add_f32 v4, v8, v4 :: v_dual_lshlrev_b32 v7, 2, v7
	ds_bpermute_b32 v6, v5, v4
	s_waitcnt lgkmcnt(0)
	v_add_f32_e32 v4, v4, v6
	ds_bpermute_b32 v3, v3, v9
	s_waitcnt lgkmcnt(0)
	v_add_f32_e32 v3, v9, v3
	;; [unrolled: 3-line block ×3, first 2 shown]
	ds_bpermute_b32 v5, v7, v4
	ds_bpermute_b32 v6, v7, v3
	v_xor_b32_e32 v7, 4, v2
	s_delay_alu instid0(VALU_DEP_1) | instskip(SKIP_2) | instid1(VALU_DEP_1)
	v_cmp_gt_i32_e32 vcc_lo, 32, v7
	s_waitcnt lgkmcnt(1)
	v_dual_cndmask_b32 v7, v2, v7 :: v_dual_add_f32 v4, v4, v5
	v_lshlrev_b32_e32 v7, 2, v7
	s_waitcnt lgkmcnt(0)
	v_add_f32_e32 v3, v3, v6
	ds_bpermute_b32 v5, v7, v4
	ds_bpermute_b32 v6, v7, v3
	v_xor_b32_e32 v7, 2, v2
	s_delay_alu instid0(VALU_DEP_1) | instskip(SKIP_2) | instid1(VALU_DEP_1)
	v_cmp_gt_i32_e32 vcc_lo, 32, v7
	v_cndmask_b32_e32 v7, v2, v7, vcc_lo
	s_waitcnt lgkmcnt(1)
	v_dual_add_f32 v4, v4, v5 :: v_dual_lshlrev_b32 v7, 2, v7
	s_waitcnt lgkmcnt(0)
	v_add_f32_e32 v3, v3, v6
	ds_bpermute_b32 v5, v7, v4
	ds_bpermute_b32 v6, v7, v3
	v_xor_b32_e32 v7, 1, v2
	s_delay_alu instid0(VALU_DEP_1) | instskip(SKIP_3) | instid1(VALU_DEP_2)
	v_cmp_gt_i32_e32 vcc_lo, 32, v7
	v_cndmask_b32_e32 v2, v2, v7, vcc_lo
	v_cmp_eq_u32_e32 vcc_lo, 63, v0
	s_waitcnt lgkmcnt(1)
	v_dual_add_f32 v2, v4, v5 :: v_dual_lshlrev_b32 v7, 2, v2
	s_waitcnt lgkmcnt(0)
	v_add_f32_e32 v3, v3, v6
	ds_bpermute_b32 v4, v7, v2
	ds_bpermute_b32 v5, v7, v3
	s_and_b32 exec_lo, exec_lo, vcc_lo
	s_cbranch_execz .LBB9_23
; %bb.19:
	s_load_b64 s[0:1], s[0:1], 0x38
	s_waitcnt lgkmcnt(0)
	v_dual_add_f32 v0, v2, v4 :: v_dual_add_f32 v3, v3, v5
	v_cmp_eq_f32_e64 s3, s12, 0
	s_delay_alu instid0(VALU_DEP_2) | instskip(SKIP_1) | instid1(VALU_DEP_3)
	v_dual_mul_f32 v2, s16, v0 :: v_dual_mul_f32 v3, s16, v3
	v_lshlrev_b32_e32 v0, 1, v1
	s_and_b32 vcc_lo, exec_lo, s3
	s_cbranch_vccz .LBB9_21
; %bb.20:
	s_delay_alu instid0(VALU_DEP_1) | instskip(SKIP_1) | instid1(VALU_DEP_1)
	v_ashrrev_i32_e32 v1, 31, v0
	s_mov_b32 s2, 0
	v_lshlrev_b64 v[4:5], 2, v[0:1]
	s_delay_alu instid0(VALU_DEP_1) | instskip(NEXT) | instid1(VALU_DEP_2)
	v_add_co_u32 v4, vcc_lo, s0, v4
	v_add_co_ci_u32_e32 v5, vcc_lo, s1, v5, vcc_lo
	global_store_b64 v[4:5], v[2:3], off
.LBB9_21:
	s_and_not1_b32 vcc_lo, exec_lo, s2
	s_cbranch_vccnz .LBB9_23
; %bb.22:
	v_ashrrev_i32_e32 v1, 31, v0
	s_delay_alu instid0(VALU_DEP_1) | instskip(NEXT) | instid1(VALU_DEP_1)
	v_lshlrev_b64 v[0:1], 2, v[0:1]
	v_add_co_u32 v0, vcc_lo, s0, v0
	s_delay_alu instid0(VALU_DEP_2)
	v_add_co_ci_u32_e32 v1, vcc_lo, s1, v1, vcc_lo
	global_load_b64 v[4:5], v[0:1], off
	s_waitcnt vmcnt(0)
	v_dual_fmac_f32 v2, s12, v4 :: v_dual_fmac_f32 v3, s12, v5
	global_store_b64 v[0:1], v[2:3], off
.LBB9_23:
	s_nop 0
	s_sendmsg sendmsg(MSG_DEALLOC_VGPRS)
	s_endpgm
	.section	.rodata,"a",@progbits
	.p2align	6, 0x0
	.amdhsa_kernel _ZN9rocsparseL19gebsrmvn_2xn_kernelILj128ELj3ELj64EfEEvi20rocsparse_direction_NS_24const_host_device_scalarIT2_EEPKiS6_PKS3_S8_S4_PS3_21rocsparse_index_base_b
		.amdhsa_group_segment_fixed_size 0
		.amdhsa_private_segment_fixed_size 0
		.amdhsa_kernarg_size 72
		.amdhsa_user_sgpr_count 15
		.amdhsa_user_sgpr_dispatch_ptr 0
		.amdhsa_user_sgpr_queue_ptr 0
		.amdhsa_user_sgpr_kernarg_segment_ptr 1
		.amdhsa_user_sgpr_dispatch_id 0
		.amdhsa_user_sgpr_private_segment_size 0
		.amdhsa_wavefront_size32 1
		.amdhsa_uses_dynamic_stack 0
		.amdhsa_enable_private_segment 0
		.amdhsa_system_sgpr_workgroup_id_x 1
		.amdhsa_system_sgpr_workgroup_id_y 0
		.amdhsa_system_sgpr_workgroup_id_z 0
		.amdhsa_system_sgpr_workgroup_info 0
		.amdhsa_system_vgpr_workitem_id 0
		.amdhsa_next_free_vgpr 25
		.amdhsa_next_free_sgpr 20
		.amdhsa_reserve_vcc 1
		.amdhsa_float_round_mode_32 0
		.amdhsa_float_round_mode_16_64 0
		.amdhsa_float_denorm_mode_32 3
		.amdhsa_float_denorm_mode_16_64 3
		.amdhsa_dx10_clamp 1
		.amdhsa_ieee_mode 1
		.amdhsa_fp16_overflow 0
		.amdhsa_workgroup_processor_mode 1
		.amdhsa_memory_ordered 1
		.amdhsa_forward_progress 0
		.amdhsa_shared_vgpr_count 0
		.amdhsa_exception_fp_ieee_invalid_op 0
		.amdhsa_exception_fp_denorm_src 0
		.amdhsa_exception_fp_ieee_div_zero 0
		.amdhsa_exception_fp_ieee_overflow 0
		.amdhsa_exception_fp_ieee_underflow 0
		.amdhsa_exception_fp_ieee_inexact 0
		.amdhsa_exception_int_div_zero 0
	.end_amdhsa_kernel
	.section	.text._ZN9rocsparseL19gebsrmvn_2xn_kernelILj128ELj3ELj64EfEEvi20rocsparse_direction_NS_24const_host_device_scalarIT2_EEPKiS6_PKS3_S8_S4_PS3_21rocsparse_index_base_b,"axG",@progbits,_ZN9rocsparseL19gebsrmvn_2xn_kernelILj128ELj3ELj64EfEEvi20rocsparse_direction_NS_24const_host_device_scalarIT2_EEPKiS6_PKS3_S8_S4_PS3_21rocsparse_index_base_b,comdat
.Lfunc_end9:
	.size	_ZN9rocsparseL19gebsrmvn_2xn_kernelILj128ELj3ELj64EfEEvi20rocsparse_direction_NS_24const_host_device_scalarIT2_EEPKiS6_PKS3_S8_S4_PS3_21rocsparse_index_base_b, .Lfunc_end9-_ZN9rocsparseL19gebsrmvn_2xn_kernelILj128ELj3ELj64EfEEvi20rocsparse_direction_NS_24const_host_device_scalarIT2_EEPKiS6_PKS3_S8_S4_PS3_21rocsparse_index_base_b
                                        ; -- End function
	.section	.AMDGPU.csdata,"",@progbits
; Kernel info:
; codeLenInByte = 1660
; NumSgprs: 22
; NumVgprs: 25
; ScratchSize: 0
; MemoryBound: 0
; FloatMode: 240
; IeeeMode: 1
; LDSByteSize: 0 bytes/workgroup (compile time only)
; SGPRBlocks: 2
; VGPRBlocks: 3
; NumSGPRsForWavesPerEU: 22
; NumVGPRsForWavesPerEU: 25
; Occupancy: 16
; WaveLimiterHint : 1
; COMPUTE_PGM_RSRC2:SCRATCH_EN: 0
; COMPUTE_PGM_RSRC2:USER_SGPR: 15
; COMPUTE_PGM_RSRC2:TRAP_HANDLER: 0
; COMPUTE_PGM_RSRC2:TGID_X_EN: 1
; COMPUTE_PGM_RSRC2:TGID_Y_EN: 0
; COMPUTE_PGM_RSRC2:TGID_Z_EN: 0
; COMPUTE_PGM_RSRC2:TIDIG_COMP_CNT: 0
	.section	.text._ZN9rocsparseL19gebsrmvn_2xn_kernelILj128ELj4ELj4EfEEvi20rocsparse_direction_NS_24const_host_device_scalarIT2_EEPKiS6_PKS3_S8_S4_PS3_21rocsparse_index_base_b,"axG",@progbits,_ZN9rocsparseL19gebsrmvn_2xn_kernelILj128ELj4ELj4EfEEvi20rocsparse_direction_NS_24const_host_device_scalarIT2_EEPKiS6_PKS3_S8_S4_PS3_21rocsparse_index_base_b,comdat
	.globl	_ZN9rocsparseL19gebsrmvn_2xn_kernelILj128ELj4ELj4EfEEvi20rocsparse_direction_NS_24const_host_device_scalarIT2_EEPKiS6_PKS3_S8_S4_PS3_21rocsparse_index_base_b ; -- Begin function _ZN9rocsparseL19gebsrmvn_2xn_kernelILj128ELj4ELj4EfEEvi20rocsparse_direction_NS_24const_host_device_scalarIT2_EEPKiS6_PKS3_S8_S4_PS3_21rocsparse_index_base_b
	.p2align	8
	.type	_ZN9rocsparseL19gebsrmvn_2xn_kernelILj128ELj4ELj4EfEEvi20rocsparse_direction_NS_24const_host_device_scalarIT2_EEPKiS6_PKS3_S8_S4_PS3_21rocsparse_index_base_b,@function
_ZN9rocsparseL19gebsrmvn_2xn_kernelILj128ELj4ELj4EfEEvi20rocsparse_direction_NS_24const_host_device_scalarIT2_EEPKiS6_PKS3_S8_S4_PS3_21rocsparse_index_base_b: ; @_ZN9rocsparseL19gebsrmvn_2xn_kernelILj128ELj4ELj4EfEEvi20rocsparse_direction_NS_24const_host_device_scalarIT2_EEPKiS6_PKS3_S8_S4_PS3_21rocsparse_index_base_b
; %bb.0:
	s_clause 0x2
	s_load_b64 s[18:19], s[0:1], 0x40
	s_load_b64 s[16:17], s[0:1], 0x8
	;; [unrolled: 1-line block ×3, first 2 shown]
	s_waitcnt lgkmcnt(0)
	s_bitcmp1_b32 s19, 0
	s_cselect_b32 s2, -1, 0
	s_delay_alu instid0(SALU_CYCLE_1)
	s_and_b32 vcc_lo, exec_lo, s2
	s_xor_b32 s2, s2, -1
	s_cbranch_vccnz .LBB10_2
; %bb.1:
	s_load_b32 s16, s[16:17], 0x0
.LBB10_2:
	s_and_not1_b32 vcc_lo, exec_lo, s2
	s_cbranch_vccnz .LBB10_4
; %bb.3:
	s_load_b32 s12, s[12:13], 0x0
.LBB10_4:
	s_waitcnt lgkmcnt(0)
	v_cmp_eq_f32_e64 s2, s16, 0
	v_cmp_eq_f32_e64 s3, s12, 1.0
	s_delay_alu instid0(VALU_DEP_1) | instskip(NEXT) | instid1(SALU_CYCLE_1)
	s_and_b32 s2, s2, s3
	s_and_b32 vcc_lo, exec_lo, s2
	s_cbranch_vccnz .LBB10_23
; %bb.5:
	s_load_b64 s[2:3], s[0:1], 0x0
	v_lshrrev_b32_e32 v1, 2, v0
	s_delay_alu instid0(VALU_DEP_1) | instskip(SKIP_1) | instid1(VALU_DEP_1)
	v_lshl_or_b32 v1, s15, 5, v1
	s_waitcnt lgkmcnt(0)
	v_cmp_gt_i32_e32 vcc_lo, s2, v1
	s_and_saveexec_b32 s2, vcc_lo
	s_cbranch_execz .LBB10_23
; %bb.6:
	s_load_b256 s[4:11], s[0:1], 0x10
	v_ashrrev_i32_e32 v2, 31, v1
	v_and_b32_e32 v0, 3, v0
	s_cmp_lg_u32 s3, 0
	s_delay_alu instid0(VALU_DEP_2) | instskip(SKIP_1) | instid1(VALU_DEP_1)
	v_lshlrev_b64 v[2:3], 2, v[1:2]
	s_waitcnt lgkmcnt(0)
	v_add_co_u32 v2, vcc_lo, s4, v2
	s_delay_alu instid0(VALU_DEP_2) | instskip(SKIP_4) | instid1(VALU_DEP_2)
	v_add_co_ci_u32_e32 v3, vcc_lo, s5, v3, vcc_lo
	global_load_b64 v[2:3], v[2:3], off
	s_waitcnt vmcnt(0)
	v_subrev_nc_u32_e32 v2, s18, v2
	v_subrev_nc_u32_e32 v8, s18, v3
	v_add_nc_u32_e32 v2, v2, v0
	s_delay_alu instid0(VALU_DEP_1)
	v_cmp_lt_i32_e64 s2, v2, v8
	s_cbranch_scc0 .LBB10_12
; %bb.7:
	v_mov_b32_e32 v7, 0
	v_mov_b32_e32 v9, 0
	s_mov_b32 s3, 0
	s_and_saveexec_b32 s4, s2
	s_cbranch_execz .LBB10_11
; %bb.8:
	v_dual_mov_b32 v4, 0 :: v_dual_lshlrev_b32 v3, 3, v2
	v_mov_b32_e32 v5, v2
	s_mov_b32 s5, 0
	s_delay_alu instid0(VALU_DEP_2)
	v_mov_b32_e32 v7, v4
	v_mov_b32_e32 v9, v4
	s_set_inst_prefetch_distance 0x1
	.p2align	6
.LBB10_9:                               ; =>This Inner Loop Header: Depth=1
	v_ashrrev_i32_e32 v6, 31, v5
	s_delay_alu instid0(VALU_DEP_1) | instskip(SKIP_1) | instid1(VALU_DEP_2)
	v_lshlrev_b64 v[10:11], 2, v[5:6]
	v_add_nc_u32_e32 v5, 4, v5
	v_add_co_u32 v10, vcc_lo, s6, v10
	s_delay_alu instid0(VALU_DEP_3) | instskip(SKIP_3) | instid1(VALU_DEP_2)
	v_add_co_ci_u32_e32 v11, vcc_lo, s7, v11, vcc_lo
	global_load_b32 v6, v[10:11], off
	v_lshlrev_b64 v[10:11], 2, v[3:4]
	v_add_nc_u32_e32 v3, 32, v3
	v_add_co_u32 v14, vcc_lo, s8, v10
	s_delay_alu instid0(VALU_DEP_3) | instskip(SKIP_2) | instid1(VALU_DEP_1)
	v_add_co_ci_u32_e32 v15, vcc_lo, s9, v11, vcc_lo
	s_waitcnt vmcnt(0)
	v_subrev_nc_u32_e32 v6, s18, v6
	v_dual_mov_b32 v13, v4 :: v_dual_lshlrev_b32 v12, 2, v6
	s_delay_alu instid0(VALU_DEP_1) | instskip(NEXT) | instid1(VALU_DEP_1)
	v_lshlrev_b64 v[12:13], 2, v[12:13]
	v_add_co_u32 v18, vcc_lo, s10, v12
	s_delay_alu instid0(VALU_DEP_2)
	v_add_co_ci_u32_e32 v19, vcc_lo, s11, v13, vcc_lo
	v_cmp_ge_i32_e32 vcc_lo, v5, v8
	s_clause 0x1
	global_load_b128 v[10:13], v[14:15], off offset:16
	global_load_b128 v[14:17], v[14:15], off
	global_load_b128 v[18:21], v[18:19], off
	s_or_b32 s5, vcc_lo, s5
	s_waitcnt vmcnt(0)
	v_fmac_f32_e32 v7, v14, v18
	v_fmac_f32_e32 v9, v15, v18
	s_delay_alu instid0(VALU_DEP_2) | instskip(NEXT) | instid1(VALU_DEP_2)
	v_fmac_f32_e32 v7, v16, v19
	v_fmac_f32_e32 v9, v17, v19
	s_delay_alu instid0(VALU_DEP_2) | instskip(NEXT) | instid1(VALU_DEP_2)
	;; [unrolled: 3-line block ×3, first 2 shown]
	v_fmac_f32_e32 v7, v12, v21
	v_fmac_f32_e32 v9, v13, v21
	s_and_not1_b32 exec_lo, exec_lo, s5
	s_cbranch_execnz .LBB10_9
; %bb.10:
	s_set_inst_prefetch_distance 0x2
	s_or_b32 exec_lo, exec_lo, s5
.LBB10_11:
	s_delay_alu instid0(SALU_CYCLE_1) | instskip(NEXT) | instid1(SALU_CYCLE_1)
	s_or_b32 exec_lo, exec_lo, s4
	s_and_not1_b32 vcc_lo, exec_lo, s3
	s_cbranch_vccz .LBB10_13
	s_branch .LBB10_18
.LBB10_12:
                                        ; implicit-def: $vgpr7
                                        ; implicit-def: $vgpr9
.LBB10_13:
	v_mov_b32_e32 v7, 0
	v_mov_b32_e32 v9, 0
	s_delay_alu instid0(VALU_DEP_3)
	s_and_saveexec_b32 s3, s2
	s_cbranch_execz .LBB10_17
; %bb.14:
	v_dual_mov_b32 v5, 0 :: v_dual_lshlrev_b32 v4, 3, v2
	s_mov_b32 s2, 0
	s_delay_alu instid0(VALU_DEP_1)
	v_mov_b32_e32 v7, v5
	v_mov_b32_e32 v9, v5
	s_set_inst_prefetch_distance 0x1
	.p2align	6
.LBB10_15:                              ; =>This Inner Loop Header: Depth=1
	v_ashrrev_i32_e32 v3, 31, v2
	s_delay_alu instid0(VALU_DEP_1) | instskip(SKIP_1) | instid1(VALU_DEP_2)
	v_lshlrev_b64 v[10:11], 2, v[2:3]
	v_add_nc_u32_e32 v2, 4, v2
	v_add_co_u32 v10, vcc_lo, s6, v10
	s_delay_alu instid0(VALU_DEP_3) | instskip(SKIP_3) | instid1(VALU_DEP_2)
	v_add_co_ci_u32_e32 v11, vcc_lo, s7, v11, vcc_lo
	global_load_b32 v3, v[10:11], off
	v_lshlrev_b64 v[10:11], 2, v[4:5]
	v_add_nc_u32_e32 v4, 32, v4
	v_add_co_u32 v14, vcc_lo, s8, v10
	s_delay_alu instid0(VALU_DEP_3) | instskip(SKIP_2) | instid1(VALU_DEP_1)
	v_add_co_ci_u32_e32 v15, vcc_lo, s9, v11, vcc_lo
	s_waitcnt vmcnt(0)
	v_subrev_nc_u32_e32 v3, s18, v3
	v_dual_mov_b32 v13, v5 :: v_dual_lshlrev_b32 v12, 2, v3
	s_delay_alu instid0(VALU_DEP_1) | instskip(NEXT) | instid1(VALU_DEP_1)
	v_lshlrev_b64 v[12:13], 2, v[12:13]
	v_add_co_u32 v18, vcc_lo, s10, v12
	s_delay_alu instid0(VALU_DEP_2)
	v_add_co_ci_u32_e32 v19, vcc_lo, s11, v13, vcc_lo
	s_clause 0x1
	global_load_b128 v[10:13], v[14:15], off offset:16
	global_load_b128 v[14:17], v[14:15], off
	global_load_b128 v[18:21], v[18:19], off
	v_cmp_ge_i32_e32 vcc_lo, v2, v8
	s_or_b32 s2, vcc_lo, s2
	s_waitcnt vmcnt(0)
	v_fmac_f32_e32 v7, v14, v18
	v_fmac_f32_e32 v9, v10, v18
	s_delay_alu instid0(VALU_DEP_2) | instskip(NEXT) | instid1(VALU_DEP_2)
	v_fmac_f32_e32 v7, v15, v19
	v_fmac_f32_e32 v9, v11, v19
	s_delay_alu instid0(VALU_DEP_2) | instskip(NEXT) | instid1(VALU_DEP_2)
	;; [unrolled: 3-line block ×3, first 2 shown]
	v_fmac_f32_e32 v7, v17, v21
	v_fmac_f32_e32 v9, v13, v21
	s_and_not1_b32 exec_lo, exec_lo, s2
	s_cbranch_execnz .LBB10_15
; %bb.16:
	s_set_inst_prefetch_distance 0x2
	s_or_b32 exec_lo, exec_lo, s2
.LBB10_17:
	s_delay_alu instid0(SALU_CYCLE_1)
	s_or_b32 exec_lo, exec_lo, s3
.LBB10_18:
	v_mbcnt_lo_u32_b32 v2, -1, 0
	s_mov_b32 s2, -1
	s_delay_alu instid0(VALU_DEP_1) | instskip(SKIP_1) | instid1(VALU_DEP_2)
	v_xor_b32_e32 v3, 2, v2
	v_xor_b32_e32 v5, 1, v2
	v_cmp_gt_i32_e32 vcc_lo, 32, v3
	v_cndmask_b32_e32 v3, v2, v3, vcc_lo
	s_delay_alu instid0(VALU_DEP_3) | instskip(NEXT) | instid1(VALU_DEP_2)
	v_cmp_gt_i32_e32 vcc_lo, 32, v5
	v_dual_cndmask_b32 v2, v2, v5 :: v_dual_lshlrev_b32 v3, 2, v3
	v_cmp_eq_u32_e32 vcc_lo, 3, v0
	ds_bpermute_b32 v4, v3, v7
	ds_bpermute_b32 v3, v3, v9
	s_waitcnt lgkmcnt(1)
	v_dual_add_f32 v2, v7, v4 :: v_dual_lshlrev_b32 v5, 2, v2
	s_waitcnt lgkmcnt(0)
	v_add_f32_e32 v3, v9, v3
	ds_bpermute_b32 v4, v5, v2
	ds_bpermute_b32 v5, v5, v3
	s_and_b32 exec_lo, exec_lo, vcc_lo
	s_cbranch_execz .LBB10_23
; %bb.19:
	s_load_b64 s[0:1], s[0:1], 0x38
	s_waitcnt lgkmcnt(0)
	v_dual_add_f32 v0, v2, v4 :: v_dual_add_f32 v3, v3, v5
	v_cmp_eq_f32_e64 s3, s12, 0
	s_delay_alu instid0(VALU_DEP_2) | instskip(SKIP_1) | instid1(VALU_DEP_3)
	v_dual_mul_f32 v2, s16, v0 :: v_dual_mul_f32 v3, s16, v3
	v_lshlrev_b32_e32 v0, 1, v1
	s_and_b32 vcc_lo, exec_lo, s3
	s_cbranch_vccz .LBB10_21
; %bb.20:
	s_delay_alu instid0(VALU_DEP_1) | instskip(SKIP_1) | instid1(VALU_DEP_1)
	v_ashrrev_i32_e32 v1, 31, v0
	s_mov_b32 s2, 0
	v_lshlrev_b64 v[4:5], 2, v[0:1]
	s_delay_alu instid0(VALU_DEP_1) | instskip(NEXT) | instid1(VALU_DEP_2)
	v_add_co_u32 v4, vcc_lo, s0, v4
	v_add_co_ci_u32_e32 v5, vcc_lo, s1, v5, vcc_lo
	global_store_b64 v[4:5], v[2:3], off
.LBB10_21:
	s_and_not1_b32 vcc_lo, exec_lo, s2
	s_cbranch_vccnz .LBB10_23
; %bb.22:
	v_ashrrev_i32_e32 v1, 31, v0
	s_delay_alu instid0(VALU_DEP_1) | instskip(NEXT) | instid1(VALU_DEP_1)
	v_lshlrev_b64 v[0:1], 2, v[0:1]
	v_add_co_u32 v0, vcc_lo, s0, v0
	s_delay_alu instid0(VALU_DEP_2)
	v_add_co_ci_u32_e32 v1, vcc_lo, s1, v1, vcc_lo
	global_load_b64 v[4:5], v[0:1], off
	s_waitcnt vmcnt(0)
	v_dual_fmac_f32 v2, s12, v4 :: v_dual_fmac_f32 v3, s12, v5
	global_store_b64 v[0:1], v[2:3], off
.LBB10_23:
	s_nop 0
	s_sendmsg sendmsg(MSG_DEALLOC_VGPRS)
	s_endpgm
	.section	.rodata,"a",@progbits
	.p2align	6, 0x0
	.amdhsa_kernel _ZN9rocsparseL19gebsrmvn_2xn_kernelILj128ELj4ELj4EfEEvi20rocsparse_direction_NS_24const_host_device_scalarIT2_EEPKiS6_PKS3_S8_S4_PS3_21rocsparse_index_base_b
		.amdhsa_group_segment_fixed_size 0
		.amdhsa_private_segment_fixed_size 0
		.amdhsa_kernarg_size 72
		.amdhsa_user_sgpr_count 15
		.amdhsa_user_sgpr_dispatch_ptr 0
		.amdhsa_user_sgpr_queue_ptr 0
		.amdhsa_user_sgpr_kernarg_segment_ptr 1
		.amdhsa_user_sgpr_dispatch_id 0
		.amdhsa_user_sgpr_private_segment_size 0
		.amdhsa_wavefront_size32 1
		.amdhsa_uses_dynamic_stack 0
		.amdhsa_enable_private_segment 0
		.amdhsa_system_sgpr_workgroup_id_x 1
		.amdhsa_system_sgpr_workgroup_id_y 0
		.amdhsa_system_sgpr_workgroup_id_z 0
		.amdhsa_system_sgpr_workgroup_info 0
		.amdhsa_system_vgpr_workitem_id 0
		.amdhsa_next_free_vgpr 22
		.amdhsa_next_free_sgpr 20
		.amdhsa_reserve_vcc 1
		.amdhsa_float_round_mode_32 0
		.amdhsa_float_round_mode_16_64 0
		.amdhsa_float_denorm_mode_32 3
		.amdhsa_float_denorm_mode_16_64 3
		.amdhsa_dx10_clamp 1
		.amdhsa_ieee_mode 1
		.amdhsa_fp16_overflow 0
		.amdhsa_workgroup_processor_mode 1
		.amdhsa_memory_ordered 1
		.amdhsa_forward_progress 0
		.amdhsa_shared_vgpr_count 0
		.amdhsa_exception_fp_ieee_invalid_op 0
		.amdhsa_exception_fp_denorm_src 0
		.amdhsa_exception_fp_ieee_div_zero 0
		.amdhsa_exception_fp_ieee_overflow 0
		.amdhsa_exception_fp_ieee_underflow 0
		.amdhsa_exception_fp_ieee_inexact 0
		.amdhsa_exception_int_div_zero 0
	.end_amdhsa_kernel
	.section	.text._ZN9rocsparseL19gebsrmvn_2xn_kernelILj128ELj4ELj4EfEEvi20rocsparse_direction_NS_24const_host_device_scalarIT2_EEPKiS6_PKS3_S8_S4_PS3_21rocsparse_index_base_b,"axG",@progbits,_ZN9rocsparseL19gebsrmvn_2xn_kernelILj128ELj4ELj4EfEEvi20rocsparse_direction_NS_24const_host_device_scalarIT2_EEPKiS6_PKS3_S8_S4_PS3_21rocsparse_index_base_b,comdat
.Lfunc_end10:
	.size	_ZN9rocsparseL19gebsrmvn_2xn_kernelILj128ELj4ELj4EfEEvi20rocsparse_direction_NS_24const_host_device_scalarIT2_EEPKiS6_PKS3_S8_S4_PS3_21rocsparse_index_base_b, .Lfunc_end10-_ZN9rocsparseL19gebsrmvn_2xn_kernelILj128ELj4ELj4EfEEvi20rocsparse_direction_NS_24const_host_device_scalarIT2_EEPKiS6_PKS3_S8_S4_PS3_21rocsparse_index_base_b
                                        ; -- End function
	.section	.AMDGPU.csdata,"",@progbits
; Kernel info:
; codeLenInByte = 1096
; NumSgprs: 22
; NumVgprs: 22
; ScratchSize: 0
; MemoryBound: 0
; FloatMode: 240
; IeeeMode: 1
; LDSByteSize: 0 bytes/workgroup (compile time only)
; SGPRBlocks: 2
; VGPRBlocks: 2
; NumSGPRsForWavesPerEU: 22
; NumVGPRsForWavesPerEU: 22
; Occupancy: 16
; WaveLimiterHint : 1
; COMPUTE_PGM_RSRC2:SCRATCH_EN: 0
; COMPUTE_PGM_RSRC2:USER_SGPR: 15
; COMPUTE_PGM_RSRC2:TRAP_HANDLER: 0
; COMPUTE_PGM_RSRC2:TGID_X_EN: 1
; COMPUTE_PGM_RSRC2:TGID_Y_EN: 0
; COMPUTE_PGM_RSRC2:TGID_Z_EN: 0
; COMPUTE_PGM_RSRC2:TIDIG_COMP_CNT: 0
	.section	.text._ZN9rocsparseL19gebsrmvn_2xn_kernelILj128ELj4ELj8EfEEvi20rocsparse_direction_NS_24const_host_device_scalarIT2_EEPKiS6_PKS3_S8_S4_PS3_21rocsparse_index_base_b,"axG",@progbits,_ZN9rocsparseL19gebsrmvn_2xn_kernelILj128ELj4ELj8EfEEvi20rocsparse_direction_NS_24const_host_device_scalarIT2_EEPKiS6_PKS3_S8_S4_PS3_21rocsparse_index_base_b,comdat
	.globl	_ZN9rocsparseL19gebsrmvn_2xn_kernelILj128ELj4ELj8EfEEvi20rocsparse_direction_NS_24const_host_device_scalarIT2_EEPKiS6_PKS3_S8_S4_PS3_21rocsparse_index_base_b ; -- Begin function _ZN9rocsparseL19gebsrmvn_2xn_kernelILj128ELj4ELj8EfEEvi20rocsparse_direction_NS_24const_host_device_scalarIT2_EEPKiS6_PKS3_S8_S4_PS3_21rocsparse_index_base_b
	.p2align	8
	.type	_ZN9rocsparseL19gebsrmvn_2xn_kernelILj128ELj4ELj8EfEEvi20rocsparse_direction_NS_24const_host_device_scalarIT2_EEPKiS6_PKS3_S8_S4_PS3_21rocsparse_index_base_b,@function
_ZN9rocsparseL19gebsrmvn_2xn_kernelILj128ELj4ELj8EfEEvi20rocsparse_direction_NS_24const_host_device_scalarIT2_EEPKiS6_PKS3_S8_S4_PS3_21rocsparse_index_base_b: ; @_ZN9rocsparseL19gebsrmvn_2xn_kernelILj128ELj4ELj8EfEEvi20rocsparse_direction_NS_24const_host_device_scalarIT2_EEPKiS6_PKS3_S8_S4_PS3_21rocsparse_index_base_b
; %bb.0:
	s_clause 0x2
	s_load_b64 s[18:19], s[0:1], 0x40
	s_load_b64 s[16:17], s[0:1], 0x8
	;; [unrolled: 1-line block ×3, first 2 shown]
	s_waitcnt lgkmcnt(0)
	s_bitcmp1_b32 s19, 0
	s_cselect_b32 s2, -1, 0
	s_delay_alu instid0(SALU_CYCLE_1)
	s_and_b32 vcc_lo, exec_lo, s2
	s_xor_b32 s2, s2, -1
	s_cbranch_vccnz .LBB11_2
; %bb.1:
	s_load_b32 s16, s[16:17], 0x0
.LBB11_2:
	s_and_not1_b32 vcc_lo, exec_lo, s2
	s_cbranch_vccnz .LBB11_4
; %bb.3:
	s_load_b32 s12, s[12:13], 0x0
.LBB11_4:
	s_waitcnt lgkmcnt(0)
	v_cmp_eq_f32_e64 s2, s16, 0
	v_cmp_eq_f32_e64 s3, s12, 1.0
	s_delay_alu instid0(VALU_DEP_1) | instskip(NEXT) | instid1(SALU_CYCLE_1)
	s_and_b32 s2, s2, s3
	s_and_b32 vcc_lo, exec_lo, s2
	s_cbranch_vccnz .LBB11_23
; %bb.5:
	s_load_b64 s[2:3], s[0:1], 0x0
	v_lshrrev_b32_e32 v1, 3, v0
	s_delay_alu instid0(VALU_DEP_1) | instskip(SKIP_1) | instid1(VALU_DEP_1)
	v_lshl_or_b32 v1, s15, 4, v1
	s_waitcnt lgkmcnt(0)
	v_cmp_gt_i32_e32 vcc_lo, s2, v1
	s_and_saveexec_b32 s2, vcc_lo
	s_cbranch_execz .LBB11_23
; %bb.6:
	s_load_b256 s[4:11], s[0:1], 0x10
	v_ashrrev_i32_e32 v2, 31, v1
	v_and_b32_e32 v0, 7, v0
	s_cmp_lg_u32 s3, 0
	s_delay_alu instid0(VALU_DEP_2) | instskip(SKIP_1) | instid1(VALU_DEP_1)
	v_lshlrev_b64 v[2:3], 2, v[1:2]
	s_waitcnt lgkmcnt(0)
	v_add_co_u32 v2, vcc_lo, s4, v2
	s_delay_alu instid0(VALU_DEP_2) | instskip(SKIP_4) | instid1(VALU_DEP_2)
	v_add_co_ci_u32_e32 v3, vcc_lo, s5, v3, vcc_lo
	global_load_b64 v[2:3], v[2:3], off
	s_waitcnt vmcnt(0)
	v_subrev_nc_u32_e32 v2, s18, v2
	v_subrev_nc_u32_e32 v9, s18, v3
	v_add_nc_u32_e32 v2, v2, v0
	s_delay_alu instid0(VALU_DEP_1)
	v_cmp_lt_i32_e64 s2, v2, v9
	s_cbranch_scc0 .LBB11_12
; %bb.7:
	v_dual_mov_b32 v7, 0 :: v_dual_mov_b32 v8, 0
	s_mov_b32 s3, 0
	s_delay_alu instid0(VALU_DEP_2)
	s_and_saveexec_b32 s4, s2
	s_cbranch_execz .LBB11_11
; %bb.8:
	v_dual_mov_b32 v4, 0 :: v_dual_lshlrev_b32 v3, 3, v2
	v_mov_b32_e32 v5, v2
	s_mov_b32 s5, 0
	s_delay_alu instid0(VALU_DEP_2)
	v_mov_b32_e32 v8, v4
	v_mov_b32_e32 v7, v4
	s_set_inst_prefetch_distance 0x1
	.p2align	6
.LBB11_9:                               ; =>This Inner Loop Header: Depth=1
	v_ashrrev_i32_e32 v6, 31, v5
	s_delay_alu instid0(VALU_DEP_1) | instskip(NEXT) | instid1(VALU_DEP_1)
	v_lshlrev_b64 v[10:11], 2, v[5:6]
	v_add_co_u32 v10, vcc_lo, s6, v10
	s_delay_alu instid0(VALU_DEP_2) | instskip(SKIP_3) | instid1(VALU_DEP_2)
	v_add_co_ci_u32_e32 v11, vcc_lo, s7, v11, vcc_lo
	global_load_b32 v6, v[10:11], off
	v_lshlrev_b64 v[10:11], 2, v[3:4]
	v_add_nc_u32_e32 v3, 64, v3
	v_add_co_u32 v14, vcc_lo, s8, v10
	s_delay_alu instid0(VALU_DEP_3) | instskip(SKIP_2) | instid1(VALU_DEP_1)
	v_add_co_ci_u32_e32 v15, vcc_lo, s9, v11, vcc_lo
	s_waitcnt vmcnt(0)
	v_subrev_nc_u32_e32 v6, s18, v6
	v_dual_mov_b32 v13, v4 :: v_dual_lshlrev_b32 v12, 2, v6
	s_delay_alu instid0(VALU_DEP_1) | instskip(NEXT) | instid1(VALU_DEP_1)
	v_lshlrev_b64 v[12:13], 2, v[12:13]
	v_add_co_u32 v18, vcc_lo, s10, v12
	s_delay_alu instid0(VALU_DEP_2)
	v_add_co_ci_u32_e32 v19, vcc_lo, s11, v13, vcc_lo
	s_clause 0x1
	global_load_b128 v[10:13], v[14:15], off offset:16
	global_load_b128 v[14:17], v[14:15], off
	global_load_b128 v[18:21], v[18:19], off
	s_waitcnt vmcnt(0)
	v_fmac_f32_e32 v8, v15, v18
	s_delay_alu instid0(VALU_DEP_1) | instskip(NEXT) | instid1(VALU_DEP_1)
	v_dual_fmac_f32 v7, v14, v18 :: v_dual_fmac_f32 v8, v17, v19
	v_fmac_f32_e32 v7, v16, v19
	s_delay_alu instid0(VALU_DEP_2) | instskip(NEXT) | instid1(VALU_DEP_2)
	v_dual_fmac_f32 v8, v11, v20 :: v_dual_add_nc_u32 v5, 8, v5
	v_fmac_f32_e32 v7, v10, v20
	s_delay_alu instid0(VALU_DEP_2) | instskip(NEXT) | instid1(VALU_DEP_3)
	v_cmp_ge_i32_e32 vcc_lo, v5, v9
	v_fmac_f32_e32 v8, v13, v21
	s_delay_alu instid0(VALU_DEP_3) | instskip(SKIP_1) | instid1(SALU_CYCLE_1)
	v_fmac_f32_e32 v7, v12, v21
	s_or_b32 s5, vcc_lo, s5
	s_and_not1_b32 exec_lo, exec_lo, s5
	s_cbranch_execnz .LBB11_9
; %bb.10:
	s_set_inst_prefetch_distance 0x2
	s_or_b32 exec_lo, exec_lo, s5
.LBB11_11:
	s_delay_alu instid0(SALU_CYCLE_1) | instskip(NEXT) | instid1(SALU_CYCLE_1)
	s_or_b32 exec_lo, exec_lo, s4
	s_and_not1_b32 vcc_lo, exec_lo, s3
	s_cbranch_vccz .LBB11_13
	s_branch .LBB11_18
.LBB11_12:
                                        ; implicit-def: $vgpr7
                                        ; implicit-def: $vgpr8
.LBB11_13:
	v_dual_mov_b32 v7, 0 :: v_dual_mov_b32 v8, 0
	s_delay_alu instid0(VALU_DEP_2)
	s_and_saveexec_b32 s3, s2
	s_cbranch_execz .LBB11_17
; %bb.14:
	v_dual_mov_b32 v5, 0 :: v_dual_lshlrev_b32 v4, 3, v2
	s_mov_b32 s2, 0
	s_delay_alu instid0(VALU_DEP_1)
	v_mov_b32_e32 v7, v5
	v_mov_b32_e32 v8, v5
	s_set_inst_prefetch_distance 0x1
	.p2align	6
.LBB11_15:                              ; =>This Inner Loop Header: Depth=1
	v_ashrrev_i32_e32 v3, 31, v2
	s_delay_alu instid0(VALU_DEP_1) | instskip(NEXT) | instid1(VALU_DEP_1)
	v_lshlrev_b64 v[10:11], 2, v[2:3]
	v_add_co_u32 v10, vcc_lo, s6, v10
	s_delay_alu instid0(VALU_DEP_2) | instskip(SKIP_3) | instid1(VALU_DEP_2)
	v_add_co_ci_u32_e32 v11, vcc_lo, s7, v11, vcc_lo
	global_load_b32 v3, v[10:11], off
	v_lshlrev_b64 v[10:11], 2, v[4:5]
	v_add_nc_u32_e32 v4, 64, v4
	v_add_co_u32 v14, vcc_lo, s8, v10
	s_delay_alu instid0(VALU_DEP_3) | instskip(SKIP_2) | instid1(VALU_DEP_1)
	v_add_co_ci_u32_e32 v15, vcc_lo, s9, v11, vcc_lo
	s_waitcnt vmcnt(0)
	v_subrev_nc_u32_e32 v3, s18, v3
	v_dual_mov_b32 v13, v5 :: v_dual_lshlrev_b32 v12, 2, v3
	s_delay_alu instid0(VALU_DEP_1) | instskip(NEXT) | instid1(VALU_DEP_1)
	v_lshlrev_b64 v[12:13], 2, v[12:13]
	v_add_co_u32 v18, vcc_lo, s10, v12
	s_delay_alu instid0(VALU_DEP_2)
	v_add_co_ci_u32_e32 v19, vcc_lo, s11, v13, vcc_lo
	s_clause 0x1
	global_load_b128 v[10:13], v[14:15], off offset:16
	global_load_b128 v[14:17], v[14:15], off
	global_load_b128 v[18:21], v[18:19], off
	s_waitcnt vmcnt(0)
	v_fmac_f32_e32 v8, v10, v18
	s_delay_alu instid0(VALU_DEP_1) | instskip(NEXT) | instid1(VALU_DEP_1)
	v_dual_fmac_f32 v7, v14, v18 :: v_dual_fmac_f32 v8, v11, v19
	v_dual_fmac_f32 v7, v15, v19 :: v_dual_add_nc_u32 v2, 8, v2
	s_delay_alu instid0(VALU_DEP_1) | instskip(NEXT) | instid1(VALU_DEP_3)
	v_fmac_f32_e32 v7, v16, v20
	v_fmac_f32_e32 v8, v12, v20
	s_delay_alu instid0(VALU_DEP_3) | instskip(NEXT) | instid1(VALU_DEP_3)
	v_cmp_ge_i32_e32 vcc_lo, v2, v9
	v_fmac_f32_e32 v7, v17, v21
	s_delay_alu instid0(VALU_DEP_3) | instskip(SKIP_1) | instid1(SALU_CYCLE_1)
	v_fmac_f32_e32 v8, v13, v21
	s_or_b32 s2, vcc_lo, s2
	s_and_not1_b32 exec_lo, exec_lo, s2
	s_cbranch_execnz .LBB11_15
; %bb.16:
	s_set_inst_prefetch_distance 0x2
	s_or_b32 exec_lo, exec_lo, s2
.LBB11_17:
	s_delay_alu instid0(SALU_CYCLE_1)
	s_or_b32 exec_lo, exec_lo, s3
.LBB11_18:
	v_mbcnt_lo_u32_b32 v2, -1, 0
	s_mov_b32 s2, -1
	s_delay_alu instid0(VALU_DEP_1) | instskip(SKIP_1) | instid1(VALU_DEP_2)
	v_xor_b32_e32 v3, 4, v2
	v_xor_b32_e32 v5, 2, v2
	v_cmp_gt_i32_e32 vcc_lo, 32, v3
	v_cndmask_b32_e32 v3, v2, v3, vcc_lo
	s_delay_alu instid0(VALU_DEP_3) | instskip(NEXT) | instid1(VALU_DEP_2)
	v_cmp_gt_i32_e32 vcc_lo, 32, v5
	v_lshlrev_b32_e32 v3, 2, v3
	v_cndmask_b32_e32 v5, v2, v5, vcc_lo
	ds_bpermute_b32 v4, v3, v7
	s_waitcnt lgkmcnt(0)
	v_add_f32_e32 v4, v7, v4
	v_xor_b32_e32 v7, 1, v2
	s_delay_alu instid0(VALU_DEP_1)
	v_cmp_gt_i32_e32 vcc_lo, 32, v7
	v_dual_cndmask_b32 v2, v2, v7 :: v_dual_lshlrev_b32 v5, 2, v5
	ds_bpermute_b32 v6, v5, v4
	v_cmp_eq_u32_e32 vcc_lo, 7, v0
	v_lshlrev_b32_e32 v7, 2, v2
	s_waitcnt lgkmcnt(0)
	v_add_f32_e32 v2, v4, v6
	ds_bpermute_b32 v3, v3, v8
	ds_bpermute_b32 v4, v7, v2
	s_waitcnt lgkmcnt(1)
	v_add_f32_e32 v3, v8, v3
	ds_bpermute_b32 v5, v5, v3
	s_waitcnt lgkmcnt(0)
	v_add_f32_e32 v3, v3, v5
	ds_bpermute_b32 v5, v7, v3
	s_and_b32 exec_lo, exec_lo, vcc_lo
	s_cbranch_execz .LBB11_23
; %bb.19:
	s_load_b64 s[0:1], s[0:1], 0x38
	s_waitcnt lgkmcnt(0)
	v_dual_add_f32 v0, v2, v4 :: v_dual_add_f32 v3, v3, v5
	v_cmp_eq_f32_e64 s3, s12, 0
	s_delay_alu instid0(VALU_DEP_2) | instskip(SKIP_1) | instid1(VALU_DEP_3)
	v_dual_mul_f32 v2, s16, v0 :: v_dual_mul_f32 v3, s16, v3
	v_lshlrev_b32_e32 v0, 1, v1
	s_and_b32 vcc_lo, exec_lo, s3
	s_cbranch_vccz .LBB11_21
; %bb.20:
	s_delay_alu instid0(VALU_DEP_1) | instskip(SKIP_1) | instid1(VALU_DEP_1)
	v_ashrrev_i32_e32 v1, 31, v0
	s_mov_b32 s2, 0
	v_lshlrev_b64 v[4:5], 2, v[0:1]
	s_delay_alu instid0(VALU_DEP_1) | instskip(NEXT) | instid1(VALU_DEP_2)
	v_add_co_u32 v4, vcc_lo, s0, v4
	v_add_co_ci_u32_e32 v5, vcc_lo, s1, v5, vcc_lo
	global_store_b64 v[4:5], v[2:3], off
.LBB11_21:
	s_and_not1_b32 vcc_lo, exec_lo, s2
	s_cbranch_vccnz .LBB11_23
; %bb.22:
	v_ashrrev_i32_e32 v1, 31, v0
	s_delay_alu instid0(VALU_DEP_1) | instskip(NEXT) | instid1(VALU_DEP_1)
	v_lshlrev_b64 v[0:1], 2, v[0:1]
	v_add_co_u32 v0, vcc_lo, s0, v0
	s_delay_alu instid0(VALU_DEP_2)
	v_add_co_ci_u32_e32 v1, vcc_lo, s1, v1, vcc_lo
	global_load_b64 v[4:5], v[0:1], off
	s_waitcnt vmcnt(0)
	v_dual_fmac_f32 v2, s12, v4 :: v_dual_fmac_f32 v3, s12, v5
	global_store_b64 v[0:1], v[2:3], off
.LBB11_23:
	s_nop 0
	s_sendmsg sendmsg(MSG_DEALLOC_VGPRS)
	s_endpgm
	.section	.rodata,"a",@progbits
	.p2align	6, 0x0
	.amdhsa_kernel _ZN9rocsparseL19gebsrmvn_2xn_kernelILj128ELj4ELj8EfEEvi20rocsparse_direction_NS_24const_host_device_scalarIT2_EEPKiS6_PKS3_S8_S4_PS3_21rocsparse_index_base_b
		.amdhsa_group_segment_fixed_size 0
		.amdhsa_private_segment_fixed_size 0
		.amdhsa_kernarg_size 72
		.amdhsa_user_sgpr_count 15
		.amdhsa_user_sgpr_dispatch_ptr 0
		.amdhsa_user_sgpr_queue_ptr 0
		.amdhsa_user_sgpr_kernarg_segment_ptr 1
		.amdhsa_user_sgpr_dispatch_id 0
		.amdhsa_user_sgpr_private_segment_size 0
		.amdhsa_wavefront_size32 1
		.amdhsa_uses_dynamic_stack 0
		.amdhsa_enable_private_segment 0
		.amdhsa_system_sgpr_workgroup_id_x 1
		.amdhsa_system_sgpr_workgroup_id_y 0
		.amdhsa_system_sgpr_workgroup_id_z 0
		.amdhsa_system_sgpr_workgroup_info 0
		.amdhsa_system_vgpr_workitem_id 0
		.amdhsa_next_free_vgpr 22
		.amdhsa_next_free_sgpr 20
		.amdhsa_reserve_vcc 1
		.amdhsa_float_round_mode_32 0
		.amdhsa_float_round_mode_16_64 0
		.amdhsa_float_denorm_mode_32 3
		.amdhsa_float_denorm_mode_16_64 3
		.amdhsa_dx10_clamp 1
		.amdhsa_ieee_mode 1
		.amdhsa_fp16_overflow 0
		.amdhsa_workgroup_processor_mode 1
		.amdhsa_memory_ordered 1
		.amdhsa_forward_progress 0
		.amdhsa_shared_vgpr_count 0
		.amdhsa_exception_fp_ieee_invalid_op 0
		.amdhsa_exception_fp_denorm_src 0
		.amdhsa_exception_fp_ieee_div_zero 0
		.amdhsa_exception_fp_ieee_overflow 0
		.amdhsa_exception_fp_ieee_underflow 0
		.amdhsa_exception_fp_ieee_inexact 0
		.amdhsa_exception_int_div_zero 0
	.end_amdhsa_kernel
	.section	.text._ZN9rocsparseL19gebsrmvn_2xn_kernelILj128ELj4ELj8EfEEvi20rocsparse_direction_NS_24const_host_device_scalarIT2_EEPKiS6_PKS3_S8_S4_PS3_21rocsparse_index_base_b,"axG",@progbits,_ZN9rocsparseL19gebsrmvn_2xn_kernelILj128ELj4ELj8EfEEvi20rocsparse_direction_NS_24const_host_device_scalarIT2_EEPKiS6_PKS3_S8_S4_PS3_21rocsparse_index_base_b,comdat
.Lfunc_end11:
	.size	_ZN9rocsparseL19gebsrmvn_2xn_kernelILj128ELj4ELj8EfEEvi20rocsparse_direction_NS_24const_host_device_scalarIT2_EEPKiS6_PKS3_S8_S4_PS3_21rocsparse_index_base_b, .Lfunc_end11-_ZN9rocsparseL19gebsrmvn_2xn_kernelILj128ELj4ELj8EfEEvi20rocsparse_direction_NS_24const_host_device_scalarIT2_EEPKiS6_PKS3_S8_S4_PS3_21rocsparse_index_base_b
                                        ; -- End function
	.section	.AMDGPU.csdata,"",@progbits
; Kernel info:
; codeLenInByte = 1160
; NumSgprs: 22
; NumVgprs: 22
; ScratchSize: 0
; MemoryBound: 0
; FloatMode: 240
; IeeeMode: 1
; LDSByteSize: 0 bytes/workgroup (compile time only)
; SGPRBlocks: 2
; VGPRBlocks: 2
; NumSGPRsForWavesPerEU: 22
; NumVGPRsForWavesPerEU: 22
; Occupancy: 16
; WaveLimiterHint : 1
; COMPUTE_PGM_RSRC2:SCRATCH_EN: 0
; COMPUTE_PGM_RSRC2:USER_SGPR: 15
; COMPUTE_PGM_RSRC2:TRAP_HANDLER: 0
; COMPUTE_PGM_RSRC2:TGID_X_EN: 1
; COMPUTE_PGM_RSRC2:TGID_Y_EN: 0
; COMPUTE_PGM_RSRC2:TGID_Z_EN: 0
; COMPUTE_PGM_RSRC2:TIDIG_COMP_CNT: 0
	.section	.text._ZN9rocsparseL19gebsrmvn_2xn_kernelILj128ELj4ELj16EfEEvi20rocsparse_direction_NS_24const_host_device_scalarIT2_EEPKiS6_PKS3_S8_S4_PS3_21rocsparse_index_base_b,"axG",@progbits,_ZN9rocsparseL19gebsrmvn_2xn_kernelILj128ELj4ELj16EfEEvi20rocsparse_direction_NS_24const_host_device_scalarIT2_EEPKiS6_PKS3_S8_S4_PS3_21rocsparse_index_base_b,comdat
	.globl	_ZN9rocsparseL19gebsrmvn_2xn_kernelILj128ELj4ELj16EfEEvi20rocsparse_direction_NS_24const_host_device_scalarIT2_EEPKiS6_PKS3_S8_S4_PS3_21rocsparse_index_base_b ; -- Begin function _ZN9rocsparseL19gebsrmvn_2xn_kernelILj128ELj4ELj16EfEEvi20rocsparse_direction_NS_24const_host_device_scalarIT2_EEPKiS6_PKS3_S8_S4_PS3_21rocsparse_index_base_b
	.p2align	8
	.type	_ZN9rocsparseL19gebsrmvn_2xn_kernelILj128ELj4ELj16EfEEvi20rocsparse_direction_NS_24const_host_device_scalarIT2_EEPKiS6_PKS3_S8_S4_PS3_21rocsparse_index_base_b,@function
_ZN9rocsparseL19gebsrmvn_2xn_kernelILj128ELj4ELj16EfEEvi20rocsparse_direction_NS_24const_host_device_scalarIT2_EEPKiS6_PKS3_S8_S4_PS3_21rocsparse_index_base_b: ; @_ZN9rocsparseL19gebsrmvn_2xn_kernelILj128ELj4ELj16EfEEvi20rocsparse_direction_NS_24const_host_device_scalarIT2_EEPKiS6_PKS3_S8_S4_PS3_21rocsparse_index_base_b
; %bb.0:
	s_clause 0x2
	s_load_b64 s[18:19], s[0:1], 0x40
	s_load_b64 s[16:17], s[0:1], 0x8
	;; [unrolled: 1-line block ×3, first 2 shown]
	s_waitcnt lgkmcnt(0)
	s_bitcmp1_b32 s19, 0
	s_cselect_b32 s2, -1, 0
	s_delay_alu instid0(SALU_CYCLE_1)
	s_and_b32 vcc_lo, exec_lo, s2
	s_xor_b32 s2, s2, -1
	s_cbranch_vccnz .LBB12_2
; %bb.1:
	s_load_b32 s16, s[16:17], 0x0
.LBB12_2:
	s_and_not1_b32 vcc_lo, exec_lo, s2
	s_cbranch_vccnz .LBB12_4
; %bb.3:
	s_load_b32 s12, s[12:13], 0x0
.LBB12_4:
	s_waitcnt lgkmcnt(0)
	v_cmp_eq_f32_e64 s2, s16, 0
	v_cmp_eq_f32_e64 s3, s12, 1.0
	s_delay_alu instid0(VALU_DEP_1) | instskip(NEXT) | instid1(SALU_CYCLE_1)
	s_and_b32 s2, s2, s3
	s_and_b32 vcc_lo, exec_lo, s2
	s_cbranch_vccnz .LBB12_23
; %bb.5:
	s_load_b64 s[2:3], s[0:1], 0x0
	v_lshrrev_b32_e32 v1, 4, v0
	s_delay_alu instid0(VALU_DEP_1) | instskip(SKIP_1) | instid1(VALU_DEP_1)
	v_lshl_or_b32 v1, s15, 3, v1
	s_waitcnt lgkmcnt(0)
	v_cmp_gt_i32_e32 vcc_lo, s2, v1
	s_and_saveexec_b32 s2, vcc_lo
	s_cbranch_execz .LBB12_23
; %bb.6:
	s_load_b256 s[4:11], s[0:1], 0x10
	v_ashrrev_i32_e32 v2, 31, v1
	v_and_b32_e32 v0, 15, v0
	s_cmp_lg_u32 s3, 0
	s_delay_alu instid0(VALU_DEP_2) | instskip(SKIP_1) | instid1(VALU_DEP_1)
	v_lshlrev_b64 v[2:3], 2, v[1:2]
	s_waitcnt lgkmcnt(0)
	v_add_co_u32 v2, vcc_lo, s4, v2
	s_delay_alu instid0(VALU_DEP_2) | instskip(SKIP_4) | instid1(VALU_DEP_2)
	v_add_co_ci_u32_e32 v3, vcc_lo, s5, v3, vcc_lo
	global_load_b64 v[2:3], v[2:3], off
	s_waitcnt vmcnt(0)
	v_subrev_nc_u32_e32 v2, s18, v2
	v_subrev_nc_u32_e32 v9, s18, v3
	v_add_nc_u32_e32 v2, v2, v0
	s_delay_alu instid0(VALU_DEP_1)
	v_cmp_lt_i32_e64 s2, v2, v9
	s_cbranch_scc0 .LBB12_12
; %bb.7:
	v_dual_mov_b32 v7, 0 :: v_dual_mov_b32 v8, 0
	s_mov_b32 s3, 0
	s_delay_alu instid0(VALU_DEP_2)
	s_and_saveexec_b32 s4, s2
	s_cbranch_execz .LBB12_11
; %bb.8:
	v_dual_mov_b32 v4, 0 :: v_dual_lshlrev_b32 v3, 3, v2
	v_mov_b32_e32 v5, v2
	s_mov_b32 s5, 0
	s_delay_alu instid0(VALU_DEP_2)
	v_mov_b32_e32 v8, v4
	v_mov_b32_e32 v7, v4
	s_set_inst_prefetch_distance 0x1
	.p2align	6
.LBB12_9:                               ; =>This Inner Loop Header: Depth=1
	v_ashrrev_i32_e32 v6, 31, v5
	s_delay_alu instid0(VALU_DEP_1) | instskip(NEXT) | instid1(VALU_DEP_1)
	v_lshlrev_b64 v[10:11], 2, v[5:6]
	v_add_co_u32 v10, vcc_lo, s6, v10
	s_delay_alu instid0(VALU_DEP_2) | instskip(SKIP_3) | instid1(VALU_DEP_2)
	v_add_co_ci_u32_e32 v11, vcc_lo, s7, v11, vcc_lo
	global_load_b32 v6, v[10:11], off
	v_lshlrev_b64 v[10:11], 2, v[3:4]
	v_add_nc_u32_e32 v3, 0x80, v3
	v_add_co_u32 v14, vcc_lo, s8, v10
	s_delay_alu instid0(VALU_DEP_3) | instskip(SKIP_2) | instid1(VALU_DEP_1)
	v_add_co_ci_u32_e32 v15, vcc_lo, s9, v11, vcc_lo
	s_waitcnt vmcnt(0)
	v_subrev_nc_u32_e32 v6, s18, v6
	v_dual_mov_b32 v13, v4 :: v_dual_lshlrev_b32 v12, 2, v6
	s_delay_alu instid0(VALU_DEP_1) | instskip(NEXT) | instid1(VALU_DEP_1)
	v_lshlrev_b64 v[12:13], 2, v[12:13]
	v_add_co_u32 v18, vcc_lo, s10, v12
	s_delay_alu instid0(VALU_DEP_2)
	v_add_co_ci_u32_e32 v19, vcc_lo, s11, v13, vcc_lo
	s_clause 0x1
	global_load_b128 v[10:13], v[14:15], off offset:16
	global_load_b128 v[14:17], v[14:15], off
	global_load_b128 v[18:21], v[18:19], off
	s_waitcnt vmcnt(0)
	v_fmac_f32_e32 v8, v15, v18
	s_delay_alu instid0(VALU_DEP_1) | instskip(NEXT) | instid1(VALU_DEP_1)
	v_dual_fmac_f32 v7, v14, v18 :: v_dual_fmac_f32 v8, v17, v19
	v_fmac_f32_e32 v7, v16, v19
	s_delay_alu instid0(VALU_DEP_2) | instskip(NEXT) | instid1(VALU_DEP_2)
	v_dual_fmac_f32 v8, v11, v20 :: v_dual_add_nc_u32 v5, 16, v5
	v_fmac_f32_e32 v7, v10, v20
	s_delay_alu instid0(VALU_DEP_2) | instskip(NEXT) | instid1(VALU_DEP_3)
	v_cmp_ge_i32_e32 vcc_lo, v5, v9
	v_fmac_f32_e32 v8, v13, v21
	s_delay_alu instid0(VALU_DEP_3) | instskip(SKIP_1) | instid1(SALU_CYCLE_1)
	v_fmac_f32_e32 v7, v12, v21
	s_or_b32 s5, vcc_lo, s5
	s_and_not1_b32 exec_lo, exec_lo, s5
	s_cbranch_execnz .LBB12_9
; %bb.10:
	s_set_inst_prefetch_distance 0x2
	s_or_b32 exec_lo, exec_lo, s5
.LBB12_11:
	s_delay_alu instid0(SALU_CYCLE_1) | instskip(NEXT) | instid1(SALU_CYCLE_1)
	s_or_b32 exec_lo, exec_lo, s4
	s_and_not1_b32 vcc_lo, exec_lo, s3
	s_cbranch_vccz .LBB12_13
	s_branch .LBB12_18
.LBB12_12:
                                        ; implicit-def: $vgpr7
                                        ; implicit-def: $vgpr8
.LBB12_13:
	v_dual_mov_b32 v7, 0 :: v_dual_mov_b32 v8, 0
	s_delay_alu instid0(VALU_DEP_2)
	s_and_saveexec_b32 s3, s2
	s_cbranch_execz .LBB12_17
; %bb.14:
	v_dual_mov_b32 v5, 0 :: v_dual_lshlrev_b32 v4, 3, v2
	s_mov_b32 s2, 0
	s_delay_alu instid0(VALU_DEP_1)
	v_mov_b32_e32 v7, v5
	v_mov_b32_e32 v8, v5
	s_set_inst_prefetch_distance 0x1
	.p2align	6
.LBB12_15:                              ; =>This Inner Loop Header: Depth=1
	v_ashrrev_i32_e32 v3, 31, v2
	s_delay_alu instid0(VALU_DEP_1) | instskip(NEXT) | instid1(VALU_DEP_1)
	v_lshlrev_b64 v[10:11], 2, v[2:3]
	v_add_co_u32 v10, vcc_lo, s6, v10
	s_delay_alu instid0(VALU_DEP_2) | instskip(SKIP_3) | instid1(VALU_DEP_2)
	v_add_co_ci_u32_e32 v11, vcc_lo, s7, v11, vcc_lo
	global_load_b32 v3, v[10:11], off
	v_lshlrev_b64 v[10:11], 2, v[4:5]
	v_add_nc_u32_e32 v4, 0x80, v4
	v_add_co_u32 v14, vcc_lo, s8, v10
	s_delay_alu instid0(VALU_DEP_3) | instskip(SKIP_2) | instid1(VALU_DEP_1)
	v_add_co_ci_u32_e32 v15, vcc_lo, s9, v11, vcc_lo
	s_waitcnt vmcnt(0)
	v_subrev_nc_u32_e32 v3, s18, v3
	v_dual_mov_b32 v13, v5 :: v_dual_lshlrev_b32 v12, 2, v3
	s_delay_alu instid0(VALU_DEP_1) | instskip(NEXT) | instid1(VALU_DEP_1)
	v_lshlrev_b64 v[12:13], 2, v[12:13]
	v_add_co_u32 v18, vcc_lo, s10, v12
	s_delay_alu instid0(VALU_DEP_2)
	v_add_co_ci_u32_e32 v19, vcc_lo, s11, v13, vcc_lo
	s_clause 0x1
	global_load_b128 v[10:13], v[14:15], off offset:16
	global_load_b128 v[14:17], v[14:15], off
	global_load_b128 v[18:21], v[18:19], off
	s_waitcnt vmcnt(0)
	v_fmac_f32_e32 v8, v10, v18
	s_delay_alu instid0(VALU_DEP_1) | instskip(NEXT) | instid1(VALU_DEP_1)
	v_dual_fmac_f32 v7, v14, v18 :: v_dual_fmac_f32 v8, v11, v19
	v_dual_fmac_f32 v7, v15, v19 :: v_dual_add_nc_u32 v2, 16, v2
	s_delay_alu instid0(VALU_DEP_1) | instskip(NEXT) | instid1(VALU_DEP_3)
	v_fmac_f32_e32 v7, v16, v20
	v_fmac_f32_e32 v8, v12, v20
	s_delay_alu instid0(VALU_DEP_3) | instskip(NEXT) | instid1(VALU_DEP_3)
	v_cmp_ge_i32_e32 vcc_lo, v2, v9
	v_fmac_f32_e32 v7, v17, v21
	s_delay_alu instid0(VALU_DEP_3) | instskip(SKIP_1) | instid1(SALU_CYCLE_1)
	v_fmac_f32_e32 v8, v13, v21
	s_or_b32 s2, vcc_lo, s2
	s_and_not1_b32 exec_lo, exec_lo, s2
	s_cbranch_execnz .LBB12_15
; %bb.16:
	s_set_inst_prefetch_distance 0x2
	s_or_b32 exec_lo, exec_lo, s2
.LBB12_17:
	s_delay_alu instid0(SALU_CYCLE_1)
	s_or_b32 exec_lo, exec_lo, s3
.LBB12_18:
	v_mbcnt_lo_u32_b32 v2, -1, 0
	s_mov_b32 s2, -1
	s_delay_alu instid0(VALU_DEP_1) | instskip(SKIP_1) | instid1(VALU_DEP_2)
	v_xor_b32_e32 v3, 8, v2
	v_xor_b32_e32 v5, 4, v2
	v_cmp_gt_i32_e32 vcc_lo, 32, v3
	v_cndmask_b32_e32 v3, v2, v3, vcc_lo
	s_delay_alu instid0(VALU_DEP_3) | instskip(NEXT) | instid1(VALU_DEP_2)
	v_cmp_gt_i32_e32 vcc_lo, 32, v5
	v_lshlrev_b32_e32 v3, 2, v3
	v_cndmask_b32_e32 v5, v2, v5, vcc_lo
	ds_bpermute_b32 v4, v3, v7
	s_waitcnt lgkmcnt(0)
	v_dual_add_f32 v4, v7, v4 :: v_dual_lshlrev_b32 v5, 2, v5
	v_xor_b32_e32 v7, 2, v2
	ds_bpermute_b32 v6, v5, v4
	v_cmp_gt_i32_e32 vcc_lo, 32, v7
	s_waitcnt lgkmcnt(0)
	v_add_f32_e32 v4, v4, v6
	ds_bpermute_b32 v3, v3, v8
	v_cndmask_b32_e32 v7, v2, v7, vcc_lo
	s_delay_alu instid0(VALU_DEP_1)
	v_lshlrev_b32_e32 v7, 2, v7
	s_waitcnt lgkmcnt(0)
	v_add_f32_e32 v3, v8, v3
	ds_bpermute_b32 v5, v5, v3
	s_waitcnt lgkmcnt(0)
	v_add_f32_e32 v3, v3, v5
	ds_bpermute_b32 v5, v7, v4
	ds_bpermute_b32 v6, v7, v3
	v_xor_b32_e32 v7, 1, v2
	s_delay_alu instid0(VALU_DEP_1) | instskip(SKIP_3) | instid1(VALU_DEP_2)
	v_cmp_gt_i32_e32 vcc_lo, 32, v7
	v_cndmask_b32_e32 v2, v2, v7, vcc_lo
	v_cmp_eq_u32_e32 vcc_lo, 15, v0
	s_waitcnt lgkmcnt(1)
	v_dual_add_f32 v2, v4, v5 :: v_dual_lshlrev_b32 v7, 2, v2
	s_waitcnt lgkmcnt(0)
	v_add_f32_e32 v3, v3, v6
	ds_bpermute_b32 v4, v7, v2
	ds_bpermute_b32 v5, v7, v3
	s_and_b32 exec_lo, exec_lo, vcc_lo
	s_cbranch_execz .LBB12_23
; %bb.19:
	s_load_b64 s[0:1], s[0:1], 0x38
	s_waitcnt lgkmcnt(0)
	v_dual_add_f32 v0, v2, v4 :: v_dual_add_f32 v3, v3, v5
	v_cmp_eq_f32_e64 s3, s12, 0
	s_delay_alu instid0(VALU_DEP_2) | instskip(SKIP_1) | instid1(VALU_DEP_3)
	v_dual_mul_f32 v2, s16, v0 :: v_dual_mul_f32 v3, s16, v3
	v_lshlrev_b32_e32 v0, 1, v1
	s_and_b32 vcc_lo, exec_lo, s3
	s_cbranch_vccz .LBB12_21
; %bb.20:
	s_delay_alu instid0(VALU_DEP_1) | instskip(SKIP_1) | instid1(VALU_DEP_1)
	v_ashrrev_i32_e32 v1, 31, v0
	s_mov_b32 s2, 0
	v_lshlrev_b64 v[4:5], 2, v[0:1]
	s_delay_alu instid0(VALU_DEP_1) | instskip(NEXT) | instid1(VALU_DEP_2)
	v_add_co_u32 v4, vcc_lo, s0, v4
	v_add_co_ci_u32_e32 v5, vcc_lo, s1, v5, vcc_lo
	global_store_b64 v[4:5], v[2:3], off
.LBB12_21:
	s_and_not1_b32 vcc_lo, exec_lo, s2
	s_cbranch_vccnz .LBB12_23
; %bb.22:
	v_ashrrev_i32_e32 v1, 31, v0
	s_delay_alu instid0(VALU_DEP_1) | instskip(NEXT) | instid1(VALU_DEP_1)
	v_lshlrev_b64 v[0:1], 2, v[0:1]
	v_add_co_u32 v0, vcc_lo, s0, v0
	s_delay_alu instid0(VALU_DEP_2)
	v_add_co_ci_u32_e32 v1, vcc_lo, s1, v1, vcc_lo
	global_load_b64 v[4:5], v[0:1], off
	s_waitcnt vmcnt(0)
	v_dual_fmac_f32 v2, s12, v4 :: v_dual_fmac_f32 v3, s12, v5
	global_store_b64 v[0:1], v[2:3], off
.LBB12_23:
	s_nop 0
	s_sendmsg sendmsg(MSG_DEALLOC_VGPRS)
	s_endpgm
	.section	.rodata,"a",@progbits
	.p2align	6, 0x0
	.amdhsa_kernel _ZN9rocsparseL19gebsrmvn_2xn_kernelILj128ELj4ELj16EfEEvi20rocsparse_direction_NS_24const_host_device_scalarIT2_EEPKiS6_PKS3_S8_S4_PS3_21rocsparse_index_base_b
		.amdhsa_group_segment_fixed_size 0
		.amdhsa_private_segment_fixed_size 0
		.amdhsa_kernarg_size 72
		.amdhsa_user_sgpr_count 15
		.amdhsa_user_sgpr_dispatch_ptr 0
		.amdhsa_user_sgpr_queue_ptr 0
		.amdhsa_user_sgpr_kernarg_segment_ptr 1
		.amdhsa_user_sgpr_dispatch_id 0
		.amdhsa_user_sgpr_private_segment_size 0
		.amdhsa_wavefront_size32 1
		.amdhsa_uses_dynamic_stack 0
		.amdhsa_enable_private_segment 0
		.amdhsa_system_sgpr_workgroup_id_x 1
		.amdhsa_system_sgpr_workgroup_id_y 0
		.amdhsa_system_sgpr_workgroup_id_z 0
		.amdhsa_system_sgpr_workgroup_info 0
		.amdhsa_system_vgpr_workitem_id 0
		.amdhsa_next_free_vgpr 22
		.amdhsa_next_free_sgpr 20
		.amdhsa_reserve_vcc 1
		.amdhsa_float_round_mode_32 0
		.amdhsa_float_round_mode_16_64 0
		.amdhsa_float_denorm_mode_32 3
		.amdhsa_float_denorm_mode_16_64 3
		.amdhsa_dx10_clamp 1
		.amdhsa_ieee_mode 1
		.amdhsa_fp16_overflow 0
		.amdhsa_workgroup_processor_mode 1
		.amdhsa_memory_ordered 1
		.amdhsa_forward_progress 0
		.amdhsa_shared_vgpr_count 0
		.amdhsa_exception_fp_ieee_invalid_op 0
		.amdhsa_exception_fp_denorm_src 0
		.amdhsa_exception_fp_ieee_div_zero 0
		.amdhsa_exception_fp_ieee_overflow 0
		.amdhsa_exception_fp_ieee_underflow 0
		.amdhsa_exception_fp_ieee_inexact 0
		.amdhsa_exception_int_div_zero 0
	.end_amdhsa_kernel
	.section	.text._ZN9rocsparseL19gebsrmvn_2xn_kernelILj128ELj4ELj16EfEEvi20rocsparse_direction_NS_24const_host_device_scalarIT2_EEPKiS6_PKS3_S8_S4_PS3_21rocsparse_index_base_b,"axG",@progbits,_ZN9rocsparseL19gebsrmvn_2xn_kernelILj128ELj4ELj16EfEEvi20rocsparse_direction_NS_24const_host_device_scalarIT2_EEPKiS6_PKS3_S8_S4_PS3_21rocsparse_index_base_b,comdat
.Lfunc_end12:
	.size	_ZN9rocsparseL19gebsrmvn_2xn_kernelILj128ELj4ELj16EfEEvi20rocsparse_direction_NS_24const_host_device_scalarIT2_EEPKiS6_PKS3_S8_S4_PS3_21rocsparse_index_base_b, .Lfunc_end12-_ZN9rocsparseL19gebsrmvn_2xn_kernelILj128ELj4ELj16EfEEvi20rocsparse_direction_NS_24const_host_device_scalarIT2_EEPKiS6_PKS3_S8_S4_PS3_21rocsparse_index_base_b
                                        ; -- End function
	.section	.AMDGPU.csdata,"",@progbits
; Kernel info:
; codeLenInByte = 1220
; NumSgprs: 22
; NumVgprs: 22
; ScratchSize: 0
; MemoryBound: 0
; FloatMode: 240
; IeeeMode: 1
; LDSByteSize: 0 bytes/workgroup (compile time only)
; SGPRBlocks: 2
; VGPRBlocks: 2
; NumSGPRsForWavesPerEU: 22
; NumVGPRsForWavesPerEU: 22
; Occupancy: 16
; WaveLimiterHint : 1
; COMPUTE_PGM_RSRC2:SCRATCH_EN: 0
; COMPUTE_PGM_RSRC2:USER_SGPR: 15
; COMPUTE_PGM_RSRC2:TRAP_HANDLER: 0
; COMPUTE_PGM_RSRC2:TGID_X_EN: 1
; COMPUTE_PGM_RSRC2:TGID_Y_EN: 0
; COMPUTE_PGM_RSRC2:TGID_Z_EN: 0
; COMPUTE_PGM_RSRC2:TIDIG_COMP_CNT: 0
	.section	.text._ZN9rocsparseL19gebsrmvn_2xn_kernelILj128ELj4ELj32EfEEvi20rocsparse_direction_NS_24const_host_device_scalarIT2_EEPKiS6_PKS3_S8_S4_PS3_21rocsparse_index_base_b,"axG",@progbits,_ZN9rocsparseL19gebsrmvn_2xn_kernelILj128ELj4ELj32EfEEvi20rocsparse_direction_NS_24const_host_device_scalarIT2_EEPKiS6_PKS3_S8_S4_PS3_21rocsparse_index_base_b,comdat
	.globl	_ZN9rocsparseL19gebsrmvn_2xn_kernelILj128ELj4ELj32EfEEvi20rocsparse_direction_NS_24const_host_device_scalarIT2_EEPKiS6_PKS3_S8_S4_PS3_21rocsparse_index_base_b ; -- Begin function _ZN9rocsparseL19gebsrmvn_2xn_kernelILj128ELj4ELj32EfEEvi20rocsparse_direction_NS_24const_host_device_scalarIT2_EEPKiS6_PKS3_S8_S4_PS3_21rocsparse_index_base_b
	.p2align	8
	.type	_ZN9rocsparseL19gebsrmvn_2xn_kernelILj128ELj4ELj32EfEEvi20rocsparse_direction_NS_24const_host_device_scalarIT2_EEPKiS6_PKS3_S8_S4_PS3_21rocsparse_index_base_b,@function
_ZN9rocsparseL19gebsrmvn_2xn_kernelILj128ELj4ELj32EfEEvi20rocsparse_direction_NS_24const_host_device_scalarIT2_EEPKiS6_PKS3_S8_S4_PS3_21rocsparse_index_base_b: ; @_ZN9rocsparseL19gebsrmvn_2xn_kernelILj128ELj4ELj32EfEEvi20rocsparse_direction_NS_24const_host_device_scalarIT2_EEPKiS6_PKS3_S8_S4_PS3_21rocsparse_index_base_b
; %bb.0:
	s_clause 0x2
	s_load_b64 s[18:19], s[0:1], 0x40
	s_load_b64 s[16:17], s[0:1], 0x8
	s_load_b64 s[12:13], s[0:1], 0x30
	s_waitcnt lgkmcnt(0)
	s_bitcmp1_b32 s19, 0
	s_cselect_b32 s2, -1, 0
	s_delay_alu instid0(SALU_CYCLE_1)
	s_and_b32 vcc_lo, exec_lo, s2
	s_xor_b32 s2, s2, -1
	s_cbranch_vccnz .LBB13_2
; %bb.1:
	s_load_b32 s16, s[16:17], 0x0
.LBB13_2:
	s_and_not1_b32 vcc_lo, exec_lo, s2
	s_cbranch_vccnz .LBB13_4
; %bb.3:
	s_load_b32 s12, s[12:13], 0x0
.LBB13_4:
	s_waitcnt lgkmcnt(0)
	v_cmp_eq_f32_e64 s2, s16, 0
	v_cmp_eq_f32_e64 s3, s12, 1.0
	s_delay_alu instid0(VALU_DEP_1) | instskip(NEXT) | instid1(SALU_CYCLE_1)
	s_and_b32 s2, s2, s3
	s_and_b32 vcc_lo, exec_lo, s2
	s_cbranch_vccnz .LBB13_23
; %bb.5:
	s_load_b64 s[2:3], s[0:1], 0x0
	v_lshrrev_b32_e32 v1, 5, v0
	s_delay_alu instid0(VALU_DEP_1) | instskip(SKIP_1) | instid1(VALU_DEP_1)
	v_lshl_or_b32 v1, s15, 2, v1
	s_waitcnt lgkmcnt(0)
	v_cmp_gt_i32_e32 vcc_lo, s2, v1
	s_and_saveexec_b32 s2, vcc_lo
	s_cbranch_execz .LBB13_23
; %bb.6:
	s_load_b256 s[4:11], s[0:1], 0x10
	v_ashrrev_i32_e32 v2, 31, v1
	v_and_b32_e32 v0, 31, v0
	s_cmp_lg_u32 s3, 0
	s_delay_alu instid0(VALU_DEP_2) | instskip(SKIP_1) | instid1(VALU_DEP_1)
	v_lshlrev_b64 v[2:3], 2, v[1:2]
	s_waitcnt lgkmcnt(0)
	v_add_co_u32 v2, vcc_lo, s4, v2
	s_delay_alu instid0(VALU_DEP_2) | instskip(SKIP_4) | instid1(VALU_DEP_2)
	v_add_co_ci_u32_e32 v3, vcc_lo, s5, v3, vcc_lo
	global_load_b64 v[2:3], v[2:3], off
	s_waitcnt vmcnt(0)
	v_subrev_nc_u32_e32 v2, s18, v2
	v_subrev_nc_u32_e32 v9, s18, v3
	v_add_nc_u32_e32 v2, v2, v0
	s_delay_alu instid0(VALU_DEP_1)
	v_cmp_lt_i32_e64 s2, v2, v9
	s_cbranch_scc0 .LBB13_12
; %bb.7:
	v_dual_mov_b32 v7, 0 :: v_dual_mov_b32 v8, 0
	s_mov_b32 s3, 0
	s_delay_alu instid0(VALU_DEP_2)
	s_and_saveexec_b32 s4, s2
	s_cbranch_execz .LBB13_11
; %bb.8:
	v_dual_mov_b32 v4, 0 :: v_dual_lshlrev_b32 v3, 3, v2
	v_mov_b32_e32 v5, v2
	s_mov_b32 s5, 0
	s_delay_alu instid0(VALU_DEP_2)
	v_mov_b32_e32 v8, v4
	v_mov_b32_e32 v7, v4
	s_set_inst_prefetch_distance 0x1
	.p2align	6
.LBB13_9:                               ; =>This Inner Loop Header: Depth=1
	v_ashrrev_i32_e32 v6, 31, v5
	s_delay_alu instid0(VALU_DEP_1) | instskip(NEXT) | instid1(VALU_DEP_1)
	v_lshlrev_b64 v[10:11], 2, v[5:6]
	v_add_co_u32 v10, vcc_lo, s6, v10
	s_delay_alu instid0(VALU_DEP_2) | instskip(SKIP_3) | instid1(VALU_DEP_2)
	v_add_co_ci_u32_e32 v11, vcc_lo, s7, v11, vcc_lo
	global_load_b32 v6, v[10:11], off
	v_lshlrev_b64 v[10:11], 2, v[3:4]
	v_add_nc_u32_e32 v3, 0x100, v3
	v_add_co_u32 v14, vcc_lo, s8, v10
	s_delay_alu instid0(VALU_DEP_3) | instskip(SKIP_2) | instid1(VALU_DEP_1)
	v_add_co_ci_u32_e32 v15, vcc_lo, s9, v11, vcc_lo
	s_waitcnt vmcnt(0)
	v_subrev_nc_u32_e32 v6, s18, v6
	v_dual_mov_b32 v13, v4 :: v_dual_lshlrev_b32 v12, 2, v6
	s_delay_alu instid0(VALU_DEP_1) | instskip(NEXT) | instid1(VALU_DEP_1)
	v_lshlrev_b64 v[12:13], 2, v[12:13]
	v_add_co_u32 v18, vcc_lo, s10, v12
	s_delay_alu instid0(VALU_DEP_2)
	v_add_co_ci_u32_e32 v19, vcc_lo, s11, v13, vcc_lo
	s_clause 0x1
	global_load_b128 v[10:13], v[14:15], off offset:16
	global_load_b128 v[14:17], v[14:15], off
	global_load_b128 v[18:21], v[18:19], off
	s_waitcnt vmcnt(0)
	v_fmac_f32_e32 v8, v15, v18
	s_delay_alu instid0(VALU_DEP_1) | instskip(NEXT) | instid1(VALU_DEP_1)
	v_dual_fmac_f32 v7, v14, v18 :: v_dual_fmac_f32 v8, v17, v19
	v_fmac_f32_e32 v7, v16, v19
	s_delay_alu instid0(VALU_DEP_2) | instskip(NEXT) | instid1(VALU_DEP_2)
	v_dual_fmac_f32 v8, v11, v20 :: v_dual_add_nc_u32 v5, 32, v5
	v_fmac_f32_e32 v7, v10, v20
	s_delay_alu instid0(VALU_DEP_2) | instskip(NEXT) | instid1(VALU_DEP_3)
	v_cmp_ge_i32_e32 vcc_lo, v5, v9
	v_fmac_f32_e32 v8, v13, v21
	s_delay_alu instid0(VALU_DEP_3) | instskip(SKIP_1) | instid1(SALU_CYCLE_1)
	v_fmac_f32_e32 v7, v12, v21
	s_or_b32 s5, vcc_lo, s5
	s_and_not1_b32 exec_lo, exec_lo, s5
	s_cbranch_execnz .LBB13_9
; %bb.10:
	s_set_inst_prefetch_distance 0x2
	s_or_b32 exec_lo, exec_lo, s5
.LBB13_11:
	s_delay_alu instid0(SALU_CYCLE_1) | instskip(NEXT) | instid1(SALU_CYCLE_1)
	s_or_b32 exec_lo, exec_lo, s4
	s_and_not1_b32 vcc_lo, exec_lo, s3
	s_cbranch_vccz .LBB13_13
	s_branch .LBB13_18
.LBB13_12:
                                        ; implicit-def: $vgpr7
                                        ; implicit-def: $vgpr8
.LBB13_13:
	v_dual_mov_b32 v7, 0 :: v_dual_mov_b32 v8, 0
	s_delay_alu instid0(VALU_DEP_2)
	s_and_saveexec_b32 s3, s2
	s_cbranch_execz .LBB13_17
; %bb.14:
	v_dual_mov_b32 v5, 0 :: v_dual_lshlrev_b32 v4, 3, v2
	s_mov_b32 s2, 0
	s_delay_alu instid0(VALU_DEP_1)
	v_mov_b32_e32 v7, v5
	v_mov_b32_e32 v8, v5
	s_set_inst_prefetch_distance 0x1
	.p2align	6
.LBB13_15:                              ; =>This Inner Loop Header: Depth=1
	v_ashrrev_i32_e32 v3, 31, v2
	s_delay_alu instid0(VALU_DEP_1) | instskip(NEXT) | instid1(VALU_DEP_1)
	v_lshlrev_b64 v[10:11], 2, v[2:3]
	v_add_co_u32 v10, vcc_lo, s6, v10
	s_delay_alu instid0(VALU_DEP_2) | instskip(SKIP_3) | instid1(VALU_DEP_2)
	v_add_co_ci_u32_e32 v11, vcc_lo, s7, v11, vcc_lo
	global_load_b32 v3, v[10:11], off
	v_lshlrev_b64 v[10:11], 2, v[4:5]
	v_add_nc_u32_e32 v4, 0x100, v4
	v_add_co_u32 v14, vcc_lo, s8, v10
	s_delay_alu instid0(VALU_DEP_3) | instskip(SKIP_2) | instid1(VALU_DEP_1)
	v_add_co_ci_u32_e32 v15, vcc_lo, s9, v11, vcc_lo
	s_waitcnt vmcnt(0)
	v_subrev_nc_u32_e32 v3, s18, v3
	v_dual_mov_b32 v13, v5 :: v_dual_lshlrev_b32 v12, 2, v3
	s_delay_alu instid0(VALU_DEP_1) | instskip(NEXT) | instid1(VALU_DEP_1)
	v_lshlrev_b64 v[12:13], 2, v[12:13]
	v_add_co_u32 v18, vcc_lo, s10, v12
	s_delay_alu instid0(VALU_DEP_2)
	v_add_co_ci_u32_e32 v19, vcc_lo, s11, v13, vcc_lo
	s_clause 0x1
	global_load_b128 v[10:13], v[14:15], off offset:16
	global_load_b128 v[14:17], v[14:15], off
	global_load_b128 v[18:21], v[18:19], off
	s_waitcnt vmcnt(0)
	v_fmac_f32_e32 v8, v10, v18
	s_delay_alu instid0(VALU_DEP_1) | instskip(NEXT) | instid1(VALU_DEP_1)
	v_dual_fmac_f32 v7, v14, v18 :: v_dual_fmac_f32 v8, v11, v19
	v_dual_fmac_f32 v7, v15, v19 :: v_dual_add_nc_u32 v2, 32, v2
	s_delay_alu instid0(VALU_DEP_1) | instskip(NEXT) | instid1(VALU_DEP_3)
	v_fmac_f32_e32 v7, v16, v20
	v_fmac_f32_e32 v8, v12, v20
	s_delay_alu instid0(VALU_DEP_3) | instskip(NEXT) | instid1(VALU_DEP_3)
	v_cmp_ge_i32_e32 vcc_lo, v2, v9
	v_fmac_f32_e32 v7, v17, v21
	s_delay_alu instid0(VALU_DEP_3) | instskip(SKIP_1) | instid1(SALU_CYCLE_1)
	v_fmac_f32_e32 v8, v13, v21
	s_or_b32 s2, vcc_lo, s2
	s_and_not1_b32 exec_lo, exec_lo, s2
	s_cbranch_execnz .LBB13_15
; %bb.16:
	s_set_inst_prefetch_distance 0x2
	s_or_b32 exec_lo, exec_lo, s2
.LBB13_17:
	s_delay_alu instid0(SALU_CYCLE_1)
	s_or_b32 exec_lo, exec_lo, s3
.LBB13_18:
	v_mbcnt_lo_u32_b32 v2, -1, 0
	s_mov_b32 s2, -1
	s_delay_alu instid0(VALU_DEP_1) | instskip(SKIP_1) | instid1(VALU_DEP_2)
	v_xor_b32_e32 v3, 16, v2
	v_xor_b32_e32 v5, 8, v2
	v_cmp_gt_i32_e32 vcc_lo, 32, v3
	v_cndmask_b32_e32 v3, v2, v3, vcc_lo
	s_delay_alu instid0(VALU_DEP_3) | instskip(NEXT) | instid1(VALU_DEP_2)
	v_cmp_gt_i32_e32 vcc_lo, 32, v5
	v_lshlrev_b32_e32 v3, 2, v3
	v_cndmask_b32_e32 v5, v2, v5, vcc_lo
	ds_bpermute_b32 v4, v3, v7
	s_waitcnt lgkmcnt(0)
	v_dual_add_f32 v4, v7, v4 :: v_dual_lshlrev_b32 v5, 2, v5
	v_xor_b32_e32 v7, 4, v2
	ds_bpermute_b32 v6, v5, v4
	v_cmp_gt_i32_e32 vcc_lo, 32, v7
	s_waitcnt lgkmcnt(0)
	v_add_f32_e32 v4, v4, v6
	ds_bpermute_b32 v3, v3, v8
	v_cndmask_b32_e32 v7, v2, v7, vcc_lo
	s_delay_alu instid0(VALU_DEP_1)
	v_lshlrev_b32_e32 v7, 2, v7
	s_waitcnt lgkmcnt(0)
	v_add_f32_e32 v3, v8, v3
	ds_bpermute_b32 v5, v5, v3
	s_waitcnt lgkmcnt(0)
	v_add_f32_e32 v3, v3, v5
	ds_bpermute_b32 v5, v7, v4
	ds_bpermute_b32 v6, v7, v3
	v_xor_b32_e32 v7, 2, v2
	s_delay_alu instid0(VALU_DEP_1) | instskip(SKIP_2) | instid1(VALU_DEP_1)
	v_cmp_gt_i32_e32 vcc_lo, 32, v7
	v_cndmask_b32_e32 v7, v2, v7, vcc_lo
	s_waitcnt lgkmcnt(1)
	v_dual_add_f32 v4, v4, v5 :: v_dual_lshlrev_b32 v7, 2, v7
	s_waitcnt lgkmcnt(0)
	v_add_f32_e32 v3, v3, v6
	ds_bpermute_b32 v5, v7, v4
	ds_bpermute_b32 v6, v7, v3
	v_xor_b32_e32 v7, 1, v2
	s_delay_alu instid0(VALU_DEP_1) | instskip(SKIP_3) | instid1(VALU_DEP_2)
	v_cmp_gt_i32_e32 vcc_lo, 32, v7
	v_cndmask_b32_e32 v2, v2, v7, vcc_lo
	v_cmp_eq_u32_e32 vcc_lo, 31, v0
	s_waitcnt lgkmcnt(1)
	v_dual_add_f32 v2, v4, v5 :: v_dual_lshlrev_b32 v7, 2, v2
	s_waitcnt lgkmcnt(0)
	v_add_f32_e32 v3, v3, v6
	ds_bpermute_b32 v4, v7, v2
	ds_bpermute_b32 v5, v7, v3
	s_and_b32 exec_lo, exec_lo, vcc_lo
	s_cbranch_execz .LBB13_23
; %bb.19:
	s_load_b64 s[0:1], s[0:1], 0x38
	s_waitcnt lgkmcnt(0)
	v_dual_add_f32 v0, v2, v4 :: v_dual_add_f32 v3, v3, v5
	v_cmp_eq_f32_e64 s3, s12, 0
	s_delay_alu instid0(VALU_DEP_2) | instskip(SKIP_1) | instid1(VALU_DEP_3)
	v_dual_mul_f32 v2, s16, v0 :: v_dual_mul_f32 v3, s16, v3
	v_lshlrev_b32_e32 v0, 1, v1
	s_and_b32 vcc_lo, exec_lo, s3
	s_cbranch_vccz .LBB13_21
; %bb.20:
	s_delay_alu instid0(VALU_DEP_1) | instskip(SKIP_1) | instid1(VALU_DEP_1)
	v_ashrrev_i32_e32 v1, 31, v0
	s_mov_b32 s2, 0
	v_lshlrev_b64 v[4:5], 2, v[0:1]
	s_delay_alu instid0(VALU_DEP_1) | instskip(NEXT) | instid1(VALU_DEP_2)
	v_add_co_u32 v4, vcc_lo, s0, v4
	v_add_co_ci_u32_e32 v5, vcc_lo, s1, v5, vcc_lo
	global_store_b64 v[4:5], v[2:3], off
.LBB13_21:
	s_and_not1_b32 vcc_lo, exec_lo, s2
	s_cbranch_vccnz .LBB13_23
; %bb.22:
	v_ashrrev_i32_e32 v1, 31, v0
	s_delay_alu instid0(VALU_DEP_1) | instskip(NEXT) | instid1(VALU_DEP_1)
	v_lshlrev_b64 v[0:1], 2, v[0:1]
	v_add_co_u32 v0, vcc_lo, s0, v0
	s_delay_alu instid0(VALU_DEP_2)
	v_add_co_ci_u32_e32 v1, vcc_lo, s1, v1, vcc_lo
	global_load_b64 v[4:5], v[0:1], off
	s_waitcnt vmcnt(0)
	v_dual_fmac_f32 v2, s12, v4 :: v_dual_fmac_f32 v3, s12, v5
	global_store_b64 v[0:1], v[2:3], off
.LBB13_23:
	s_nop 0
	s_sendmsg sendmsg(MSG_DEALLOC_VGPRS)
	s_endpgm
	.section	.rodata,"a",@progbits
	.p2align	6, 0x0
	.amdhsa_kernel _ZN9rocsparseL19gebsrmvn_2xn_kernelILj128ELj4ELj32EfEEvi20rocsparse_direction_NS_24const_host_device_scalarIT2_EEPKiS6_PKS3_S8_S4_PS3_21rocsparse_index_base_b
		.amdhsa_group_segment_fixed_size 0
		.amdhsa_private_segment_fixed_size 0
		.amdhsa_kernarg_size 72
		.amdhsa_user_sgpr_count 15
		.amdhsa_user_sgpr_dispatch_ptr 0
		.amdhsa_user_sgpr_queue_ptr 0
		.amdhsa_user_sgpr_kernarg_segment_ptr 1
		.amdhsa_user_sgpr_dispatch_id 0
		.amdhsa_user_sgpr_private_segment_size 0
		.amdhsa_wavefront_size32 1
		.amdhsa_uses_dynamic_stack 0
		.amdhsa_enable_private_segment 0
		.amdhsa_system_sgpr_workgroup_id_x 1
		.amdhsa_system_sgpr_workgroup_id_y 0
		.amdhsa_system_sgpr_workgroup_id_z 0
		.amdhsa_system_sgpr_workgroup_info 0
		.amdhsa_system_vgpr_workitem_id 0
		.amdhsa_next_free_vgpr 22
		.amdhsa_next_free_sgpr 20
		.amdhsa_reserve_vcc 1
		.amdhsa_float_round_mode_32 0
		.amdhsa_float_round_mode_16_64 0
		.amdhsa_float_denorm_mode_32 3
		.amdhsa_float_denorm_mode_16_64 3
		.amdhsa_dx10_clamp 1
		.amdhsa_ieee_mode 1
		.amdhsa_fp16_overflow 0
		.amdhsa_workgroup_processor_mode 1
		.amdhsa_memory_ordered 1
		.amdhsa_forward_progress 0
		.amdhsa_shared_vgpr_count 0
		.amdhsa_exception_fp_ieee_invalid_op 0
		.amdhsa_exception_fp_denorm_src 0
		.amdhsa_exception_fp_ieee_div_zero 0
		.amdhsa_exception_fp_ieee_overflow 0
		.amdhsa_exception_fp_ieee_underflow 0
		.amdhsa_exception_fp_ieee_inexact 0
		.amdhsa_exception_int_div_zero 0
	.end_amdhsa_kernel
	.section	.text._ZN9rocsparseL19gebsrmvn_2xn_kernelILj128ELj4ELj32EfEEvi20rocsparse_direction_NS_24const_host_device_scalarIT2_EEPKiS6_PKS3_S8_S4_PS3_21rocsparse_index_base_b,"axG",@progbits,_ZN9rocsparseL19gebsrmvn_2xn_kernelILj128ELj4ELj32EfEEvi20rocsparse_direction_NS_24const_host_device_scalarIT2_EEPKiS6_PKS3_S8_S4_PS3_21rocsparse_index_base_b,comdat
.Lfunc_end13:
	.size	_ZN9rocsparseL19gebsrmvn_2xn_kernelILj128ELj4ELj32EfEEvi20rocsparse_direction_NS_24const_host_device_scalarIT2_EEPKiS6_PKS3_S8_S4_PS3_21rocsparse_index_base_b, .Lfunc_end13-_ZN9rocsparseL19gebsrmvn_2xn_kernelILj128ELj4ELj32EfEEvi20rocsparse_direction_NS_24const_host_device_scalarIT2_EEPKiS6_PKS3_S8_S4_PS3_21rocsparse_index_base_b
                                        ; -- End function
	.section	.AMDGPU.csdata,"",@progbits
; Kernel info:
; codeLenInByte = 1272
; NumSgprs: 22
; NumVgprs: 22
; ScratchSize: 0
; MemoryBound: 0
; FloatMode: 240
; IeeeMode: 1
; LDSByteSize: 0 bytes/workgroup (compile time only)
; SGPRBlocks: 2
; VGPRBlocks: 2
; NumSGPRsForWavesPerEU: 22
; NumVGPRsForWavesPerEU: 22
; Occupancy: 16
; WaveLimiterHint : 1
; COMPUTE_PGM_RSRC2:SCRATCH_EN: 0
; COMPUTE_PGM_RSRC2:USER_SGPR: 15
; COMPUTE_PGM_RSRC2:TRAP_HANDLER: 0
; COMPUTE_PGM_RSRC2:TGID_X_EN: 1
; COMPUTE_PGM_RSRC2:TGID_Y_EN: 0
; COMPUTE_PGM_RSRC2:TGID_Z_EN: 0
; COMPUTE_PGM_RSRC2:TIDIG_COMP_CNT: 0
	.section	.text._ZN9rocsparseL19gebsrmvn_2xn_kernelILj128ELj4ELj64EfEEvi20rocsparse_direction_NS_24const_host_device_scalarIT2_EEPKiS6_PKS3_S8_S4_PS3_21rocsparse_index_base_b,"axG",@progbits,_ZN9rocsparseL19gebsrmvn_2xn_kernelILj128ELj4ELj64EfEEvi20rocsparse_direction_NS_24const_host_device_scalarIT2_EEPKiS6_PKS3_S8_S4_PS3_21rocsparse_index_base_b,comdat
	.globl	_ZN9rocsparseL19gebsrmvn_2xn_kernelILj128ELj4ELj64EfEEvi20rocsparse_direction_NS_24const_host_device_scalarIT2_EEPKiS6_PKS3_S8_S4_PS3_21rocsparse_index_base_b ; -- Begin function _ZN9rocsparseL19gebsrmvn_2xn_kernelILj128ELj4ELj64EfEEvi20rocsparse_direction_NS_24const_host_device_scalarIT2_EEPKiS6_PKS3_S8_S4_PS3_21rocsparse_index_base_b
	.p2align	8
	.type	_ZN9rocsparseL19gebsrmvn_2xn_kernelILj128ELj4ELj64EfEEvi20rocsparse_direction_NS_24const_host_device_scalarIT2_EEPKiS6_PKS3_S8_S4_PS3_21rocsparse_index_base_b,@function
_ZN9rocsparseL19gebsrmvn_2xn_kernelILj128ELj4ELj64EfEEvi20rocsparse_direction_NS_24const_host_device_scalarIT2_EEPKiS6_PKS3_S8_S4_PS3_21rocsparse_index_base_b: ; @_ZN9rocsparseL19gebsrmvn_2xn_kernelILj128ELj4ELj64EfEEvi20rocsparse_direction_NS_24const_host_device_scalarIT2_EEPKiS6_PKS3_S8_S4_PS3_21rocsparse_index_base_b
; %bb.0:
	s_clause 0x2
	s_load_b64 s[18:19], s[0:1], 0x40
	s_load_b64 s[16:17], s[0:1], 0x8
	s_load_b64 s[12:13], s[0:1], 0x30
	s_waitcnt lgkmcnt(0)
	s_bitcmp1_b32 s19, 0
	s_cselect_b32 s2, -1, 0
	s_delay_alu instid0(SALU_CYCLE_1)
	s_and_b32 vcc_lo, exec_lo, s2
	s_xor_b32 s2, s2, -1
	s_cbranch_vccnz .LBB14_2
; %bb.1:
	s_load_b32 s16, s[16:17], 0x0
.LBB14_2:
	s_and_not1_b32 vcc_lo, exec_lo, s2
	s_cbranch_vccnz .LBB14_4
; %bb.3:
	s_load_b32 s12, s[12:13], 0x0
.LBB14_4:
	s_waitcnt lgkmcnt(0)
	v_cmp_eq_f32_e64 s2, s16, 0
	v_cmp_eq_f32_e64 s3, s12, 1.0
	s_delay_alu instid0(VALU_DEP_1) | instskip(NEXT) | instid1(SALU_CYCLE_1)
	s_and_b32 s2, s2, s3
	s_and_b32 vcc_lo, exec_lo, s2
	s_cbranch_vccnz .LBB14_23
; %bb.5:
	s_load_b64 s[2:3], s[0:1], 0x0
	v_lshrrev_b32_e32 v1, 6, v0
	s_delay_alu instid0(VALU_DEP_1) | instskip(SKIP_1) | instid1(VALU_DEP_1)
	v_lshl_or_b32 v1, s15, 1, v1
	s_waitcnt lgkmcnt(0)
	v_cmp_gt_i32_e32 vcc_lo, s2, v1
	s_and_saveexec_b32 s2, vcc_lo
	s_cbranch_execz .LBB14_23
; %bb.6:
	s_load_b256 s[4:11], s[0:1], 0x10
	v_ashrrev_i32_e32 v2, 31, v1
	v_and_b32_e32 v0, 63, v0
	s_cmp_lg_u32 s3, 0
	s_delay_alu instid0(VALU_DEP_2) | instskip(SKIP_1) | instid1(VALU_DEP_1)
	v_lshlrev_b64 v[2:3], 2, v[1:2]
	s_waitcnt lgkmcnt(0)
	v_add_co_u32 v2, vcc_lo, s4, v2
	s_delay_alu instid0(VALU_DEP_2) | instskip(SKIP_4) | instid1(VALU_DEP_2)
	v_add_co_ci_u32_e32 v3, vcc_lo, s5, v3, vcc_lo
	global_load_b64 v[2:3], v[2:3], off
	s_waitcnt vmcnt(0)
	v_subrev_nc_u32_e32 v2, s18, v2
	v_subrev_nc_u32_e32 v9, s18, v3
	v_add_nc_u32_e32 v2, v2, v0
	s_delay_alu instid0(VALU_DEP_1)
	v_cmp_lt_i32_e64 s2, v2, v9
	s_cbranch_scc0 .LBB14_12
; %bb.7:
	v_dual_mov_b32 v7, 0 :: v_dual_mov_b32 v8, 0
	s_mov_b32 s3, 0
	s_delay_alu instid0(VALU_DEP_2)
	s_and_saveexec_b32 s4, s2
	s_cbranch_execz .LBB14_11
; %bb.8:
	v_dual_mov_b32 v4, 0 :: v_dual_lshlrev_b32 v3, 3, v2
	v_mov_b32_e32 v5, v2
	s_mov_b32 s5, 0
	s_delay_alu instid0(VALU_DEP_2)
	v_mov_b32_e32 v8, v4
	v_mov_b32_e32 v7, v4
	s_set_inst_prefetch_distance 0x1
	.p2align	6
.LBB14_9:                               ; =>This Inner Loop Header: Depth=1
	v_ashrrev_i32_e32 v6, 31, v5
	s_delay_alu instid0(VALU_DEP_1) | instskip(NEXT) | instid1(VALU_DEP_1)
	v_lshlrev_b64 v[10:11], 2, v[5:6]
	v_add_co_u32 v10, vcc_lo, s6, v10
	s_delay_alu instid0(VALU_DEP_2) | instskip(SKIP_3) | instid1(VALU_DEP_2)
	v_add_co_ci_u32_e32 v11, vcc_lo, s7, v11, vcc_lo
	global_load_b32 v6, v[10:11], off
	v_lshlrev_b64 v[10:11], 2, v[3:4]
	v_add_nc_u32_e32 v3, 0x200, v3
	v_add_co_u32 v14, vcc_lo, s8, v10
	s_delay_alu instid0(VALU_DEP_3) | instskip(SKIP_2) | instid1(VALU_DEP_1)
	v_add_co_ci_u32_e32 v15, vcc_lo, s9, v11, vcc_lo
	s_waitcnt vmcnt(0)
	v_subrev_nc_u32_e32 v6, s18, v6
	v_dual_mov_b32 v13, v4 :: v_dual_lshlrev_b32 v12, 2, v6
	s_delay_alu instid0(VALU_DEP_1) | instskip(NEXT) | instid1(VALU_DEP_1)
	v_lshlrev_b64 v[12:13], 2, v[12:13]
	v_add_co_u32 v18, vcc_lo, s10, v12
	s_delay_alu instid0(VALU_DEP_2)
	v_add_co_ci_u32_e32 v19, vcc_lo, s11, v13, vcc_lo
	s_clause 0x1
	global_load_b128 v[10:13], v[14:15], off offset:16
	global_load_b128 v[14:17], v[14:15], off
	global_load_b128 v[18:21], v[18:19], off
	s_waitcnt vmcnt(0)
	v_fmac_f32_e32 v8, v15, v18
	s_delay_alu instid0(VALU_DEP_1) | instskip(NEXT) | instid1(VALU_DEP_1)
	v_dual_fmac_f32 v7, v14, v18 :: v_dual_fmac_f32 v8, v17, v19
	v_fmac_f32_e32 v7, v16, v19
	s_delay_alu instid0(VALU_DEP_2) | instskip(NEXT) | instid1(VALU_DEP_2)
	v_dual_fmac_f32 v8, v11, v20 :: v_dual_add_nc_u32 v5, 64, v5
	v_fmac_f32_e32 v7, v10, v20
	s_delay_alu instid0(VALU_DEP_2) | instskip(NEXT) | instid1(VALU_DEP_3)
	v_cmp_ge_i32_e32 vcc_lo, v5, v9
	v_fmac_f32_e32 v8, v13, v21
	s_delay_alu instid0(VALU_DEP_3) | instskip(SKIP_1) | instid1(SALU_CYCLE_1)
	v_fmac_f32_e32 v7, v12, v21
	s_or_b32 s5, vcc_lo, s5
	s_and_not1_b32 exec_lo, exec_lo, s5
	s_cbranch_execnz .LBB14_9
; %bb.10:
	s_set_inst_prefetch_distance 0x2
	s_or_b32 exec_lo, exec_lo, s5
.LBB14_11:
	s_delay_alu instid0(SALU_CYCLE_1) | instskip(NEXT) | instid1(SALU_CYCLE_1)
	s_or_b32 exec_lo, exec_lo, s4
	s_and_not1_b32 vcc_lo, exec_lo, s3
	s_cbranch_vccz .LBB14_13
	s_branch .LBB14_18
.LBB14_12:
                                        ; implicit-def: $vgpr7
                                        ; implicit-def: $vgpr8
.LBB14_13:
	v_dual_mov_b32 v7, 0 :: v_dual_mov_b32 v8, 0
	s_delay_alu instid0(VALU_DEP_2)
	s_and_saveexec_b32 s3, s2
	s_cbranch_execz .LBB14_17
; %bb.14:
	v_dual_mov_b32 v5, 0 :: v_dual_lshlrev_b32 v4, 3, v2
	s_mov_b32 s2, 0
	s_delay_alu instid0(VALU_DEP_1)
	v_mov_b32_e32 v7, v5
	v_mov_b32_e32 v8, v5
	s_set_inst_prefetch_distance 0x1
	.p2align	6
.LBB14_15:                              ; =>This Inner Loop Header: Depth=1
	v_ashrrev_i32_e32 v3, 31, v2
	s_delay_alu instid0(VALU_DEP_1) | instskip(NEXT) | instid1(VALU_DEP_1)
	v_lshlrev_b64 v[10:11], 2, v[2:3]
	v_add_co_u32 v10, vcc_lo, s6, v10
	s_delay_alu instid0(VALU_DEP_2) | instskip(SKIP_3) | instid1(VALU_DEP_2)
	v_add_co_ci_u32_e32 v11, vcc_lo, s7, v11, vcc_lo
	global_load_b32 v3, v[10:11], off
	v_lshlrev_b64 v[10:11], 2, v[4:5]
	v_add_nc_u32_e32 v4, 0x200, v4
	v_add_co_u32 v14, vcc_lo, s8, v10
	s_delay_alu instid0(VALU_DEP_3) | instskip(SKIP_2) | instid1(VALU_DEP_1)
	v_add_co_ci_u32_e32 v15, vcc_lo, s9, v11, vcc_lo
	s_waitcnt vmcnt(0)
	v_subrev_nc_u32_e32 v3, s18, v3
	v_dual_mov_b32 v13, v5 :: v_dual_lshlrev_b32 v12, 2, v3
	s_delay_alu instid0(VALU_DEP_1) | instskip(NEXT) | instid1(VALU_DEP_1)
	v_lshlrev_b64 v[12:13], 2, v[12:13]
	v_add_co_u32 v18, vcc_lo, s10, v12
	s_delay_alu instid0(VALU_DEP_2)
	v_add_co_ci_u32_e32 v19, vcc_lo, s11, v13, vcc_lo
	s_clause 0x1
	global_load_b128 v[10:13], v[14:15], off offset:16
	global_load_b128 v[14:17], v[14:15], off
	global_load_b128 v[18:21], v[18:19], off
	s_waitcnt vmcnt(0)
	v_fmac_f32_e32 v8, v10, v18
	s_delay_alu instid0(VALU_DEP_1) | instskip(NEXT) | instid1(VALU_DEP_1)
	v_dual_fmac_f32 v7, v14, v18 :: v_dual_fmac_f32 v8, v11, v19
	v_dual_fmac_f32 v7, v15, v19 :: v_dual_add_nc_u32 v2, 64, v2
	s_delay_alu instid0(VALU_DEP_1) | instskip(NEXT) | instid1(VALU_DEP_3)
	v_fmac_f32_e32 v7, v16, v20
	v_fmac_f32_e32 v8, v12, v20
	s_delay_alu instid0(VALU_DEP_3) | instskip(NEXT) | instid1(VALU_DEP_3)
	v_cmp_ge_i32_e32 vcc_lo, v2, v9
	v_fmac_f32_e32 v7, v17, v21
	s_delay_alu instid0(VALU_DEP_3) | instskip(SKIP_1) | instid1(SALU_CYCLE_1)
	v_fmac_f32_e32 v8, v13, v21
	s_or_b32 s2, vcc_lo, s2
	s_and_not1_b32 exec_lo, exec_lo, s2
	s_cbranch_execnz .LBB14_15
; %bb.16:
	s_set_inst_prefetch_distance 0x2
	s_or_b32 exec_lo, exec_lo, s2
.LBB14_17:
	s_delay_alu instid0(SALU_CYCLE_1)
	s_or_b32 exec_lo, exec_lo, s3
.LBB14_18:
	v_mbcnt_lo_u32_b32 v2, -1, 0
	s_mov_b32 s2, -1
	s_delay_alu instid0(VALU_DEP_1) | instskip(SKIP_1) | instid1(VALU_DEP_2)
	v_or_b32_e32 v3, 32, v2
	v_xor_b32_e32 v5, 16, v2
	v_cmp_gt_i32_e32 vcc_lo, 32, v3
	v_cndmask_b32_e32 v3, v2, v3, vcc_lo
	s_delay_alu instid0(VALU_DEP_3) | instskip(NEXT) | instid1(VALU_DEP_2)
	v_cmp_gt_i32_e32 vcc_lo, 32, v5
	v_lshlrev_b32_e32 v3, 2, v3
	v_cndmask_b32_e32 v5, v2, v5, vcc_lo
	ds_bpermute_b32 v4, v3, v7
	s_waitcnt lgkmcnt(0)
	v_dual_add_f32 v4, v7, v4 :: v_dual_lshlrev_b32 v5, 2, v5
	v_xor_b32_e32 v7, 8, v2
	ds_bpermute_b32 v6, v5, v4
	v_cmp_gt_i32_e32 vcc_lo, 32, v7
	s_waitcnt lgkmcnt(0)
	v_add_f32_e32 v4, v4, v6
	ds_bpermute_b32 v3, v3, v8
	v_cndmask_b32_e32 v7, v2, v7, vcc_lo
	s_delay_alu instid0(VALU_DEP_1)
	v_lshlrev_b32_e32 v7, 2, v7
	s_waitcnt lgkmcnt(0)
	v_add_f32_e32 v3, v8, v3
	ds_bpermute_b32 v5, v5, v3
	s_waitcnt lgkmcnt(0)
	v_add_f32_e32 v3, v3, v5
	ds_bpermute_b32 v5, v7, v4
	ds_bpermute_b32 v6, v7, v3
	v_xor_b32_e32 v7, 4, v2
	s_delay_alu instid0(VALU_DEP_1) | instskip(SKIP_2) | instid1(VALU_DEP_1)
	v_cmp_gt_i32_e32 vcc_lo, 32, v7
	v_cndmask_b32_e32 v7, v2, v7, vcc_lo
	s_waitcnt lgkmcnt(1)
	v_dual_add_f32 v4, v4, v5 :: v_dual_lshlrev_b32 v7, 2, v7
	s_waitcnt lgkmcnt(0)
	v_add_f32_e32 v3, v3, v6
	ds_bpermute_b32 v5, v7, v4
	ds_bpermute_b32 v6, v7, v3
	v_xor_b32_e32 v7, 2, v2
	s_delay_alu instid0(VALU_DEP_1) | instskip(SKIP_2) | instid1(VALU_DEP_1)
	v_cmp_gt_i32_e32 vcc_lo, 32, v7
	v_cndmask_b32_e32 v7, v2, v7, vcc_lo
	s_waitcnt lgkmcnt(1)
	v_dual_add_f32 v4, v4, v5 :: v_dual_lshlrev_b32 v7, 2, v7
	s_waitcnt lgkmcnt(0)
	v_add_f32_e32 v3, v3, v6
	ds_bpermute_b32 v5, v7, v4
	ds_bpermute_b32 v6, v7, v3
	v_xor_b32_e32 v7, 1, v2
	s_delay_alu instid0(VALU_DEP_1) | instskip(SKIP_3) | instid1(VALU_DEP_2)
	v_cmp_gt_i32_e32 vcc_lo, 32, v7
	v_cndmask_b32_e32 v2, v2, v7, vcc_lo
	v_cmp_eq_u32_e32 vcc_lo, 63, v0
	s_waitcnt lgkmcnt(1)
	v_dual_add_f32 v2, v4, v5 :: v_dual_lshlrev_b32 v7, 2, v2
	s_waitcnt lgkmcnt(0)
	v_add_f32_e32 v3, v3, v6
	ds_bpermute_b32 v4, v7, v2
	ds_bpermute_b32 v5, v7, v3
	s_and_b32 exec_lo, exec_lo, vcc_lo
	s_cbranch_execz .LBB14_23
; %bb.19:
	s_load_b64 s[0:1], s[0:1], 0x38
	s_waitcnt lgkmcnt(0)
	v_dual_add_f32 v0, v2, v4 :: v_dual_add_f32 v3, v3, v5
	v_cmp_eq_f32_e64 s3, s12, 0
	s_delay_alu instid0(VALU_DEP_2) | instskip(SKIP_1) | instid1(VALU_DEP_3)
	v_dual_mul_f32 v2, s16, v0 :: v_dual_mul_f32 v3, s16, v3
	v_lshlrev_b32_e32 v0, 1, v1
	s_and_b32 vcc_lo, exec_lo, s3
	s_cbranch_vccz .LBB14_21
; %bb.20:
	s_delay_alu instid0(VALU_DEP_1) | instskip(SKIP_1) | instid1(VALU_DEP_1)
	v_ashrrev_i32_e32 v1, 31, v0
	s_mov_b32 s2, 0
	v_lshlrev_b64 v[4:5], 2, v[0:1]
	s_delay_alu instid0(VALU_DEP_1) | instskip(NEXT) | instid1(VALU_DEP_2)
	v_add_co_u32 v4, vcc_lo, s0, v4
	v_add_co_ci_u32_e32 v5, vcc_lo, s1, v5, vcc_lo
	global_store_b64 v[4:5], v[2:3], off
.LBB14_21:
	s_and_not1_b32 vcc_lo, exec_lo, s2
	s_cbranch_vccnz .LBB14_23
; %bb.22:
	v_ashrrev_i32_e32 v1, 31, v0
	s_delay_alu instid0(VALU_DEP_1) | instskip(NEXT) | instid1(VALU_DEP_1)
	v_lshlrev_b64 v[0:1], 2, v[0:1]
	v_add_co_u32 v0, vcc_lo, s0, v0
	s_delay_alu instid0(VALU_DEP_2)
	v_add_co_ci_u32_e32 v1, vcc_lo, s1, v1, vcc_lo
	global_load_b64 v[4:5], v[0:1], off
	s_waitcnt vmcnt(0)
	v_dual_fmac_f32 v2, s12, v4 :: v_dual_fmac_f32 v3, s12, v5
	global_store_b64 v[0:1], v[2:3], off
.LBB14_23:
	s_nop 0
	s_sendmsg sendmsg(MSG_DEALLOC_VGPRS)
	s_endpgm
	.section	.rodata,"a",@progbits
	.p2align	6, 0x0
	.amdhsa_kernel _ZN9rocsparseL19gebsrmvn_2xn_kernelILj128ELj4ELj64EfEEvi20rocsparse_direction_NS_24const_host_device_scalarIT2_EEPKiS6_PKS3_S8_S4_PS3_21rocsparse_index_base_b
		.amdhsa_group_segment_fixed_size 0
		.amdhsa_private_segment_fixed_size 0
		.amdhsa_kernarg_size 72
		.amdhsa_user_sgpr_count 15
		.amdhsa_user_sgpr_dispatch_ptr 0
		.amdhsa_user_sgpr_queue_ptr 0
		.amdhsa_user_sgpr_kernarg_segment_ptr 1
		.amdhsa_user_sgpr_dispatch_id 0
		.amdhsa_user_sgpr_private_segment_size 0
		.amdhsa_wavefront_size32 1
		.amdhsa_uses_dynamic_stack 0
		.amdhsa_enable_private_segment 0
		.amdhsa_system_sgpr_workgroup_id_x 1
		.amdhsa_system_sgpr_workgroup_id_y 0
		.amdhsa_system_sgpr_workgroup_id_z 0
		.amdhsa_system_sgpr_workgroup_info 0
		.amdhsa_system_vgpr_workitem_id 0
		.amdhsa_next_free_vgpr 22
		.amdhsa_next_free_sgpr 20
		.amdhsa_reserve_vcc 1
		.amdhsa_float_round_mode_32 0
		.amdhsa_float_round_mode_16_64 0
		.amdhsa_float_denorm_mode_32 3
		.amdhsa_float_denorm_mode_16_64 3
		.amdhsa_dx10_clamp 1
		.amdhsa_ieee_mode 1
		.amdhsa_fp16_overflow 0
		.amdhsa_workgroup_processor_mode 1
		.amdhsa_memory_ordered 1
		.amdhsa_forward_progress 0
		.amdhsa_shared_vgpr_count 0
		.amdhsa_exception_fp_ieee_invalid_op 0
		.amdhsa_exception_fp_denorm_src 0
		.amdhsa_exception_fp_ieee_div_zero 0
		.amdhsa_exception_fp_ieee_overflow 0
		.amdhsa_exception_fp_ieee_underflow 0
		.amdhsa_exception_fp_ieee_inexact 0
		.amdhsa_exception_int_div_zero 0
	.end_amdhsa_kernel
	.section	.text._ZN9rocsparseL19gebsrmvn_2xn_kernelILj128ELj4ELj64EfEEvi20rocsparse_direction_NS_24const_host_device_scalarIT2_EEPKiS6_PKS3_S8_S4_PS3_21rocsparse_index_base_b,"axG",@progbits,_ZN9rocsparseL19gebsrmvn_2xn_kernelILj128ELj4ELj64EfEEvi20rocsparse_direction_NS_24const_host_device_scalarIT2_EEPKiS6_PKS3_S8_S4_PS3_21rocsparse_index_base_b,comdat
.Lfunc_end14:
	.size	_ZN9rocsparseL19gebsrmvn_2xn_kernelILj128ELj4ELj64EfEEvi20rocsparse_direction_NS_24const_host_device_scalarIT2_EEPKiS6_PKS3_S8_S4_PS3_21rocsparse_index_base_b, .Lfunc_end14-_ZN9rocsparseL19gebsrmvn_2xn_kernelILj128ELj4ELj64EfEEvi20rocsparse_direction_NS_24const_host_device_scalarIT2_EEPKiS6_PKS3_S8_S4_PS3_21rocsparse_index_base_b
                                        ; -- End function
	.section	.AMDGPU.csdata,"",@progbits
; Kernel info:
; codeLenInByte = 1324
; NumSgprs: 22
; NumVgprs: 22
; ScratchSize: 0
; MemoryBound: 0
; FloatMode: 240
; IeeeMode: 1
; LDSByteSize: 0 bytes/workgroup (compile time only)
; SGPRBlocks: 2
; VGPRBlocks: 2
; NumSGPRsForWavesPerEU: 22
; NumVGPRsForWavesPerEU: 22
; Occupancy: 16
; WaveLimiterHint : 1
; COMPUTE_PGM_RSRC2:SCRATCH_EN: 0
; COMPUTE_PGM_RSRC2:USER_SGPR: 15
; COMPUTE_PGM_RSRC2:TRAP_HANDLER: 0
; COMPUTE_PGM_RSRC2:TGID_X_EN: 1
; COMPUTE_PGM_RSRC2:TGID_Y_EN: 0
; COMPUTE_PGM_RSRC2:TGID_Z_EN: 0
; COMPUTE_PGM_RSRC2:TIDIG_COMP_CNT: 0
	.section	.text._ZN9rocsparseL19gebsrmvn_2xn_kernelILj128ELj5ELj4EfEEvi20rocsparse_direction_NS_24const_host_device_scalarIT2_EEPKiS6_PKS3_S8_S4_PS3_21rocsparse_index_base_b,"axG",@progbits,_ZN9rocsparseL19gebsrmvn_2xn_kernelILj128ELj5ELj4EfEEvi20rocsparse_direction_NS_24const_host_device_scalarIT2_EEPKiS6_PKS3_S8_S4_PS3_21rocsparse_index_base_b,comdat
	.globl	_ZN9rocsparseL19gebsrmvn_2xn_kernelILj128ELj5ELj4EfEEvi20rocsparse_direction_NS_24const_host_device_scalarIT2_EEPKiS6_PKS3_S8_S4_PS3_21rocsparse_index_base_b ; -- Begin function _ZN9rocsparseL19gebsrmvn_2xn_kernelILj128ELj5ELj4EfEEvi20rocsparse_direction_NS_24const_host_device_scalarIT2_EEPKiS6_PKS3_S8_S4_PS3_21rocsparse_index_base_b
	.p2align	8
	.type	_ZN9rocsparseL19gebsrmvn_2xn_kernelILj128ELj5ELj4EfEEvi20rocsparse_direction_NS_24const_host_device_scalarIT2_EEPKiS6_PKS3_S8_S4_PS3_21rocsparse_index_base_b,@function
_ZN9rocsparseL19gebsrmvn_2xn_kernelILj128ELj5ELj4EfEEvi20rocsparse_direction_NS_24const_host_device_scalarIT2_EEPKiS6_PKS3_S8_S4_PS3_21rocsparse_index_base_b: ; @_ZN9rocsparseL19gebsrmvn_2xn_kernelILj128ELj5ELj4EfEEvi20rocsparse_direction_NS_24const_host_device_scalarIT2_EEPKiS6_PKS3_S8_S4_PS3_21rocsparse_index_base_b
; %bb.0:
	s_clause 0x2
	s_load_b64 s[18:19], s[0:1], 0x40
	s_load_b64 s[16:17], s[0:1], 0x8
	;; [unrolled: 1-line block ×3, first 2 shown]
	s_waitcnt lgkmcnt(0)
	s_bitcmp1_b32 s19, 0
	s_cselect_b32 s2, -1, 0
	s_delay_alu instid0(SALU_CYCLE_1)
	s_and_b32 vcc_lo, exec_lo, s2
	s_xor_b32 s2, s2, -1
	s_cbranch_vccnz .LBB15_2
; %bb.1:
	s_load_b32 s16, s[16:17], 0x0
.LBB15_2:
	s_and_not1_b32 vcc_lo, exec_lo, s2
	s_cbranch_vccnz .LBB15_4
; %bb.3:
	s_load_b32 s12, s[12:13], 0x0
.LBB15_4:
	s_waitcnt lgkmcnt(0)
	v_cmp_eq_f32_e64 s2, s16, 0
	v_cmp_eq_f32_e64 s3, s12, 1.0
	s_delay_alu instid0(VALU_DEP_1) | instskip(NEXT) | instid1(SALU_CYCLE_1)
	s_and_b32 s2, s2, s3
	s_and_b32 vcc_lo, exec_lo, s2
	s_cbranch_vccnz .LBB15_23
; %bb.5:
	s_load_b64 s[2:3], s[0:1], 0x0
	v_lshrrev_b32_e32 v1, 2, v0
	s_delay_alu instid0(VALU_DEP_1) | instskip(SKIP_1) | instid1(VALU_DEP_1)
	v_lshl_or_b32 v1, s15, 5, v1
	s_waitcnt lgkmcnt(0)
	v_cmp_gt_i32_e32 vcc_lo, s2, v1
	s_and_saveexec_b32 s2, vcc_lo
	s_cbranch_execz .LBB15_23
; %bb.6:
	s_load_b256 s[4:11], s[0:1], 0x10
	v_ashrrev_i32_e32 v2, 31, v1
	v_and_b32_e32 v0, 3, v0
	s_cmp_lg_u32 s3, 0
	s_delay_alu instid0(VALU_DEP_2) | instskip(SKIP_1) | instid1(VALU_DEP_1)
	v_lshlrev_b64 v[2:3], 2, v[1:2]
	s_waitcnt lgkmcnt(0)
	v_add_co_u32 v2, vcc_lo, s4, v2
	s_delay_alu instid0(VALU_DEP_2) | instskip(SKIP_4) | instid1(VALU_DEP_2)
	v_add_co_ci_u32_e32 v3, vcc_lo, s5, v3, vcc_lo
	global_load_b64 v[2:3], v[2:3], off
	s_waitcnt vmcnt(0)
	v_subrev_nc_u32_e32 v2, s18, v2
	v_subrev_nc_u32_e32 v10, s18, v3
	v_add_nc_u32_e32 v2, v2, v0
	s_delay_alu instid0(VALU_DEP_1)
	v_cmp_lt_i32_e64 s2, v2, v10
	s_cbranch_scc0 .LBB15_12
; %bb.7:
	v_mov_b32_e32 v9, 0
	v_mov_b32_e32 v11, 0
	s_mov_b32 s3, 0
	s_and_saveexec_b32 s4, s2
	s_cbranch_execz .LBB15_11
; %bb.8:
	v_mad_u64_u32 v[3:4], null, v2, 10, 8
	v_dual_mov_b32 v6, 0 :: v_dual_mov_b32 v7, v2
	v_mov_b32_e32 v9, 0
	v_mov_b32_e32 v11, 0
	s_mov_b32 s5, 0
.LBB15_9:                               ; =>This Inner Loop Header: Depth=1
	s_delay_alu instid0(VALU_DEP_3) | instskip(SKIP_1) | instid1(VALU_DEP_2)
	v_ashrrev_i32_e32 v8, 31, v7
	v_mov_b32_e32 v13, v6
	v_lshlrev_b64 v[4:5], 2, v[7:8]
	v_add_nc_u32_e32 v7, 4, v7
	s_delay_alu instid0(VALU_DEP_2) | instskip(NEXT) | instid1(VALU_DEP_3)
	v_add_co_u32 v4, vcc_lo, s6, v4
	v_add_co_ci_u32_e32 v5, vcc_lo, s7, v5, vcc_lo
	global_load_b32 v8, v[4:5], off
	v_dual_mov_b32 v4, v6 :: v_dual_add_nc_u32 v5, -8, v3
	s_delay_alu instid0(VALU_DEP_1) | instskip(SKIP_1) | instid1(VALU_DEP_3)
	v_lshlrev_b64 v[14:15], 2, v[5:6]
	v_add_nc_u32_e32 v5, -6, v3
	v_lshlrev_b64 v[16:17], 2, v[3:4]
	s_delay_alu instid0(VALU_DEP_2) | instskip(NEXT) | instid1(VALU_DEP_4)
	v_lshlrev_b64 v[4:5], 2, v[5:6]
	v_add_co_u32 v14, vcc_lo, s8, v14
	v_add_co_ci_u32_e32 v15, vcc_lo, s9, v15, vcc_lo
	s_delay_alu instid0(VALU_DEP_4)
	v_add_co_u32 v16, vcc_lo, s8, v16
	v_add_co_ci_u32_e32 v17, vcc_lo, s9, v17, vcc_lo
	v_add_co_u32 v4, vcc_lo, s8, v4
	v_add_co_ci_u32_e32 v5, vcc_lo, s9, v5, vcc_lo
	s_clause 0x1
	global_load_b64 v[14:15], v[14:15], off
	global_load_b64 v[18:19], v[4:5], off
	s_waitcnt vmcnt(2)
	v_subrev_nc_u32_e32 v4, s18, v8
	s_delay_alu instid0(VALU_DEP_1) | instskip(NEXT) | instid1(VALU_DEP_1)
	v_lshl_add_u32 v12, v4, 2, v4
	v_add_nc_u32_e32 v5, 1, v12
	v_lshlrev_b64 v[20:21], 2, v[12:13]
	s_delay_alu instid0(VALU_DEP_2) | instskip(SKIP_1) | instid1(VALU_DEP_3)
	v_lshlrev_b64 v[22:23], 2, v[5:6]
	v_add_nc_u32_e32 v5, -4, v3
	v_add_co_u32 v20, vcc_lo, s10, v20
	s_delay_alu instid0(VALU_DEP_4) | instskip(NEXT) | instid1(VALU_DEP_4)
	v_add_co_ci_u32_e32 v21, vcc_lo, s11, v21, vcc_lo
	v_add_co_u32 v22, vcc_lo, s10, v22
	s_delay_alu instid0(VALU_DEP_4)
	v_lshlrev_b64 v[24:25], 2, v[5:6]
	v_add_nc_u32_e32 v5, 2, v12
	v_add_co_ci_u32_e32 v23, vcc_lo, s11, v23, vcc_lo
	s_clause 0x1
	global_load_b32 v8, v[20:21], off
	global_load_b32 v28, v[22:23], off
	v_lshlrev_b64 v[20:21], 2, v[5:6]
	v_add_nc_u32_e32 v5, -2, v3
	v_add_co_u32 v22, vcc_lo, s8, v24
	v_add_co_ci_u32_e32 v23, vcc_lo, s9, v25, vcc_lo
	s_delay_alu instid0(VALU_DEP_3) | instskip(SKIP_3) | instid1(VALU_DEP_3)
	v_lshlrev_b64 v[24:25], 2, v[5:6]
	v_add_nc_u32_e32 v5, 3, v12
	v_add_co_u32 v20, vcc_lo, s10, v20
	v_add_co_ci_u32_e32 v21, vcc_lo, s11, v21, vcc_lo
	v_lshlrev_b64 v[26:27], 2, v[5:6]
	v_add_nc_u32_e32 v5, 4, v12
	v_add_co_u32 v12, vcc_lo, s8, v24
	v_add_co_ci_u32_e32 v13, vcc_lo, s9, v25, vcc_lo
	s_delay_alu instid0(VALU_DEP_3)
	v_lshlrev_b64 v[4:5], 2, v[5:6]
	global_load_b32 v29, v[20:21], off
	v_add_co_u32 v20, vcc_lo, s10, v26
	global_load_b64 v[22:23], v[22:23], off
	v_add_co_ci_u32_e32 v21, vcc_lo, s11, v27, vcc_lo
	v_add_co_u32 v4, vcc_lo, s10, v4
	global_load_b64 v[12:13], v[12:13], off
	global_load_b32 v20, v[20:21], off
	v_add_co_ci_u32_e32 v5, vcc_lo, s11, v5, vcc_lo
	global_load_b64 v[16:17], v[16:17], off
	global_load_b32 v4, v[4:5], off
	v_cmp_ge_i32_e32 vcc_lo, v7, v10
	v_add_nc_u32_e32 v3, 40, v3
	s_or_b32 s5, vcc_lo, s5
	s_waitcnt vmcnt(7)
	v_fmac_f32_e32 v9, v14, v8
	v_fmac_f32_e32 v11, v15, v8
	s_waitcnt vmcnt(6)
	s_delay_alu instid0(VALU_DEP_2) | instskip(NEXT) | instid1(VALU_DEP_2)
	v_fmac_f32_e32 v9, v18, v28
	v_fmac_f32_e32 v11, v19, v28
	s_waitcnt vmcnt(4)
	s_delay_alu instid0(VALU_DEP_2) | instskip(NEXT) | instid1(VALU_DEP_2)
	;; [unrolled: 4-line block ×4, first 2 shown]
	v_fmac_f32_e32 v9, v16, v4
	v_fmac_f32_e32 v11, v17, v4
	s_and_not1_b32 exec_lo, exec_lo, s5
	s_cbranch_execnz .LBB15_9
; %bb.10:
	s_or_b32 exec_lo, exec_lo, s5
.LBB15_11:
	s_delay_alu instid0(SALU_CYCLE_1) | instskip(NEXT) | instid1(SALU_CYCLE_1)
	s_or_b32 exec_lo, exec_lo, s4
	s_and_not1_b32 vcc_lo, exec_lo, s3
	s_cbranch_vccz .LBB15_13
	s_branch .LBB15_18
.LBB15_12:
                                        ; implicit-def: $vgpr9
                                        ; implicit-def: $vgpr11
.LBB15_13:
	v_mov_b32_e32 v9, 0
	v_mov_b32_e32 v11, 0
	s_delay_alu instid0(VALU_DEP_3)
	s_and_saveexec_b32 s3, s2
	s_cbranch_execz .LBB15_17
; %bb.14:
	v_mad_u64_u32 v[4:5], null, v2, 10, 9
	v_mov_b32_e32 v7, 0
	v_mov_b32_e32 v9, 0
	;; [unrolled: 1-line block ×3, first 2 shown]
	s_mov_b32 s2, 0
.LBB15_15:                              ; =>This Inner Loop Header: Depth=1
	v_ashrrev_i32_e32 v3, 31, v2
	v_dual_mov_b32 v13, v7 :: v_dual_add_nc_u32 v12, -4, v4
	s_delay_alu instid0(VALU_DEP_2) | instskip(SKIP_1) | instid1(VALU_DEP_2)
	v_lshlrev_b64 v[5:6], 2, v[2:3]
	v_add_nc_u32_e32 v2, 4, v2
	v_add_co_u32 v5, vcc_lo, s6, v5
	s_delay_alu instid0(VALU_DEP_3) | instskip(SKIP_3) | instid1(VALU_DEP_2)
	v_add_co_ci_u32_e32 v6, vcc_lo, s7, v6, vcc_lo
	global_load_b32 v3, v[5:6], off
	v_dual_mov_b32 v5, v7 :: v_dual_add_nc_u32 v6, -9, v4
	v_lshlrev_b64 v[12:13], 2, v[12:13]
	v_lshlrev_b64 v[15:16], 2, v[6:7]
	s_delay_alu instid0(VALU_DEP_3) | instskip(NEXT) | instid1(VALU_DEP_2)
	v_lshlrev_b64 v[5:6], 2, v[4:5]
	v_add_co_u32 v15, vcc_lo, s8, v15
	s_delay_alu instid0(VALU_DEP_3)
	v_add_co_ci_u32_e32 v16, vcc_lo, s9, v16, vcc_lo
	v_add_co_u32 v12, vcc_lo, s8, v12
	v_add_co_ci_u32_e32 v13, vcc_lo, s9, v13, vcc_lo
	s_clause 0x1
	global_load_b64 v[15:16], v[15:16], off
	global_load_b32 v8, v[12:13], off
	v_mov_b32_e32 v14, v7
	v_add_co_u32 v17, vcc_lo, s8, v5
	v_add_co_ci_u32_e32 v18, vcc_lo, s9, v6, vcc_lo
	s_waitcnt vmcnt(2)
	v_subrev_nc_u32_e32 v3, s18, v3
	s_delay_alu instid0(VALU_DEP_1) | instskip(NEXT) | instid1(VALU_DEP_1)
	v_lshl_add_u32 v13, v3, 2, v3
	v_lshlrev_b64 v[19:20], 2, v[13:14]
	s_delay_alu instid0(VALU_DEP_1) | instskip(NEXT) | instid1(VALU_DEP_2)
	v_add_co_u32 v19, vcc_lo, s10, v19
	v_add_co_ci_u32_e32 v20, vcc_lo, s11, v20, vcc_lo
	global_load_b32 v3, v[19:20], off
	s_waitcnt vmcnt(0)
	v_dual_fmac_f32 v9, v15, v3 :: v_dual_add_nc_u32 v6, 1, v13
	s_delay_alu instid0(VALU_DEP_1) | instskip(SKIP_1) | instid1(VALU_DEP_2)
	v_lshlrev_b64 v[21:22], 2, v[6:7]
	v_fmac_f32_e32 v11, v8, v3
	v_add_co_u32 v19, vcc_lo, s10, v21
	s_delay_alu instid0(VALU_DEP_3) | instskip(SKIP_3) | instid1(VALU_DEP_1)
	v_add_co_ci_u32_e32 v20, vcc_lo, s11, v22, vcc_lo
	global_load_b32 v14, v[19:20], off
	s_waitcnt vmcnt(0)
	v_dual_fmac_f32 v9, v16, v14 :: v_dual_add_nc_u32 v6, -3, v4
	v_lshlrev_b64 v[23:24], 2, v[6:7]
	s_delay_alu instid0(VALU_DEP_1) | instskip(NEXT) | instid1(VALU_DEP_2)
	v_add_co_u32 v23, vcc_lo, s8, v23
	v_add_co_ci_u32_e32 v24, vcc_lo, s9, v24, vcc_lo
	global_load_b32 v25, v[23:24], off
	v_add_nc_u32_e32 v6, -7, v4
	s_delay_alu instid0(VALU_DEP_1) | instskip(NEXT) | instid1(VALU_DEP_1)
	v_lshlrev_b64 v[21:22], 2, v[6:7]
	v_add_co_u32 v21, vcc_lo, s8, v21
	s_delay_alu instid0(VALU_DEP_2) | instskip(SKIP_2) | instid1(VALU_DEP_1)
	v_add_co_ci_u32_e32 v22, vcc_lo, s9, v22, vcc_lo
	global_load_b32 v26, v[21:22], off
	v_add_nc_u32_e32 v6, 2, v13
	v_lshlrev_b64 v[19:20], 2, v[6:7]
	s_delay_alu instid0(VALU_DEP_1) | instskip(NEXT) | instid1(VALU_DEP_2)
	v_add_co_u32 v19, vcc_lo, s10, v19
	v_add_co_ci_u32_e32 v20, vcc_lo, s11, v20, vcc_lo
	global_load_b32 v27, v[19:20], off
	s_waitcnt vmcnt(2)
	v_dual_fmac_f32 v11, v25, v14 :: v_dual_add_nc_u32 v6, -2, v4
	s_delay_alu instid0(VALU_DEP_1) | instskip(NEXT) | instid1(VALU_DEP_1)
	v_lshlrev_b64 v[23:24], 2, v[6:7]
	v_add_co_u32 v19, vcc_lo, s8, v23
	s_delay_alu instid0(VALU_DEP_2) | instskip(SKIP_3) | instid1(VALU_DEP_1)
	v_add_co_ci_u32_e32 v20, vcc_lo, s9, v24, vcc_lo
	global_load_b32 v28, v[19:20], off
	s_waitcnt vmcnt(1)
	v_dual_fmac_f32 v9, v26, v27 :: v_dual_add_nc_u32 v6, -6, v4
	v_lshlrev_b64 v[21:22], 2, v[6:7]
	s_delay_alu instid0(VALU_DEP_1) | instskip(NEXT) | instid1(VALU_DEP_2)
	v_add_co_u32 v21, vcc_lo, s8, v21
	v_add_co_ci_u32_e32 v22, vcc_lo, s9, v22, vcc_lo
	global_load_b32 v29, v[21:22], off
	s_waitcnt vmcnt(1)
	v_dual_fmac_f32 v11, v28, v27 :: v_dual_add_nc_u32 v6, 3, v13
	s_delay_alu instid0(VALU_DEP_1) | instskip(SKIP_1) | instid1(VALU_DEP_1)
	v_lshlrev_b64 v[23:24], 2, v[6:7]
	v_add_nc_u32_e32 v6, -1, v4
	v_lshlrev_b64 v[19:20], 2, v[6:7]
	v_add_nc_u32_e32 v6, -5, v4
	s_delay_alu instid0(VALU_DEP_4) | instskip(SKIP_1) | instid1(VALU_DEP_3)
	v_add_co_u32 v21, vcc_lo, s10, v23
	v_add_co_ci_u32_e32 v22, vcc_lo, s11, v24, vcc_lo
	v_lshlrev_b64 v[23:24], 2, v[6:7]
	v_add_nc_u32_e32 v6, 4, v13
	v_add_co_u32 v12, vcc_lo, s8, v19
	v_add_co_ci_u32_e32 v13, vcc_lo, s9, v20, vcc_lo
	s_delay_alu instid0(VALU_DEP_3)
	v_lshlrev_b64 v[5:6], 2, v[6:7]
	global_load_b32 v19, v[21:22], off
	v_add_nc_u32_e32 v4, 40, v4
	global_load_b32 v20, v[12:13], off
	v_add_co_u32 v12, vcc_lo, s8, v23
	v_add_co_ci_u32_e32 v13, vcc_lo, s9, v24, vcc_lo
	v_add_co_u32 v5, vcc_lo, s10, v5
	v_add_co_ci_u32_e32 v6, vcc_lo, s11, v6, vcc_lo
	s_clause 0x1
	global_load_b32 v17, v[17:18], off
	global_load_b32 v12, v[12:13], off
	;; [unrolled: 1-line block ×3, first 2 shown]
	v_cmp_ge_i32_e32 vcc_lo, v2, v10
	s_or_b32 s2, vcc_lo, s2
	s_waitcnt vmcnt(4)
	v_fmac_f32_e32 v9, v29, v19
	s_waitcnt vmcnt(3)
	v_fmac_f32_e32 v11, v20, v19
	s_waitcnt vmcnt(0)
	s_delay_alu instid0(VALU_DEP_1)
	v_fmac_f32_e32 v11, v17, v5
	v_fmac_f32_e32 v9, v12, v5
	s_and_not1_b32 exec_lo, exec_lo, s2
	s_cbranch_execnz .LBB15_15
; %bb.16:
	s_or_b32 exec_lo, exec_lo, s2
.LBB15_17:
	s_delay_alu instid0(SALU_CYCLE_1)
	s_or_b32 exec_lo, exec_lo, s3
.LBB15_18:
	v_mbcnt_lo_u32_b32 v2, -1, 0
	s_mov_b32 s2, -1
	s_delay_alu instid0(VALU_DEP_1) | instskip(SKIP_1) | instid1(VALU_DEP_2)
	v_xor_b32_e32 v3, 2, v2
	v_xor_b32_e32 v5, 1, v2
	v_cmp_gt_i32_e32 vcc_lo, 32, v3
	v_cndmask_b32_e32 v3, v2, v3, vcc_lo
	s_delay_alu instid0(VALU_DEP_3) | instskip(NEXT) | instid1(VALU_DEP_2)
	v_cmp_gt_i32_e32 vcc_lo, 32, v5
	v_dual_cndmask_b32 v2, v2, v5 :: v_dual_lshlrev_b32 v3, 2, v3
	v_cmp_eq_u32_e32 vcc_lo, 3, v0
	ds_bpermute_b32 v4, v3, v9
	ds_bpermute_b32 v3, v3, v11
	s_waitcnt lgkmcnt(1)
	v_dual_add_f32 v2, v9, v4 :: v_dual_lshlrev_b32 v5, 2, v2
	s_waitcnt lgkmcnt(0)
	v_add_f32_e32 v3, v11, v3
	ds_bpermute_b32 v4, v5, v2
	ds_bpermute_b32 v5, v5, v3
	s_and_b32 exec_lo, exec_lo, vcc_lo
	s_cbranch_execz .LBB15_23
; %bb.19:
	s_load_b64 s[0:1], s[0:1], 0x38
	s_waitcnt lgkmcnt(0)
	v_dual_add_f32 v0, v2, v4 :: v_dual_add_f32 v3, v3, v5
	v_cmp_eq_f32_e64 s3, s12, 0
	s_delay_alu instid0(VALU_DEP_2) | instskip(SKIP_1) | instid1(VALU_DEP_3)
	v_dual_mul_f32 v2, s16, v0 :: v_dual_mul_f32 v3, s16, v3
	v_lshlrev_b32_e32 v0, 1, v1
	s_and_b32 vcc_lo, exec_lo, s3
	s_cbranch_vccz .LBB15_21
; %bb.20:
	s_delay_alu instid0(VALU_DEP_1) | instskip(SKIP_1) | instid1(VALU_DEP_1)
	v_ashrrev_i32_e32 v1, 31, v0
	s_mov_b32 s2, 0
	v_lshlrev_b64 v[4:5], 2, v[0:1]
	s_delay_alu instid0(VALU_DEP_1) | instskip(NEXT) | instid1(VALU_DEP_2)
	v_add_co_u32 v4, vcc_lo, s0, v4
	v_add_co_ci_u32_e32 v5, vcc_lo, s1, v5, vcc_lo
	global_store_b64 v[4:5], v[2:3], off
.LBB15_21:
	s_and_not1_b32 vcc_lo, exec_lo, s2
	s_cbranch_vccnz .LBB15_23
; %bb.22:
	v_ashrrev_i32_e32 v1, 31, v0
	s_delay_alu instid0(VALU_DEP_1) | instskip(NEXT) | instid1(VALU_DEP_1)
	v_lshlrev_b64 v[0:1], 2, v[0:1]
	v_add_co_u32 v0, vcc_lo, s0, v0
	s_delay_alu instid0(VALU_DEP_2)
	v_add_co_ci_u32_e32 v1, vcc_lo, s1, v1, vcc_lo
	global_load_b64 v[4:5], v[0:1], off
	s_waitcnt vmcnt(0)
	v_dual_fmac_f32 v2, s12, v4 :: v_dual_fmac_f32 v3, s12, v5
	global_store_b64 v[0:1], v[2:3], off
.LBB15_23:
	s_nop 0
	s_sendmsg sendmsg(MSG_DEALLOC_VGPRS)
	s_endpgm
	.section	.rodata,"a",@progbits
	.p2align	6, 0x0
	.amdhsa_kernel _ZN9rocsparseL19gebsrmvn_2xn_kernelILj128ELj5ELj4EfEEvi20rocsparse_direction_NS_24const_host_device_scalarIT2_EEPKiS6_PKS3_S8_S4_PS3_21rocsparse_index_base_b
		.amdhsa_group_segment_fixed_size 0
		.amdhsa_private_segment_fixed_size 0
		.amdhsa_kernarg_size 72
		.amdhsa_user_sgpr_count 15
		.amdhsa_user_sgpr_dispatch_ptr 0
		.amdhsa_user_sgpr_queue_ptr 0
		.amdhsa_user_sgpr_kernarg_segment_ptr 1
		.amdhsa_user_sgpr_dispatch_id 0
		.amdhsa_user_sgpr_private_segment_size 0
		.amdhsa_wavefront_size32 1
		.amdhsa_uses_dynamic_stack 0
		.amdhsa_enable_private_segment 0
		.amdhsa_system_sgpr_workgroup_id_x 1
		.amdhsa_system_sgpr_workgroup_id_y 0
		.amdhsa_system_sgpr_workgroup_id_z 0
		.amdhsa_system_sgpr_workgroup_info 0
		.amdhsa_system_vgpr_workitem_id 0
		.amdhsa_next_free_vgpr 30
		.amdhsa_next_free_sgpr 20
		.amdhsa_reserve_vcc 1
		.amdhsa_float_round_mode_32 0
		.amdhsa_float_round_mode_16_64 0
		.amdhsa_float_denorm_mode_32 3
		.amdhsa_float_denorm_mode_16_64 3
		.amdhsa_dx10_clamp 1
		.amdhsa_ieee_mode 1
		.amdhsa_fp16_overflow 0
		.amdhsa_workgroup_processor_mode 1
		.amdhsa_memory_ordered 1
		.amdhsa_forward_progress 0
		.amdhsa_shared_vgpr_count 0
		.amdhsa_exception_fp_ieee_invalid_op 0
		.amdhsa_exception_fp_denorm_src 0
		.amdhsa_exception_fp_ieee_div_zero 0
		.amdhsa_exception_fp_ieee_overflow 0
		.amdhsa_exception_fp_ieee_underflow 0
		.amdhsa_exception_fp_ieee_inexact 0
		.amdhsa_exception_int_div_zero 0
	.end_amdhsa_kernel
	.section	.text._ZN9rocsparseL19gebsrmvn_2xn_kernelILj128ELj5ELj4EfEEvi20rocsparse_direction_NS_24const_host_device_scalarIT2_EEPKiS6_PKS3_S8_S4_PS3_21rocsparse_index_base_b,"axG",@progbits,_ZN9rocsparseL19gebsrmvn_2xn_kernelILj128ELj5ELj4EfEEvi20rocsparse_direction_NS_24const_host_device_scalarIT2_EEPKiS6_PKS3_S8_S4_PS3_21rocsparse_index_base_b,comdat
.Lfunc_end15:
	.size	_ZN9rocsparseL19gebsrmvn_2xn_kernelILj128ELj5ELj4EfEEvi20rocsparse_direction_NS_24const_host_device_scalarIT2_EEPKiS6_PKS3_S8_S4_PS3_21rocsparse_index_base_b, .Lfunc_end15-_ZN9rocsparseL19gebsrmvn_2xn_kernelILj128ELj5ELj4EfEEvi20rocsparse_direction_NS_24const_host_device_scalarIT2_EEPKiS6_PKS3_S8_S4_PS3_21rocsparse_index_base_b
                                        ; -- End function
	.section	.AMDGPU.csdata,"",@progbits
; Kernel info:
; codeLenInByte = 1864
; NumSgprs: 22
; NumVgprs: 30
; ScratchSize: 0
; MemoryBound: 0
; FloatMode: 240
; IeeeMode: 1
; LDSByteSize: 0 bytes/workgroup (compile time only)
; SGPRBlocks: 2
; VGPRBlocks: 3
; NumSGPRsForWavesPerEU: 22
; NumVGPRsForWavesPerEU: 30
; Occupancy: 16
; WaveLimiterHint : 1
; COMPUTE_PGM_RSRC2:SCRATCH_EN: 0
; COMPUTE_PGM_RSRC2:USER_SGPR: 15
; COMPUTE_PGM_RSRC2:TRAP_HANDLER: 0
; COMPUTE_PGM_RSRC2:TGID_X_EN: 1
; COMPUTE_PGM_RSRC2:TGID_Y_EN: 0
; COMPUTE_PGM_RSRC2:TGID_Z_EN: 0
; COMPUTE_PGM_RSRC2:TIDIG_COMP_CNT: 0
	.section	.text._ZN9rocsparseL19gebsrmvn_2xn_kernelILj128ELj5ELj8EfEEvi20rocsparse_direction_NS_24const_host_device_scalarIT2_EEPKiS6_PKS3_S8_S4_PS3_21rocsparse_index_base_b,"axG",@progbits,_ZN9rocsparseL19gebsrmvn_2xn_kernelILj128ELj5ELj8EfEEvi20rocsparse_direction_NS_24const_host_device_scalarIT2_EEPKiS6_PKS3_S8_S4_PS3_21rocsparse_index_base_b,comdat
	.globl	_ZN9rocsparseL19gebsrmvn_2xn_kernelILj128ELj5ELj8EfEEvi20rocsparse_direction_NS_24const_host_device_scalarIT2_EEPKiS6_PKS3_S8_S4_PS3_21rocsparse_index_base_b ; -- Begin function _ZN9rocsparseL19gebsrmvn_2xn_kernelILj128ELj5ELj8EfEEvi20rocsparse_direction_NS_24const_host_device_scalarIT2_EEPKiS6_PKS3_S8_S4_PS3_21rocsparse_index_base_b
	.p2align	8
	.type	_ZN9rocsparseL19gebsrmvn_2xn_kernelILj128ELj5ELj8EfEEvi20rocsparse_direction_NS_24const_host_device_scalarIT2_EEPKiS6_PKS3_S8_S4_PS3_21rocsparse_index_base_b,@function
_ZN9rocsparseL19gebsrmvn_2xn_kernelILj128ELj5ELj8EfEEvi20rocsparse_direction_NS_24const_host_device_scalarIT2_EEPKiS6_PKS3_S8_S4_PS3_21rocsparse_index_base_b: ; @_ZN9rocsparseL19gebsrmvn_2xn_kernelILj128ELj5ELj8EfEEvi20rocsparse_direction_NS_24const_host_device_scalarIT2_EEPKiS6_PKS3_S8_S4_PS3_21rocsparse_index_base_b
; %bb.0:
	s_clause 0x2
	s_load_b64 s[18:19], s[0:1], 0x40
	s_load_b64 s[16:17], s[0:1], 0x8
	;; [unrolled: 1-line block ×3, first 2 shown]
	s_waitcnt lgkmcnt(0)
	s_bitcmp1_b32 s19, 0
	s_cselect_b32 s2, -1, 0
	s_delay_alu instid0(SALU_CYCLE_1)
	s_and_b32 vcc_lo, exec_lo, s2
	s_xor_b32 s2, s2, -1
	s_cbranch_vccnz .LBB16_2
; %bb.1:
	s_load_b32 s16, s[16:17], 0x0
.LBB16_2:
	s_and_not1_b32 vcc_lo, exec_lo, s2
	s_cbranch_vccnz .LBB16_4
; %bb.3:
	s_load_b32 s12, s[12:13], 0x0
.LBB16_4:
	s_waitcnt lgkmcnt(0)
	v_cmp_eq_f32_e64 s2, s16, 0
	v_cmp_eq_f32_e64 s3, s12, 1.0
	s_delay_alu instid0(VALU_DEP_1) | instskip(NEXT) | instid1(SALU_CYCLE_1)
	s_and_b32 s2, s2, s3
	s_and_b32 vcc_lo, exec_lo, s2
	s_cbranch_vccnz .LBB16_23
; %bb.5:
	s_load_b64 s[2:3], s[0:1], 0x0
	v_lshrrev_b32_e32 v1, 3, v0
	s_delay_alu instid0(VALU_DEP_1) | instskip(SKIP_1) | instid1(VALU_DEP_1)
	v_lshl_or_b32 v1, s15, 4, v1
	s_waitcnt lgkmcnt(0)
	v_cmp_gt_i32_e32 vcc_lo, s2, v1
	s_and_saveexec_b32 s2, vcc_lo
	s_cbranch_execz .LBB16_23
; %bb.6:
	s_load_b256 s[4:11], s[0:1], 0x10
	v_ashrrev_i32_e32 v2, 31, v1
	v_and_b32_e32 v0, 7, v0
	s_cmp_lg_u32 s3, 0
	s_delay_alu instid0(VALU_DEP_2) | instskip(SKIP_1) | instid1(VALU_DEP_1)
	v_lshlrev_b64 v[2:3], 2, v[1:2]
	s_waitcnt lgkmcnt(0)
	v_add_co_u32 v2, vcc_lo, s4, v2
	s_delay_alu instid0(VALU_DEP_2) | instskip(SKIP_4) | instid1(VALU_DEP_2)
	v_add_co_ci_u32_e32 v3, vcc_lo, s5, v3, vcc_lo
	global_load_b64 v[2:3], v[2:3], off
	s_waitcnt vmcnt(0)
	v_subrev_nc_u32_e32 v2, s18, v2
	v_subrev_nc_u32_e32 v11, s18, v3
	v_add_nc_u32_e32 v2, v2, v0
	s_delay_alu instid0(VALU_DEP_1)
	v_cmp_lt_i32_e64 s2, v2, v11
	s_cbranch_scc0 .LBB16_12
; %bb.7:
	v_dual_mov_b32 v9, 0 :: v_dual_mov_b32 v10, 0
	s_mov_b32 s3, 0
	s_delay_alu instid0(VALU_DEP_2)
	s_and_saveexec_b32 s4, s2
	s_cbranch_execz .LBB16_11
; %bb.8:
	v_mad_u64_u32 v[3:4], null, v2, 10, 8
	v_dual_mov_b32 v6, 0 :: v_dual_mov_b32 v7, v2
	v_dual_mov_b32 v9, 0 :: v_dual_mov_b32 v10, 0
	s_mov_b32 s5, 0
.LBB16_9:                               ; =>This Inner Loop Header: Depth=1
	s_delay_alu instid0(VALU_DEP_2) | instskip(NEXT) | instid1(VALU_DEP_1)
	v_ashrrev_i32_e32 v8, 31, v7
	v_lshlrev_b64 v[4:5], 2, v[7:8]
	v_add_nc_u32_e32 v7, 8, v7
	s_delay_alu instid0(VALU_DEP_2) | instskip(NEXT) | instid1(VALU_DEP_3)
	v_add_co_u32 v4, vcc_lo, s6, v4
	v_add_co_ci_u32_e32 v5, vcc_lo, s7, v5, vcc_lo
	global_load_b32 v8, v[4:5], off
	v_dual_mov_b32 v4, v6 :: v_dual_add_nc_u32 v5, -8, v3
	s_delay_alu instid0(VALU_DEP_1) | instskip(SKIP_1) | instid1(VALU_DEP_3)
	v_lshlrev_b64 v[14:15], 2, v[5:6]
	v_add_nc_u32_e32 v5, -6, v3
	v_lshlrev_b64 v[16:17], 2, v[3:4]
	s_delay_alu instid0(VALU_DEP_2) | instskip(NEXT) | instid1(VALU_DEP_4)
	v_lshlrev_b64 v[4:5], 2, v[5:6]
	v_add_co_u32 v14, vcc_lo, s8, v14
	v_add_co_ci_u32_e32 v15, vcc_lo, s9, v15, vcc_lo
	s_delay_alu instid0(VALU_DEP_4)
	v_add_co_u32 v16, vcc_lo, s8, v16
	v_add_co_ci_u32_e32 v17, vcc_lo, s9, v17, vcc_lo
	v_add_co_u32 v4, vcc_lo, s8, v4
	v_add_co_ci_u32_e32 v5, vcc_lo, s9, v5, vcc_lo
	s_clause 0x1
	global_load_b64 v[14:15], v[14:15], off
	global_load_b64 v[18:19], v[4:5], off
	v_mov_b32_e32 v13, v6
	s_waitcnt vmcnt(2)
	v_subrev_nc_u32_e32 v4, s18, v8
	s_delay_alu instid0(VALU_DEP_1) | instskip(NEXT) | instid1(VALU_DEP_1)
	v_lshl_add_u32 v12, v4, 2, v4
	v_add_nc_u32_e32 v5, 1, v12
	v_lshlrev_b64 v[20:21], 2, v[12:13]
	s_delay_alu instid0(VALU_DEP_2) | instskip(SKIP_1) | instid1(VALU_DEP_3)
	v_lshlrev_b64 v[22:23], 2, v[5:6]
	v_add_nc_u32_e32 v5, -4, v3
	v_add_co_u32 v20, vcc_lo, s10, v20
	s_delay_alu instid0(VALU_DEP_4) | instskip(NEXT) | instid1(VALU_DEP_4)
	v_add_co_ci_u32_e32 v21, vcc_lo, s11, v21, vcc_lo
	v_add_co_u32 v22, vcc_lo, s10, v22
	s_delay_alu instid0(VALU_DEP_4)
	v_lshlrev_b64 v[24:25], 2, v[5:6]
	v_add_nc_u32_e32 v5, 2, v12
	v_add_co_ci_u32_e32 v23, vcc_lo, s11, v23, vcc_lo
	s_clause 0x1
	global_load_b32 v8, v[20:21], off
	global_load_b32 v28, v[22:23], off
	v_lshlrev_b64 v[20:21], 2, v[5:6]
	v_add_nc_u32_e32 v5, -2, v3
	v_add_co_u32 v22, vcc_lo, s8, v24
	v_add_co_ci_u32_e32 v23, vcc_lo, s9, v25, vcc_lo
	s_delay_alu instid0(VALU_DEP_3) | instskip(SKIP_3) | instid1(VALU_DEP_3)
	v_lshlrev_b64 v[24:25], 2, v[5:6]
	v_add_nc_u32_e32 v5, 3, v12
	v_add_co_u32 v20, vcc_lo, s10, v20
	v_add_co_ci_u32_e32 v21, vcc_lo, s11, v21, vcc_lo
	v_lshlrev_b64 v[26:27], 2, v[5:6]
	v_add_nc_u32_e32 v5, 4, v12
	v_add_co_u32 v12, vcc_lo, s8, v24
	v_add_co_ci_u32_e32 v13, vcc_lo, s9, v25, vcc_lo
	s_delay_alu instid0(VALU_DEP_3)
	v_lshlrev_b64 v[4:5], 2, v[5:6]
	global_load_b32 v29, v[20:21], off
	v_add_co_u32 v20, vcc_lo, s10, v26
	global_load_b64 v[22:23], v[22:23], off
	v_add_co_ci_u32_e32 v21, vcc_lo, s11, v27, vcc_lo
	v_add_co_u32 v4, vcc_lo, s10, v4
	global_load_b64 v[12:13], v[12:13], off
	global_load_b32 v20, v[20:21], off
	v_add_co_ci_u32_e32 v5, vcc_lo, s11, v5, vcc_lo
	global_load_b64 v[16:17], v[16:17], off
	global_load_b32 v4, v[4:5], off
	v_cmp_ge_i32_e32 vcc_lo, v7, v11
	v_add_nc_u32_e32 v3, 0x50, v3
	s_or_b32 s5, vcc_lo, s5
	s_waitcnt vmcnt(7)
	v_fmac_f32_e32 v9, v14, v8
	v_fmac_f32_e32 v10, v15, v8
	s_waitcnt vmcnt(6)
	s_delay_alu instid0(VALU_DEP_2) | instskip(SKIP_1) | instid1(VALU_DEP_1)
	v_fmac_f32_e32 v9, v18, v28
	s_waitcnt vmcnt(4)
	v_dual_fmac_f32 v10, v19, v28 :: v_dual_fmac_f32 v9, v22, v29
	s_waitcnt vmcnt(2)
	s_delay_alu instid0(VALU_DEP_1) | instskip(NEXT) | instid1(VALU_DEP_1)
	v_dual_fmac_f32 v10, v23, v29 :: v_dual_fmac_f32 v9, v12, v20
	v_fmac_f32_e32 v10, v13, v20
	s_waitcnt vmcnt(0)
	s_delay_alu instid0(VALU_DEP_2) | instskip(NEXT) | instid1(VALU_DEP_2)
	v_fmac_f32_e32 v9, v16, v4
	v_fmac_f32_e32 v10, v17, v4
	s_and_not1_b32 exec_lo, exec_lo, s5
	s_cbranch_execnz .LBB16_9
; %bb.10:
	s_or_b32 exec_lo, exec_lo, s5
.LBB16_11:
	s_delay_alu instid0(SALU_CYCLE_1) | instskip(NEXT) | instid1(SALU_CYCLE_1)
	s_or_b32 exec_lo, exec_lo, s4
	s_and_not1_b32 vcc_lo, exec_lo, s3
	s_cbranch_vccz .LBB16_13
	s_branch .LBB16_18
.LBB16_12:
                                        ; implicit-def: $vgpr9
                                        ; implicit-def: $vgpr10
.LBB16_13:
	v_dual_mov_b32 v9, 0 :: v_dual_mov_b32 v10, 0
	s_delay_alu instid0(VALU_DEP_2)
	s_and_saveexec_b32 s3, s2
	s_cbranch_execz .LBB16_17
; %bb.14:
	v_mad_u64_u32 v[4:5], null, v2, 10, 9
	v_dual_mov_b32 v7, 0 :: v_dual_mov_b32 v10, 0
	v_mov_b32_e32 v9, 0
	s_mov_b32 s2, 0
.LBB16_15:                              ; =>This Inner Loop Header: Depth=1
	v_ashrrev_i32_e32 v3, 31, v2
	s_delay_alu instid0(VALU_DEP_4) | instskip(SKIP_2) | instid1(VALU_DEP_4)
	v_add_nc_u32_e32 v12, -4, v4
	v_mov_b32_e32 v14, v7
	v_mov_b32_e32 v13, v7
	v_lshlrev_b64 v[5:6], 2, v[2:3]
	v_add_nc_u32_e32 v2, 8, v2
	s_delay_alu instid0(VALU_DEP_2) | instskip(NEXT) | instid1(VALU_DEP_3)
	v_add_co_u32 v5, vcc_lo, s6, v5
	v_add_co_ci_u32_e32 v6, vcc_lo, s7, v6, vcc_lo
	global_load_b32 v3, v[5:6], off
	v_dual_mov_b32 v5, v7 :: v_dual_add_nc_u32 v6, -9, v4
	v_lshlrev_b64 v[12:13], 2, v[12:13]
	s_delay_alu instid0(VALU_DEP_2) | instskip(NEXT) | instid1(VALU_DEP_3)
	v_lshlrev_b64 v[15:16], 2, v[6:7]
	v_lshlrev_b64 v[5:6], 2, v[4:5]
	s_delay_alu instid0(VALU_DEP_2) | instskip(NEXT) | instid1(VALU_DEP_3)
	v_add_co_u32 v15, vcc_lo, s8, v15
	v_add_co_ci_u32_e32 v16, vcc_lo, s9, v16, vcc_lo
	v_add_co_u32 v12, vcc_lo, s8, v12
	v_add_co_ci_u32_e32 v13, vcc_lo, s9, v13, vcc_lo
	s_clause 0x1
	global_load_b64 v[15:16], v[15:16], off
	global_load_b32 v8, v[12:13], off
	v_add_co_u32 v17, vcc_lo, s8, v5
	v_add_co_ci_u32_e32 v18, vcc_lo, s9, v6, vcc_lo
	s_waitcnt vmcnt(2)
	v_subrev_nc_u32_e32 v3, s18, v3
	s_delay_alu instid0(VALU_DEP_1) | instskip(NEXT) | instid1(VALU_DEP_1)
	v_lshl_add_u32 v13, v3, 2, v3
	v_lshlrev_b64 v[19:20], 2, v[13:14]
	s_delay_alu instid0(VALU_DEP_1) | instskip(NEXT) | instid1(VALU_DEP_2)
	v_add_co_u32 v19, vcc_lo, s10, v19
	v_add_co_ci_u32_e32 v20, vcc_lo, s11, v20, vcc_lo
	global_load_b32 v3, v[19:20], off
	s_waitcnt vmcnt(0)
	v_dual_fmac_f32 v9, v15, v3 :: v_dual_add_nc_u32 v6, 1, v13
	s_delay_alu instid0(VALU_DEP_1) | instskip(SKIP_1) | instid1(VALU_DEP_2)
	v_lshlrev_b64 v[21:22], 2, v[6:7]
	v_fmac_f32_e32 v10, v8, v3
	v_add_co_u32 v19, vcc_lo, s10, v21
	s_delay_alu instid0(VALU_DEP_3) | instskip(SKIP_3) | instid1(VALU_DEP_1)
	v_add_co_ci_u32_e32 v20, vcc_lo, s11, v22, vcc_lo
	global_load_b32 v14, v[19:20], off
	s_waitcnt vmcnt(0)
	v_dual_fmac_f32 v9, v16, v14 :: v_dual_add_nc_u32 v6, -3, v4
	v_lshlrev_b64 v[23:24], 2, v[6:7]
	v_add_nc_u32_e32 v6, -7, v4
	s_delay_alu instid0(VALU_DEP_1) | instskip(SKIP_1) | instid1(VALU_DEP_4)
	v_lshlrev_b64 v[21:22], 2, v[6:7]
	v_add_nc_u32_e32 v6, 2, v13
	v_add_co_u32 v23, vcc_lo, s8, v23
	v_add_co_ci_u32_e32 v24, vcc_lo, s9, v24, vcc_lo
	s_delay_alu instid0(VALU_DEP_3) | instskip(SKIP_3) | instid1(VALU_DEP_4)
	v_lshlrev_b64 v[19:20], 2, v[6:7]
	v_add_co_u32 v21, vcc_lo, s8, v21
	v_add_nc_u32_e32 v6, -2, v4
	v_add_co_ci_u32_e32 v22, vcc_lo, s9, v22, vcc_lo
	v_add_co_u32 v19, vcc_lo, s10, v19
	s_clause 0x1
	global_load_b32 v25, v[23:24], off
	global_load_b32 v26, v[21:22], off
	v_lshlrev_b64 v[23:24], 2, v[6:7]
	v_add_co_ci_u32_e32 v20, vcc_lo, s11, v20, vcc_lo
	v_add_nc_u32_e32 v6, -6, v4
	global_load_b32 v27, v[19:20], off
	v_add_co_u32 v19, vcc_lo, s8, v23
	v_add_co_ci_u32_e32 v20, vcc_lo, s9, v24, vcc_lo
	global_load_b32 v28, v[19:20], off
	v_lshlrev_b64 v[21:22], 2, v[6:7]
	v_add_nc_u32_e32 v6, 3, v13
	s_delay_alu instid0(VALU_DEP_1) | instskip(SKIP_1) | instid1(VALU_DEP_4)
	v_lshlrev_b64 v[23:24], 2, v[6:7]
	v_add_nc_u32_e32 v6, -1, v4
	v_add_co_u32 v21, vcc_lo, s8, v21
	v_add_co_ci_u32_e32 v22, vcc_lo, s9, v22, vcc_lo
	s_delay_alu instid0(VALU_DEP_3)
	v_lshlrev_b64 v[19:20], 2, v[6:7]
	v_add_nc_u32_e32 v6, -5, v4
	v_add_nc_u32_e32 v4, 0x50, v4
	global_load_b32 v29, v[21:22], off
	v_add_co_u32 v21, vcc_lo, s10, v23
	v_add_co_ci_u32_e32 v22, vcc_lo, s11, v24, vcc_lo
	v_lshlrev_b64 v[23:24], 2, v[6:7]
	v_add_nc_u32_e32 v6, 4, v13
	v_add_co_u32 v12, vcc_lo, s8, v19
	v_add_co_ci_u32_e32 v13, vcc_lo, s9, v20, vcc_lo
	s_delay_alu instid0(VALU_DEP_3)
	v_lshlrev_b64 v[5:6], 2, v[6:7]
	global_load_b32 v19, v[21:22], off
	global_load_b32 v20, v[12:13], off
	v_add_co_u32 v12, vcc_lo, s8, v23
	v_add_co_ci_u32_e32 v13, vcc_lo, s9, v24, vcc_lo
	v_add_co_u32 v5, vcc_lo, s10, v5
	v_add_co_ci_u32_e32 v6, vcc_lo, s11, v6, vcc_lo
	s_clause 0x1
	global_load_b32 v17, v[17:18], off
	global_load_b32 v12, v[12:13], off
	;; [unrolled: 1-line block ×3, first 2 shown]
	v_cmp_ge_i32_e32 vcc_lo, v2, v11
	s_or_b32 s2, vcc_lo, s2
	s_waitcnt vmcnt(7)
	v_dual_fmac_f32 v10, v25, v14 :: v_dual_fmac_f32 v9, v26, v27
	s_waitcnt vmcnt(6)
	s_delay_alu instid0(VALU_DEP_1) | instskip(SKIP_1) | instid1(VALU_DEP_2)
	v_fmac_f32_e32 v10, v28, v27
	s_waitcnt vmcnt(4)
	v_fmac_f32_e32 v9, v29, v19
	s_waitcnt vmcnt(3)
	s_delay_alu instid0(VALU_DEP_2) | instskip(SKIP_1) | instid1(VALU_DEP_2)
	v_fmac_f32_e32 v10, v20, v19
	s_waitcnt vmcnt(0)
	v_fmac_f32_e32 v9, v12, v5
	s_delay_alu instid0(VALU_DEP_2)
	v_fmac_f32_e32 v10, v17, v5
	s_and_not1_b32 exec_lo, exec_lo, s2
	s_cbranch_execnz .LBB16_15
; %bb.16:
	s_or_b32 exec_lo, exec_lo, s2
.LBB16_17:
	s_delay_alu instid0(SALU_CYCLE_1)
	s_or_b32 exec_lo, exec_lo, s3
.LBB16_18:
	v_mbcnt_lo_u32_b32 v2, -1, 0
	s_mov_b32 s2, -1
	s_delay_alu instid0(VALU_DEP_1) | instskip(SKIP_2) | instid1(VALU_DEP_3)
	v_xor_b32_e32 v3, 4, v2
	v_xor_b32_e32 v5, 2, v2
	v_xor_b32_e32 v7, 1, v2
	v_cmp_gt_i32_e32 vcc_lo, 32, v3
	v_cndmask_b32_e32 v3, v2, v3, vcc_lo
	s_delay_alu instid0(VALU_DEP_4) | instskip(NEXT) | instid1(VALU_DEP_2)
	v_cmp_gt_i32_e32 vcc_lo, 32, v5
	v_lshlrev_b32_e32 v3, 2, v3
	v_cndmask_b32_e32 v5, v2, v5, vcc_lo
	v_cmp_gt_i32_e32 vcc_lo, 32, v7
	ds_bpermute_b32 v4, v3, v9
	v_dual_cndmask_b32 v2, v2, v7 :: v_dual_lshlrev_b32 v5, 2, v5
	v_cmp_eq_u32_e32 vcc_lo, 7, v0
	s_waitcnt lgkmcnt(0)
	s_delay_alu instid0(VALU_DEP_2)
	v_dual_add_f32 v4, v9, v4 :: v_dual_lshlrev_b32 v7, 2, v2
	ds_bpermute_b32 v6, v5, v4
	s_waitcnt lgkmcnt(0)
	v_add_f32_e32 v2, v4, v6
	ds_bpermute_b32 v3, v3, v10
	ds_bpermute_b32 v4, v7, v2
	s_waitcnt lgkmcnt(1)
	v_add_f32_e32 v3, v10, v3
	ds_bpermute_b32 v5, v5, v3
	s_waitcnt lgkmcnt(0)
	v_add_f32_e32 v3, v3, v5
	ds_bpermute_b32 v5, v7, v3
	s_and_b32 exec_lo, exec_lo, vcc_lo
	s_cbranch_execz .LBB16_23
; %bb.19:
	s_load_b64 s[0:1], s[0:1], 0x38
	s_waitcnt lgkmcnt(0)
	v_dual_add_f32 v0, v2, v4 :: v_dual_add_f32 v3, v3, v5
	v_cmp_eq_f32_e64 s3, s12, 0
	s_delay_alu instid0(VALU_DEP_2) | instskip(SKIP_1) | instid1(VALU_DEP_3)
	v_dual_mul_f32 v2, s16, v0 :: v_dual_mul_f32 v3, s16, v3
	v_lshlrev_b32_e32 v0, 1, v1
	s_and_b32 vcc_lo, exec_lo, s3
	s_cbranch_vccz .LBB16_21
; %bb.20:
	s_delay_alu instid0(VALU_DEP_1) | instskip(SKIP_1) | instid1(VALU_DEP_1)
	v_ashrrev_i32_e32 v1, 31, v0
	s_mov_b32 s2, 0
	v_lshlrev_b64 v[4:5], 2, v[0:1]
	s_delay_alu instid0(VALU_DEP_1) | instskip(NEXT) | instid1(VALU_DEP_2)
	v_add_co_u32 v4, vcc_lo, s0, v4
	v_add_co_ci_u32_e32 v5, vcc_lo, s1, v5, vcc_lo
	global_store_b64 v[4:5], v[2:3], off
.LBB16_21:
	s_and_not1_b32 vcc_lo, exec_lo, s2
	s_cbranch_vccnz .LBB16_23
; %bb.22:
	v_ashrrev_i32_e32 v1, 31, v0
	s_delay_alu instid0(VALU_DEP_1) | instskip(NEXT) | instid1(VALU_DEP_1)
	v_lshlrev_b64 v[0:1], 2, v[0:1]
	v_add_co_u32 v0, vcc_lo, s0, v0
	s_delay_alu instid0(VALU_DEP_2)
	v_add_co_ci_u32_e32 v1, vcc_lo, s1, v1, vcc_lo
	global_load_b64 v[4:5], v[0:1], off
	s_waitcnt vmcnt(0)
	v_dual_fmac_f32 v2, s12, v4 :: v_dual_fmac_f32 v3, s12, v5
	global_store_b64 v[0:1], v[2:3], off
.LBB16_23:
	s_nop 0
	s_sendmsg sendmsg(MSG_DEALLOC_VGPRS)
	s_endpgm
	.section	.rodata,"a",@progbits
	.p2align	6, 0x0
	.amdhsa_kernel _ZN9rocsparseL19gebsrmvn_2xn_kernelILj128ELj5ELj8EfEEvi20rocsparse_direction_NS_24const_host_device_scalarIT2_EEPKiS6_PKS3_S8_S4_PS3_21rocsparse_index_base_b
		.amdhsa_group_segment_fixed_size 0
		.amdhsa_private_segment_fixed_size 0
		.amdhsa_kernarg_size 72
		.amdhsa_user_sgpr_count 15
		.amdhsa_user_sgpr_dispatch_ptr 0
		.amdhsa_user_sgpr_queue_ptr 0
		.amdhsa_user_sgpr_kernarg_segment_ptr 1
		.amdhsa_user_sgpr_dispatch_id 0
		.amdhsa_user_sgpr_private_segment_size 0
		.amdhsa_wavefront_size32 1
		.amdhsa_uses_dynamic_stack 0
		.amdhsa_enable_private_segment 0
		.amdhsa_system_sgpr_workgroup_id_x 1
		.amdhsa_system_sgpr_workgroup_id_y 0
		.amdhsa_system_sgpr_workgroup_id_z 0
		.amdhsa_system_sgpr_workgroup_info 0
		.amdhsa_system_vgpr_workitem_id 0
		.amdhsa_next_free_vgpr 30
		.amdhsa_next_free_sgpr 20
		.amdhsa_reserve_vcc 1
		.amdhsa_float_round_mode_32 0
		.amdhsa_float_round_mode_16_64 0
		.amdhsa_float_denorm_mode_32 3
		.amdhsa_float_denorm_mode_16_64 3
		.amdhsa_dx10_clamp 1
		.amdhsa_ieee_mode 1
		.amdhsa_fp16_overflow 0
		.amdhsa_workgroup_processor_mode 1
		.amdhsa_memory_ordered 1
		.amdhsa_forward_progress 0
		.amdhsa_shared_vgpr_count 0
		.amdhsa_exception_fp_ieee_invalid_op 0
		.amdhsa_exception_fp_denorm_src 0
		.amdhsa_exception_fp_ieee_div_zero 0
		.amdhsa_exception_fp_ieee_overflow 0
		.amdhsa_exception_fp_ieee_underflow 0
		.amdhsa_exception_fp_ieee_inexact 0
		.amdhsa_exception_int_div_zero 0
	.end_amdhsa_kernel
	.section	.text._ZN9rocsparseL19gebsrmvn_2xn_kernelILj128ELj5ELj8EfEEvi20rocsparse_direction_NS_24const_host_device_scalarIT2_EEPKiS6_PKS3_S8_S4_PS3_21rocsparse_index_base_b,"axG",@progbits,_ZN9rocsparseL19gebsrmvn_2xn_kernelILj128ELj5ELj8EfEEvi20rocsparse_direction_NS_24const_host_device_scalarIT2_EEPKiS6_PKS3_S8_S4_PS3_21rocsparse_index_base_b,comdat
.Lfunc_end16:
	.size	_ZN9rocsparseL19gebsrmvn_2xn_kernelILj128ELj5ELj8EfEEvi20rocsparse_direction_NS_24const_host_device_scalarIT2_EEPKiS6_PKS3_S8_S4_PS3_21rocsparse_index_base_b, .Lfunc_end16-_ZN9rocsparseL19gebsrmvn_2xn_kernelILj128ELj5ELj8EfEEvi20rocsparse_direction_NS_24const_host_device_scalarIT2_EEPKiS6_PKS3_S8_S4_PS3_21rocsparse_index_base_b
                                        ; -- End function
	.section	.AMDGPU.csdata,"",@progbits
; Kernel info:
; codeLenInByte = 1912
; NumSgprs: 22
; NumVgprs: 30
; ScratchSize: 0
; MemoryBound: 0
; FloatMode: 240
; IeeeMode: 1
; LDSByteSize: 0 bytes/workgroup (compile time only)
; SGPRBlocks: 2
; VGPRBlocks: 3
; NumSGPRsForWavesPerEU: 22
; NumVGPRsForWavesPerEU: 30
; Occupancy: 16
; WaveLimiterHint : 1
; COMPUTE_PGM_RSRC2:SCRATCH_EN: 0
; COMPUTE_PGM_RSRC2:USER_SGPR: 15
; COMPUTE_PGM_RSRC2:TRAP_HANDLER: 0
; COMPUTE_PGM_RSRC2:TGID_X_EN: 1
; COMPUTE_PGM_RSRC2:TGID_Y_EN: 0
; COMPUTE_PGM_RSRC2:TGID_Z_EN: 0
; COMPUTE_PGM_RSRC2:TIDIG_COMP_CNT: 0
	.section	.text._ZN9rocsparseL19gebsrmvn_2xn_kernelILj128ELj5ELj16EfEEvi20rocsparse_direction_NS_24const_host_device_scalarIT2_EEPKiS6_PKS3_S8_S4_PS3_21rocsparse_index_base_b,"axG",@progbits,_ZN9rocsparseL19gebsrmvn_2xn_kernelILj128ELj5ELj16EfEEvi20rocsparse_direction_NS_24const_host_device_scalarIT2_EEPKiS6_PKS3_S8_S4_PS3_21rocsparse_index_base_b,comdat
	.globl	_ZN9rocsparseL19gebsrmvn_2xn_kernelILj128ELj5ELj16EfEEvi20rocsparse_direction_NS_24const_host_device_scalarIT2_EEPKiS6_PKS3_S8_S4_PS3_21rocsparse_index_base_b ; -- Begin function _ZN9rocsparseL19gebsrmvn_2xn_kernelILj128ELj5ELj16EfEEvi20rocsparse_direction_NS_24const_host_device_scalarIT2_EEPKiS6_PKS3_S8_S4_PS3_21rocsparse_index_base_b
	.p2align	8
	.type	_ZN9rocsparseL19gebsrmvn_2xn_kernelILj128ELj5ELj16EfEEvi20rocsparse_direction_NS_24const_host_device_scalarIT2_EEPKiS6_PKS3_S8_S4_PS3_21rocsparse_index_base_b,@function
_ZN9rocsparseL19gebsrmvn_2xn_kernelILj128ELj5ELj16EfEEvi20rocsparse_direction_NS_24const_host_device_scalarIT2_EEPKiS6_PKS3_S8_S4_PS3_21rocsparse_index_base_b: ; @_ZN9rocsparseL19gebsrmvn_2xn_kernelILj128ELj5ELj16EfEEvi20rocsparse_direction_NS_24const_host_device_scalarIT2_EEPKiS6_PKS3_S8_S4_PS3_21rocsparse_index_base_b
; %bb.0:
	s_clause 0x2
	s_load_b64 s[18:19], s[0:1], 0x40
	s_load_b64 s[16:17], s[0:1], 0x8
	;; [unrolled: 1-line block ×3, first 2 shown]
	s_waitcnt lgkmcnt(0)
	s_bitcmp1_b32 s19, 0
	s_cselect_b32 s2, -1, 0
	s_delay_alu instid0(SALU_CYCLE_1)
	s_and_b32 vcc_lo, exec_lo, s2
	s_xor_b32 s2, s2, -1
	s_cbranch_vccnz .LBB17_2
; %bb.1:
	s_load_b32 s16, s[16:17], 0x0
.LBB17_2:
	s_and_not1_b32 vcc_lo, exec_lo, s2
	s_cbranch_vccnz .LBB17_4
; %bb.3:
	s_load_b32 s12, s[12:13], 0x0
.LBB17_4:
	s_waitcnt lgkmcnt(0)
	v_cmp_eq_f32_e64 s2, s16, 0
	v_cmp_eq_f32_e64 s3, s12, 1.0
	s_delay_alu instid0(VALU_DEP_1) | instskip(NEXT) | instid1(SALU_CYCLE_1)
	s_and_b32 s2, s2, s3
	s_and_b32 vcc_lo, exec_lo, s2
	s_cbranch_vccnz .LBB17_23
; %bb.5:
	s_load_b64 s[2:3], s[0:1], 0x0
	v_lshrrev_b32_e32 v1, 4, v0
	s_delay_alu instid0(VALU_DEP_1) | instskip(SKIP_1) | instid1(VALU_DEP_1)
	v_lshl_or_b32 v1, s15, 3, v1
	s_waitcnt lgkmcnt(0)
	v_cmp_gt_i32_e32 vcc_lo, s2, v1
	s_and_saveexec_b32 s2, vcc_lo
	s_cbranch_execz .LBB17_23
; %bb.6:
	s_load_b256 s[4:11], s[0:1], 0x10
	v_ashrrev_i32_e32 v2, 31, v1
	v_and_b32_e32 v0, 15, v0
	s_cmp_lg_u32 s3, 0
	s_delay_alu instid0(VALU_DEP_2) | instskip(SKIP_1) | instid1(VALU_DEP_1)
	v_lshlrev_b64 v[2:3], 2, v[1:2]
	s_waitcnt lgkmcnt(0)
	v_add_co_u32 v2, vcc_lo, s4, v2
	s_delay_alu instid0(VALU_DEP_2) | instskip(SKIP_4) | instid1(VALU_DEP_2)
	v_add_co_ci_u32_e32 v3, vcc_lo, s5, v3, vcc_lo
	global_load_b64 v[2:3], v[2:3], off
	s_waitcnt vmcnt(0)
	v_subrev_nc_u32_e32 v2, s18, v2
	v_subrev_nc_u32_e32 v11, s18, v3
	v_add_nc_u32_e32 v2, v2, v0
	s_delay_alu instid0(VALU_DEP_1)
	v_cmp_lt_i32_e64 s2, v2, v11
	s_cbranch_scc0 .LBB17_12
; %bb.7:
	v_dual_mov_b32 v9, 0 :: v_dual_mov_b32 v10, 0
	s_mov_b32 s3, 0
	s_delay_alu instid0(VALU_DEP_2)
	s_and_saveexec_b32 s4, s2
	s_cbranch_execz .LBB17_11
; %bb.8:
	v_mad_u64_u32 v[3:4], null, v2, 10, 8
	v_dual_mov_b32 v6, 0 :: v_dual_mov_b32 v7, v2
	v_dual_mov_b32 v9, 0 :: v_dual_mov_b32 v10, 0
	s_mov_b32 s5, 0
.LBB17_9:                               ; =>This Inner Loop Header: Depth=1
	s_delay_alu instid0(VALU_DEP_2) | instskip(NEXT) | instid1(VALU_DEP_1)
	v_ashrrev_i32_e32 v8, 31, v7
	v_lshlrev_b64 v[4:5], 2, v[7:8]
	v_add_nc_u32_e32 v7, 16, v7
	s_delay_alu instid0(VALU_DEP_2) | instskip(NEXT) | instid1(VALU_DEP_3)
	v_add_co_u32 v4, vcc_lo, s6, v4
	v_add_co_ci_u32_e32 v5, vcc_lo, s7, v5, vcc_lo
	global_load_b32 v8, v[4:5], off
	v_dual_mov_b32 v4, v6 :: v_dual_add_nc_u32 v5, -8, v3
	s_delay_alu instid0(VALU_DEP_1) | instskip(SKIP_1) | instid1(VALU_DEP_3)
	v_lshlrev_b64 v[14:15], 2, v[5:6]
	v_add_nc_u32_e32 v5, -6, v3
	v_lshlrev_b64 v[16:17], 2, v[3:4]
	s_delay_alu instid0(VALU_DEP_2) | instskip(NEXT) | instid1(VALU_DEP_4)
	v_lshlrev_b64 v[4:5], 2, v[5:6]
	v_add_co_u32 v14, vcc_lo, s8, v14
	v_add_co_ci_u32_e32 v15, vcc_lo, s9, v15, vcc_lo
	s_delay_alu instid0(VALU_DEP_4)
	v_add_co_u32 v16, vcc_lo, s8, v16
	v_add_co_ci_u32_e32 v17, vcc_lo, s9, v17, vcc_lo
	v_add_co_u32 v4, vcc_lo, s8, v4
	v_add_co_ci_u32_e32 v5, vcc_lo, s9, v5, vcc_lo
	s_clause 0x1
	global_load_b64 v[14:15], v[14:15], off
	global_load_b64 v[18:19], v[4:5], off
	v_mov_b32_e32 v13, v6
	s_waitcnt vmcnt(2)
	v_subrev_nc_u32_e32 v4, s18, v8
	s_delay_alu instid0(VALU_DEP_1) | instskip(NEXT) | instid1(VALU_DEP_1)
	v_lshl_add_u32 v12, v4, 2, v4
	v_add_nc_u32_e32 v5, 1, v12
	v_lshlrev_b64 v[20:21], 2, v[12:13]
	s_delay_alu instid0(VALU_DEP_2) | instskip(SKIP_1) | instid1(VALU_DEP_3)
	v_lshlrev_b64 v[22:23], 2, v[5:6]
	v_add_nc_u32_e32 v5, -4, v3
	v_add_co_u32 v20, vcc_lo, s10, v20
	s_delay_alu instid0(VALU_DEP_4) | instskip(NEXT) | instid1(VALU_DEP_4)
	v_add_co_ci_u32_e32 v21, vcc_lo, s11, v21, vcc_lo
	v_add_co_u32 v22, vcc_lo, s10, v22
	s_delay_alu instid0(VALU_DEP_4)
	v_lshlrev_b64 v[24:25], 2, v[5:6]
	v_add_nc_u32_e32 v5, 2, v12
	v_add_co_ci_u32_e32 v23, vcc_lo, s11, v23, vcc_lo
	s_clause 0x1
	global_load_b32 v8, v[20:21], off
	global_load_b32 v28, v[22:23], off
	v_lshlrev_b64 v[20:21], 2, v[5:6]
	v_add_nc_u32_e32 v5, -2, v3
	v_add_co_u32 v22, vcc_lo, s8, v24
	v_add_co_ci_u32_e32 v23, vcc_lo, s9, v25, vcc_lo
	s_delay_alu instid0(VALU_DEP_3) | instskip(SKIP_3) | instid1(VALU_DEP_3)
	v_lshlrev_b64 v[24:25], 2, v[5:6]
	v_add_nc_u32_e32 v5, 3, v12
	v_add_co_u32 v20, vcc_lo, s10, v20
	v_add_co_ci_u32_e32 v21, vcc_lo, s11, v21, vcc_lo
	v_lshlrev_b64 v[26:27], 2, v[5:6]
	v_add_nc_u32_e32 v5, 4, v12
	v_add_co_u32 v12, vcc_lo, s8, v24
	v_add_co_ci_u32_e32 v13, vcc_lo, s9, v25, vcc_lo
	s_delay_alu instid0(VALU_DEP_3)
	v_lshlrev_b64 v[4:5], 2, v[5:6]
	global_load_b32 v29, v[20:21], off
	v_add_co_u32 v20, vcc_lo, s10, v26
	global_load_b64 v[22:23], v[22:23], off
	v_add_co_ci_u32_e32 v21, vcc_lo, s11, v27, vcc_lo
	v_add_co_u32 v4, vcc_lo, s10, v4
	global_load_b64 v[12:13], v[12:13], off
	global_load_b32 v20, v[20:21], off
	v_add_co_ci_u32_e32 v5, vcc_lo, s11, v5, vcc_lo
	global_load_b64 v[16:17], v[16:17], off
	global_load_b32 v4, v[4:5], off
	v_cmp_ge_i32_e32 vcc_lo, v7, v11
	v_add_nc_u32_e32 v3, 0xa0, v3
	s_or_b32 s5, vcc_lo, s5
	s_waitcnt vmcnt(7)
	v_fmac_f32_e32 v9, v14, v8
	v_fmac_f32_e32 v10, v15, v8
	s_waitcnt vmcnt(6)
	s_delay_alu instid0(VALU_DEP_2) | instskip(SKIP_1) | instid1(VALU_DEP_1)
	v_fmac_f32_e32 v9, v18, v28
	s_waitcnt vmcnt(4)
	v_dual_fmac_f32 v10, v19, v28 :: v_dual_fmac_f32 v9, v22, v29
	s_waitcnt vmcnt(2)
	s_delay_alu instid0(VALU_DEP_1) | instskip(NEXT) | instid1(VALU_DEP_1)
	v_dual_fmac_f32 v10, v23, v29 :: v_dual_fmac_f32 v9, v12, v20
	v_fmac_f32_e32 v10, v13, v20
	s_waitcnt vmcnt(0)
	s_delay_alu instid0(VALU_DEP_2) | instskip(NEXT) | instid1(VALU_DEP_2)
	v_fmac_f32_e32 v9, v16, v4
	v_fmac_f32_e32 v10, v17, v4
	s_and_not1_b32 exec_lo, exec_lo, s5
	s_cbranch_execnz .LBB17_9
; %bb.10:
	s_or_b32 exec_lo, exec_lo, s5
.LBB17_11:
	s_delay_alu instid0(SALU_CYCLE_1) | instskip(NEXT) | instid1(SALU_CYCLE_1)
	s_or_b32 exec_lo, exec_lo, s4
	s_and_not1_b32 vcc_lo, exec_lo, s3
	s_cbranch_vccz .LBB17_13
	s_branch .LBB17_18
.LBB17_12:
                                        ; implicit-def: $vgpr9
                                        ; implicit-def: $vgpr10
.LBB17_13:
	v_dual_mov_b32 v9, 0 :: v_dual_mov_b32 v10, 0
	s_delay_alu instid0(VALU_DEP_2)
	s_and_saveexec_b32 s3, s2
	s_cbranch_execz .LBB17_17
; %bb.14:
	v_mad_u64_u32 v[4:5], null, v2, 10, 9
	v_dual_mov_b32 v7, 0 :: v_dual_mov_b32 v10, 0
	v_mov_b32_e32 v9, 0
	s_mov_b32 s2, 0
.LBB17_15:                              ; =>This Inner Loop Header: Depth=1
	v_ashrrev_i32_e32 v3, 31, v2
	s_delay_alu instid0(VALU_DEP_4) | instskip(SKIP_2) | instid1(VALU_DEP_4)
	v_add_nc_u32_e32 v12, -4, v4
	v_mov_b32_e32 v14, v7
	v_mov_b32_e32 v13, v7
	v_lshlrev_b64 v[5:6], 2, v[2:3]
	v_add_nc_u32_e32 v2, 16, v2
	s_delay_alu instid0(VALU_DEP_2) | instskip(NEXT) | instid1(VALU_DEP_3)
	v_add_co_u32 v5, vcc_lo, s6, v5
	v_add_co_ci_u32_e32 v6, vcc_lo, s7, v6, vcc_lo
	global_load_b32 v3, v[5:6], off
	v_dual_mov_b32 v5, v7 :: v_dual_add_nc_u32 v6, -9, v4
	v_lshlrev_b64 v[12:13], 2, v[12:13]
	s_delay_alu instid0(VALU_DEP_2) | instskip(NEXT) | instid1(VALU_DEP_3)
	v_lshlrev_b64 v[15:16], 2, v[6:7]
	v_lshlrev_b64 v[5:6], 2, v[4:5]
	s_delay_alu instid0(VALU_DEP_2) | instskip(NEXT) | instid1(VALU_DEP_3)
	v_add_co_u32 v15, vcc_lo, s8, v15
	v_add_co_ci_u32_e32 v16, vcc_lo, s9, v16, vcc_lo
	v_add_co_u32 v12, vcc_lo, s8, v12
	v_add_co_ci_u32_e32 v13, vcc_lo, s9, v13, vcc_lo
	s_clause 0x1
	global_load_b64 v[15:16], v[15:16], off
	global_load_b32 v8, v[12:13], off
	v_add_co_u32 v17, vcc_lo, s8, v5
	v_add_co_ci_u32_e32 v18, vcc_lo, s9, v6, vcc_lo
	s_waitcnt vmcnt(2)
	v_subrev_nc_u32_e32 v3, s18, v3
	s_delay_alu instid0(VALU_DEP_1) | instskip(NEXT) | instid1(VALU_DEP_1)
	v_lshl_add_u32 v13, v3, 2, v3
	v_lshlrev_b64 v[19:20], 2, v[13:14]
	s_delay_alu instid0(VALU_DEP_1) | instskip(NEXT) | instid1(VALU_DEP_2)
	v_add_co_u32 v19, vcc_lo, s10, v19
	v_add_co_ci_u32_e32 v20, vcc_lo, s11, v20, vcc_lo
	global_load_b32 v3, v[19:20], off
	s_waitcnt vmcnt(0)
	v_dual_fmac_f32 v9, v15, v3 :: v_dual_add_nc_u32 v6, 1, v13
	s_delay_alu instid0(VALU_DEP_1) | instskip(SKIP_1) | instid1(VALU_DEP_2)
	v_lshlrev_b64 v[21:22], 2, v[6:7]
	v_fmac_f32_e32 v10, v8, v3
	v_add_co_u32 v19, vcc_lo, s10, v21
	s_delay_alu instid0(VALU_DEP_3) | instskip(SKIP_3) | instid1(VALU_DEP_1)
	v_add_co_ci_u32_e32 v20, vcc_lo, s11, v22, vcc_lo
	global_load_b32 v14, v[19:20], off
	s_waitcnt vmcnt(0)
	v_dual_fmac_f32 v9, v16, v14 :: v_dual_add_nc_u32 v6, -3, v4
	v_lshlrev_b64 v[23:24], 2, v[6:7]
	v_add_nc_u32_e32 v6, -7, v4
	s_delay_alu instid0(VALU_DEP_1) | instskip(SKIP_1) | instid1(VALU_DEP_4)
	v_lshlrev_b64 v[21:22], 2, v[6:7]
	v_add_nc_u32_e32 v6, 2, v13
	v_add_co_u32 v23, vcc_lo, s8, v23
	v_add_co_ci_u32_e32 v24, vcc_lo, s9, v24, vcc_lo
	s_delay_alu instid0(VALU_DEP_3) | instskip(SKIP_3) | instid1(VALU_DEP_4)
	v_lshlrev_b64 v[19:20], 2, v[6:7]
	v_add_co_u32 v21, vcc_lo, s8, v21
	v_add_nc_u32_e32 v6, -2, v4
	v_add_co_ci_u32_e32 v22, vcc_lo, s9, v22, vcc_lo
	v_add_co_u32 v19, vcc_lo, s10, v19
	s_clause 0x1
	global_load_b32 v25, v[23:24], off
	global_load_b32 v26, v[21:22], off
	v_lshlrev_b64 v[23:24], 2, v[6:7]
	v_add_co_ci_u32_e32 v20, vcc_lo, s11, v20, vcc_lo
	v_add_nc_u32_e32 v6, -6, v4
	global_load_b32 v27, v[19:20], off
	v_add_co_u32 v19, vcc_lo, s8, v23
	v_add_co_ci_u32_e32 v20, vcc_lo, s9, v24, vcc_lo
	global_load_b32 v28, v[19:20], off
	v_lshlrev_b64 v[21:22], 2, v[6:7]
	v_add_nc_u32_e32 v6, 3, v13
	s_delay_alu instid0(VALU_DEP_1) | instskip(SKIP_1) | instid1(VALU_DEP_4)
	v_lshlrev_b64 v[23:24], 2, v[6:7]
	v_add_nc_u32_e32 v6, -1, v4
	v_add_co_u32 v21, vcc_lo, s8, v21
	v_add_co_ci_u32_e32 v22, vcc_lo, s9, v22, vcc_lo
	s_delay_alu instid0(VALU_DEP_3)
	v_lshlrev_b64 v[19:20], 2, v[6:7]
	v_add_nc_u32_e32 v6, -5, v4
	v_add_nc_u32_e32 v4, 0xa0, v4
	global_load_b32 v29, v[21:22], off
	v_add_co_u32 v21, vcc_lo, s10, v23
	v_add_co_ci_u32_e32 v22, vcc_lo, s11, v24, vcc_lo
	v_lshlrev_b64 v[23:24], 2, v[6:7]
	v_add_nc_u32_e32 v6, 4, v13
	v_add_co_u32 v12, vcc_lo, s8, v19
	v_add_co_ci_u32_e32 v13, vcc_lo, s9, v20, vcc_lo
	s_delay_alu instid0(VALU_DEP_3)
	v_lshlrev_b64 v[5:6], 2, v[6:7]
	global_load_b32 v19, v[21:22], off
	global_load_b32 v20, v[12:13], off
	v_add_co_u32 v12, vcc_lo, s8, v23
	v_add_co_ci_u32_e32 v13, vcc_lo, s9, v24, vcc_lo
	v_add_co_u32 v5, vcc_lo, s10, v5
	v_add_co_ci_u32_e32 v6, vcc_lo, s11, v6, vcc_lo
	s_clause 0x1
	global_load_b32 v17, v[17:18], off
	global_load_b32 v12, v[12:13], off
	;; [unrolled: 1-line block ×3, first 2 shown]
	v_cmp_ge_i32_e32 vcc_lo, v2, v11
	s_or_b32 s2, vcc_lo, s2
	s_waitcnt vmcnt(7)
	v_dual_fmac_f32 v10, v25, v14 :: v_dual_fmac_f32 v9, v26, v27
	s_waitcnt vmcnt(6)
	s_delay_alu instid0(VALU_DEP_1) | instskip(SKIP_1) | instid1(VALU_DEP_2)
	v_fmac_f32_e32 v10, v28, v27
	s_waitcnt vmcnt(4)
	v_fmac_f32_e32 v9, v29, v19
	s_waitcnt vmcnt(3)
	s_delay_alu instid0(VALU_DEP_2) | instskip(SKIP_1) | instid1(VALU_DEP_2)
	v_fmac_f32_e32 v10, v20, v19
	s_waitcnt vmcnt(0)
	v_fmac_f32_e32 v9, v12, v5
	s_delay_alu instid0(VALU_DEP_2)
	v_fmac_f32_e32 v10, v17, v5
	s_and_not1_b32 exec_lo, exec_lo, s2
	s_cbranch_execnz .LBB17_15
; %bb.16:
	s_or_b32 exec_lo, exec_lo, s2
.LBB17_17:
	s_delay_alu instid0(SALU_CYCLE_1)
	s_or_b32 exec_lo, exec_lo, s3
.LBB17_18:
	v_mbcnt_lo_u32_b32 v2, -1, 0
	s_mov_b32 s2, -1
	s_delay_alu instid0(VALU_DEP_1) | instskip(SKIP_2) | instid1(VALU_DEP_3)
	v_xor_b32_e32 v3, 8, v2
	v_xor_b32_e32 v5, 4, v2
	;; [unrolled: 1-line block ×3, first 2 shown]
	v_cmp_gt_i32_e32 vcc_lo, 32, v3
	v_cndmask_b32_e32 v3, v2, v3, vcc_lo
	s_delay_alu instid0(VALU_DEP_4) | instskip(NEXT) | instid1(VALU_DEP_2)
	v_cmp_gt_i32_e32 vcc_lo, 32, v5
	v_lshlrev_b32_e32 v3, 2, v3
	v_cndmask_b32_e32 v5, v2, v5, vcc_lo
	v_cmp_gt_i32_e32 vcc_lo, 32, v7
	ds_bpermute_b32 v4, v3, v9
	v_lshlrev_b32_e32 v5, 2, v5
	v_cndmask_b32_e32 v7, v2, v7, vcc_lo
	s_waitcnt lgkmcnt(0)
	s_delay_alu instid0(VALU_DEP_1)
	v_dual_add_f32 v4, v9, v4 :: v_dual_lshlrev_b32 v7, 2, v7
	ds_bpermute_b32 v6, v5, v4
	s_waitcnt lgkmcnt(0)
	v_add_f32_e32 v4, v4, v6
	ds_bpermute_b32 v3, v3, v10
	s_waitcnt lgkmcnt(0)
	v_add_f32_e32 v3, v10, v3
	;; [unrolled: 3-line block ×3, first 2 shown]
	ds_bpermute_b32 v5, v7, v4
	ds_bpermute_b32 v6, v7, v3
	v_xor_b32_e32 v7, 1, v2
	s_delay_alu instid0(VALU_DEP_1) | instskip(SKIP_3) | instid1(VALU_DEP_2)
	v_cmp_gt_i32_e32 vcc_lo, 32, v7
	v_cndmask_b32_e32 v2, v2, v7, vcc_lo
	v_cmp_eq_u32_e32 vcc_lo, 15, v0
	s_waitcnt lgkmcnt(1)
	v_dual_add_f32 v2, v4, v5 :: v_dual_lshlrev_b32 v7, 2, v2
	s_waitcnt lgkmcnt(0)
	v_add_f32_e32 v3, v3, v6
	ds_bpermute_b32 v4, v7, v2
	ds_bpermute_b32 v5, v7, v3
	s_and_b32 exec_lo, exec_lo, vcc_lo
	s_cbranch_execz .LBB17_23
; %bb.19:
	s_load_b64 s[0:1], s[0:1], 0x38
	s_waitcnt lgkmcnt(0)
	v_dual_add_f32 v0, v2, v4 :: v_dual_add_f32 v3, v3, v5
	v_cmp_eq_f32_e64 s3, s12, 0
	s_delay_alu instid0(VALU_DEP_2) | instskip(SKIP_1) | instid1(VALU_DEP_3)
	v_dual_mul_f32 v2, s16, v0 :: v_dual_mul_f32 v3, s16, v3
	v_lshlrev_b32_e32 v0, 1, v1
	s_and_b32 vcc_lo, exec_lo, s3
	s_cbranch_vccz .LBB17_21
; %bb.20:
	s_delay_alu instid0(VALU_DEP_1) | instskip(SKIP_1) | instid1(VALU_DEP_1)
	v_ashrrev_i32_e32 v1, 31, v0
	s_mov_b32 s2, 0
	v_lshlrev_b64 v[4:5], 2, v[0:1]
	s_delay_alu instid0(VALU_DEP_1) | instskip(NEXT) | instid1(VALU_DEP_2)
	v_add_co_u32 v4, vcc_lo, s0, v4
	v_add_co_ci_u32_e32 v5, vcc_lo, s1, v5, vcc_lo
	global_store_b64 v[4:5], v[2:3], off
.LBB17_21:
	s_and_not1_b32 vcc_lo, exec_lo, s2
	s_cbranch_vccnz .LBB17_23
; %bb.22:
	v_ashrrev_i32_e32 v1, 31, v0
	s_delay_alu instid0(VALU_DEP_1) | instskip(NEXT) | instid1(VALU_DEP_1)
	v_lshlrev_b64 v[0:1], 2, v[0:1]
	v_add_co_u32 v0, vcc_lo, s0, v0
	s_delay_alu instid0(VALU_DEP_2)
	v_add_co_ci_u32_e32 v1, vcc_lo, s1, v1, vcc_lo
	global_load_b64 v[4:5], v[0:1], off
	s_waitcnt vmcnt(0)
	v_dual_fmac_f32 v2, s12, v4 :: v_dual_fmac_f32 v3, s12, v5
	global_store_b64 v[0:1], v[2:3], off
.LBB17_23:
	s_nop 0
	s_sendmsg sendmsg(MSG_DEALLOC_VGPRS)
	s_endpgm
	.section	.rodata,"a",@progbits
	.p2align	6, 0x0
	.amdhsa_kernel _ZN9rocsparseL19gebsrmvn_2xn_kernelILj128ELj5ELj16EfEEvi20rocsparse_direction_NS_24const_host_device_scalarIT2_EEPKiS6_PKS3_S8_S4_PS3_21rocsparse_index_base_b
		.amdhsa_group_segment_fixed_size 0
		.amdhsa_private_segment_fixed_size 0
		.amdhsa_kernarg_size 72
		.amdhsa_user_sgpr_count 15
		.amdhsa_user_sgpr_dispatch_ptr 0
		.amdhsa_user_sgpr_queue_ptr 0
		.amdhsa_user_sgpr_kernarg_segment_ptr 1
		.amdhsa_user_sgpr_dispatch_id 0
		.amdhsa_user_sgpr_private_segment_size 0
		.amdhsa_wavefront_size32 1
		.amdhsa_uses_dynamic_stack 0
		.amdhsa_enable_private_segment 0
		.amdhsa_system_sgpr_workgroup_id_x 1
		.amdhsa_system_sgpr_workgroup_id_y 0
		.amdhsa_system_sgpr_workgroup_id_z 0
		.amdhsa_system_sgpr_workgroup_info 0
		.amdhsa_system_vgpr_workitem_id 0
		.amdhsa_next_free_vgpr 30
		.amdhsa_next_free_sgpr 20
		.amdhsa_reserve_vcc 1
		.amdhsa_float_round_mode_32 0
		.amdhsa_float_round_mode_16_64 0
		.amdhsa_float_denorm_mode_32 3
		.amdhsa_float_denorm_mode_16_64 3
		.amdhsa_dx10_clamp 1
		.amdhsa_ieee_mode 1
		.amdhsa_fp16_overflow 0
		.amdhsa_workgroup_processor_mode 1
		.amdhsa_memory_ordered 1
		.amdhsa_forward_progress 0
		.amdhsa_shared_vgpr_count 0
		.amdhsa_exception_fp_ieee_invalid_op 0
		.amdhsa_exception_fp_denorm_src 0
		.amdhsa_exception_fp_ieee_div_zero 0
		.amdhsa_exception_fp_ieee_overflow 0
		.amdhsa_exception_fp_ieee_underflow 0
		.amdhsa_exception_fp_ieee_inexact 0
		.amdhsa_exception_int_div_zero 0
	.end_amdhsa_kernel
	.section	.text._ZN9rocsparseL19gebsrmvn_2xn_kernelILj128ELj5ELj16EfEEvi20rocsparse_direction_NS_24const_host_device_scalarIT2_EEPKiS6_PKS3_S8_S4_PS3_21rocsparse_index_base_b,"axG",@progbits,_ZN9rocsparseL19gebsrmvn_2xn_kernelILj128ELj5ELj16EfEEvi20rocsparse_direction_NS_24const_host_device_scalarIT2_EEPKiS6_PKS3_S8_S4_PS3_21rocsparse_index_base_b,comdat
.Lfunc_end17:
	.size	_ZN9rocsparseL19gebsrmvn_2xn_kernelILj128ELj5ELj16EfEEvi20rocsparse_direction_NS_24const_host_device_scalarIT2_EEPKiS6_PKS3_S8_S4_PS3_21rocsparse_index_base_b, .Lfunc_end17-_ZN9rocsparseL19gebsrmvn_2xn_kernelILj128ELj5ELj16EfEEvi20rocsparse_direction_NS_24const_host_device_scalarIT2_EEPKiS6_PKS3_S8_S4_PS3_21rocsparse_index_base_b
                                        ; -- End function
	.section	.AMDGPU.csdata,"",@progbits
; Kernel info:
; codeLenInByte = 1964
; NumSgprs: 22
; NumVgprs: 30
; ScratchSize: 0
; MemoryBound: 0
; FloatMode: 240
; IeeeMode: 1
; LDSByteSize: 0 bytes/workgroup (compile time only)
; SGPRBlocks: 2
; VGPRBlocks: 3
; NumSGPRsForWavesPerEU: 22
; NumVGPRsForWavesPerEU: 30
; Occupancy: 16
; WaveLimiterHint : 1
; COMPUTE_PGM_RSRC2:SCRATCH_EN: 0
; COMPUTE_PGM_RSRC2:USER_SGPR: 15
; COMPUTE_PGM_RSRC2:TRAP_HANDLER: 0
; COMPUTE_PGM_RSRC2:TGID_X_EN: 1
; COMPUTE_PGM_RSRC2:TGID_Y_EN: 0
; COMPUTE_PGM_RSRC2:TGID_Z_EN: 0
; COMPUTE_PGM_RSRC2:TIDIG_COMP_CNT: 0
	.section	.text._ZN9rocsparseL19gebsrmvn_2xn_kernelILj128ELj5ELj32EfEEvi20rocsparse_direction_NS_24const_host_device_scalarIT2_EEPKiS6_PKS3_S8_S4_PS3_21rocsparse_index_base_b,"axG",@progbits,_ZN9rocsparseL19gebsrmvn_2xn_kernelILj128ELj5ELj32EfEEvi20rocsparse_direction_NS_24const_host_device_scalarIT2_EEPKiS6_PKS3_S8_S4_PS3_21rocsparse_index_base_b,comdat
	.globl	_ZN9rocsparseL19gebsrmvn_2xn_kernelILj128ELj5ELj32EfEEvi20rocsparse_direction_NS_24const_host_device_scalarIT2_EEPKiS6_PKS3_S8_S4_PS3_21rocsparse_index_base_b ; -- Begin function _ZN9rocsparseL19gebsrmvn_2xn_kernelILj128ELj5ELj32EfEEvi20rocsparse_direction_NS_24const_host_device_scalarIT2_EEPKiS6_PKS3_S8_S4_PS3_21rocsparse_index_base_b
	.p2align	8
	.type	_ZN9rocsparseL19gebsrmvn_2xn_kernelILj128ELj5ELj32EfEEvi20rocsparse_direction_NS_24const_host_device_scalarIT2_EEPKiS6_PKS3_S8_S4_PS3_21rocsparse_index_base_b,@function
_ZN9rocsparseL19gebsrmvn_2xn_kernelILj128ELj5ELj32EfEEvi20rocsparse_direction_NS_24const_host_device_scalarIT2_EEPKiS6_PKS3_S8_S4_PS3_21rocsparse_index_base_b: ; @_ZN9rocsparseL19gebsrmvn_2xn_kernelILj128ELj5ELj32EfEEvi20rocsparse_direction_NS_24const_host_device_scalarIT2_EEPKiS6_PKS3_S8_S4_PS3_21rocsparse_index_base_b
; %bb.0:
	s_clause 0x2
	s_load_b64 s[18:19], s[0:1], 0x40
	s_load_b64 s[16:17], s[0:1], 0x8
	;; [unrolled: 1-line block ×3, first 2 shown]
	s_waitcnt lgkmcnt(0)
	s_bitcmp1_b32 s19, 0
	s_cselect_b32 s2, -1, 0
	s_delay_alu instid0(SALU_CYCLE_1)
	s_and_b32 vcc_lo, exec_lo, s2
	s_xor_b32 s2, s2, -1
	s_cbranch_vccnz .LBB18_2
; %bb.1:
	s_load_b32 s16, s[16:17], 0x0
.LBB18_2:
	s_and_not1_b32 vcc_lo, exec_lo, s2
	s_cbranch_vccnz .LBB18_4
; %bb.3:
	s_load_b32 s12, s[12:13], 0x0
.LBB18_4:
	s_waitcnt lgkmcnt(0)
	v_cmp_eq_f32_e64 s2, s16, 0
	v_cmp_eq_f32_e64 s3, s12, 1.0
	s_delay_alu instid0(VALU_DEP_1) | instskip(NEXT) | instid1(SALU_CYCLE_1)
	s_and_b32 s2, s2, s3
	s_and_b32 vcc_lo, exec_lo, s2
	s_cbranch_vccnz .LBB18_23
; %bb.5:
	s_load_b64 s[2:3], s[0:1], 0x0
	v_lshrrev_b32_e32 v1, 5, v0
	s_delay_alu instid0(VALU_DEP_1) | instskip(SKIP_1) | instid1(VALU_DEP_1)
	v_lshl_or_b32 v1, s15, 2, v1
	s_waitcnt lgkmcnt(0)
	v_cmp_gt_i32_e32 vcc_lo, s2, v1
	s_and_saveexec_b32 s2, vcc_lo
	s_cbranch_execz .LBB18_23
; %bb.6:
	s_load_b256 s[4:11], s[0:1], 0x10
	v_ashrrev_i32_e32 v2, 31, v1
	v_and_b32_e32 v0, 31, v0
	s_cmp_lg_u32 s3, 0
	s_delay_alu instid0(VALU_DEP_2) | instskip(SKIP_1) | instid1(VALU_DEP_1)
	v_lshlrev_b64 v[2:3], 2, v[1:2]
	s_waitcnt lgkmcnt(0)
	v_add_co_u32 v2, vcc_lo, s4, v2
	s_delay_alu instid0(VALU_DEP_2) | instskip(SKIP_4) | instid1(VALU_DEP_2)
	v_add_co_ci_u32_e32 v3, vcc_lo, s5, v3, vcc_lo
	global_load_b64 v[2:3], v[2:3], off
	s_waitcnt vmcnt(0)
	v_subrev_nc_u32_e32 v2, s18, v2
	v_subrev_nc_u32_e32 v11, s18, v3
	v_add_nc_u32_e32 v2, v2, v0
	s_delay_alu instid0(VALU_DEP_1)
	v_cmp_lt_i32_e64 s2, v2, v11
	s_cbranch_scc0 .LBB18_12
; %bb.7:
	v_dual_mov_b32 v9, 0 :: v_dual_mov_b32 v10, 0
	s_mov_b32 s3, 0
	s_delay_alu instid0(VALU_DEP_2)
	s_and_saveexec_b32 s4, s2
	s_cbranch_execz .LBB18_11
; %bb.8:
	v_mad_u64_u32 v[3:4], null, v2, 10, 8
	v_dual_mov_b32 v6, 0 :: v_dual_mov_b32 v7, v2
	v_dual_mov_b32 v9, 0 :: v_dual_mov_b32 v10, 0
	s_mov_b32 s5, 0
.LBB18_9:                               ; =>This Inner Loop Header: Depth=1
	s_delay_alu instid0(VALU_DEP_2) | instskip(NEXT) | instid1(VALU_DEP_1)
	v_ashrrev_i32_e32 v8, 31, v7
	v_lshlrev_b64 v[4:5], 2, v[7:8]
	v_add_nc_u32_e32 v7, 32, v7
	s_delay_alu instid0(VALU_DEP_2) | instskip(NEXT) | instid1(VALU_DEP_3)
	v_add_co_u32 v4, vcc_lo, s6, v4
	v_add_co_ci_u32_e32 v5, vcc_lo, s7, v5, vcc_lo
	global_load_b32 v8, v[4:5], off
	v_dual_mov_b32 v4, v6 :: v_dual_add_nc_u32 v5, -8, v3
	s_delay_alu instid0(VALU_DEP_1) | instskip(SKIP_1) | instid1(VALU_DEP_3)
	v_lshlrev_b64 v[14:15], 2, v[5:6]
	v_add_nc_u32_e32 v5, -6, v3
	v_lshlrev_b64 v[16:17], 2, v[3:4]
	s_delay_alu instid0(VALU_DEP_2) | instskip(NEXT) | instid1(VALU_DEP_4)
	v_lshlrev_b64 v[4:5], 2, v[5:6]
	v_add_co_u32 v14, vcc_lo, s8, v14
	v_add_co_ci_u32_e32 v15, vcc_lo, s9, v15, vcc_lo
	s_delay_alu instid0(VALU_DEP_4)
	v_add_co_u32 v16, vcc_lo, s8, v16
	v_add_co_ci_u32_e32 v17, vcc_lo, s9, v17, vcc_lo
	v_add_co_u32 v4, vcc_lo, s8, v4
	v_add_co_ci_u32_e32 v5, vcc_lo, s9, v5, vcc_lo
	s_clause 0x1
	global_load_b64 v[14:15], v[14:15], off
	global_load_b64 v[18:19], v[4:5], off
	v_mov_b32_e32 v13, v6
	s_waitcnt vmcnt(2)
	v_subrev_nc_u32_e32 v4, s18, v8
	s_delay_alu instid0(VALU_DEP_1) | instskip(NEXT) | instid1(VALU_DEP_1)
	v_lshl_add_u32 v12, v4, 2, v4
	v_add_nc_u32_e32 v5, 1, v12
	v_lshlrev_b64 v[20:21], 2, v[12:13]
	s_delay_alu instid0(VALU_DEP_2) | instskip(SKIP_1) | instid1(VALU_DEP_3)
	v_lshlrev_b64 v[22:23], 2, v[5:6]
	v_add_nc_u32_e32 v5, -4, v3
	v_add_co_u32 v20, vcc_lo, s10, v20
	s_delay_alu instid0(VALU_DEP_4) | instskip(NEXT) | instid1(VALU_DEP_4)
	v_add_co_ci_u32_e32 v21, vcc_lo, s11, v21, vcc_lo
	v_add_co_u32 v22, vcc_lo, s10, v22
	s_delay_alu instid0(VALU_DEP_4)
	v_lshlrev_b64 v[24:25], 2, v[5:6]
	v_add_nc_u32_e32 v5, 2, v12
	v_add_co_ci_u32_e32 v23, vcc_lo, s11, v23, vcc_lo
	s_clause 0x1
	global_load_b32 v8, v[20:21], off
	global_load_b32 v28, v[22:23], off
	v_lshlrev_b64 v[20:21], 2, v[5:6]
	v_add_nc_u32_e32 v5, -2, v3
	v_add_co_u32 v22, vcc_lo, s8, v24
	v_add_co_ci_u32_e32 v23, vcc_lo, s9, v25, vcc_lo
	s_delay_alu instid0(VALU_DEP_3) | instskip(SKIP_3) | instid1(VALU_DEP_3)
	v_lshlrev_b64 v[24:25], 2, v[5:6]
	v_add_nc_u32_e32 v5, 3, v12
	v_add_co_u32 v20, vcc_lo, s10, v20
	v_add_co_ci_u32_e32 v21, vcc_lo, s11, v21, vcc_lo
	v_lshlrev_b64 v[26:27], 2, v[5:6]
	v_add_nc_u32_e32 v5, 4, v12
	v_add_co_u32 v12, vcc_lo, s8, v24
	v_add_co_ci_u32_e32 v13, vcc_lo, s9, v25, vcc_lo
	s_delay_alu instid0(VALU_DEP_3)
	v_lshlrev_b64 v[4:5], 2, v[5:6]
	global_load_b32 v29, v[20:21], off
	v_add_co_u32 v20, vcc_lo, s10, v26
	global_load_b64 v[22:23], v[22:23], off
	v_add_co_ci_u32_e32 v21, vcc_lo, s11, v27, vcc_lo
	v_add_co_u32 v4, vcc_lo, s10, v4
	global_load_b64 v[12:13], v[12:13], off
	global_load_b32 v20, v[20:21], off
	v_add_co_ci_u32_e32 v5, vcc_lo, s11, v5, vcc_lo
	global_load_b64 v[16:17], v[16:17], off
	global_load_b32 v4, v[4:5], off
	v_cmp_ge_i32_e32 vcc_lo, v7, v11
	v_add_nc_u32_e32 v3, 0x140, v3
	s_or_b32 s5, vcc_lo, s5
	s_waitcnt vmcnt(7)
	v_fmac_f32_e32 v9, v14, v8
	v_fmac_f32_e32 v10, v15, v8
	s_waitcnt vmcnt(6)
	s_delay_alu instid0(VALU_DEP_2) | instskip(SKIP_1) | instid1(VALU_DEP_1)
	v_fmac_f32_e32 v9, v18, v28
	s_waitcnt vmcnt(4)
	v_dual_fmac_f32 v10, v19, v28 :: v_dual_fmac_f32 v9, v22, v29
	s_waitcnt vmcnt(2)
	s_delay_alu instid0(VALU_DEP_1) | instskip(NEXT) | instid1(VALU_DEP_1)
	v_dual_fmac_f32 v10, v23, v29 :: v_dual_fmac_f32 v9, v12, v20
	v_fmac_f32_e32 v10, v13, v20
	s_waitcnt vmcnt(0)
	s_delay_alu instid0(VALU_DEP_2) | instskip(NEXT) | instid1(VALU_DEP_2)
	v_fmac_f32_e32 v9, v16, v4
	v_fmac_f32_e32 v10, v17, v4
	s_and_not1_b32 exec_lo, exec_lo, s5
	s_cbranch_execnz .LBB18_9
; %bb.10:
	s_or_b32 exec_lo, exec_lo, s5
.LBB18_11:
	s_delay_alu instid0(SALU_CYCLE_1) | instskip(NEXT) | instid1(SALU_CYCLE_1)
	s_or_b32 exec_lo, exec_lo, s4
	s_and_not1_b32 vcc_lo, exec_lo, s3
	s_cbranch_vccz .LBB18_13
	s_branch .LBB18_18
.LBB18_12:
                                        ; implicit-def: $vgpr9
                                        ; implicit-def: $vgpr10
.LBB18_13:
	v_dual_mov_b32 v9, 0 :: v_dual_mov_b32 v10, 0
	s_delay_alu instid0(VALU_DEP_2)
	s_and_saveexec_b32 s3, s2
	s_cbranch_execz .LBB18_17
; %bb.14:
	v_mad_u64_u32 v[4:5], null, v2, 10, 9
	v_dual_mov_b32 v7, 0 :: v_dual_mov_b32 v10, 0
	v_mov_b32_e32 v9, 0
	s_mov_b32 s2, 0
.LBB18_15:                              ; =>This Inner Loop Header: Depth=1
	v_ashrrev_i32_e32 v3, 31, v2
	s_delay_alu instid0(VALU_DEP_4) | instskip(SKIP_2) | instid1(VALU_DEP_4)
	v_add_nc_u32_e32 v12, -4, v4
	v_mov_b32_e32 v14, v7
	v_mov_b32_e32 v13, v7
	v_lshlrev_b64 v[5:6], 2, v[2:3]
	v_add_nc_u32_e32 v2, 32, v2
	s_delay_alu instid0(VALU_DEP_2) | instskip(NEXT) | instid1(VALU_DEP_3)
	v_add_co_u32 v5, vcc_lo, s6, v5
	v_add_co_ci_u32_e32 v6, vcc_lo, s7, v6, vcc_lo
	global_load_b32 v3, v[5:6], off
	v_dual_mov_b32 v5, v7 :: v_dual_add_nc_u32 v6, -9, v4
	v_lshlrev_b64 v[12:13], 2, v[12:13]
	s_delay_alu instid0(VALU_DEP_2) | instskip(NEXT) | instid1(VALU_DEP_3)
	v_lshlrev_b64 v[15:16], 2, v[6:7]
	v_lshlrev_b64 v[5:6], 2, v[4:5]
	s_delay_alu instid0(VALU_DEP_2) | instskip(NEXT) | instid1(VALU_DEP_3)
	v_add_co_u32 v15, vcc_lo, s8, v15
	v_add_co_ci_u32_e32 v16, vcc_lo, s9, v16, vcc_lo
	v_add_co_u32 v12, vcc_lo, s8, v12
	v_add_co_ci_u32_e32 v13, vcc_lo, s9, v13, vcc_lo
	s_clause 0x1
	global_load_b64 v[15:16], v[15:16], off
	global_load_b32 v8, v[12:13], off
	v_add_co_u32 v17, vcc_lo, s8, v5
	v_add_co_ci_u32_e32 v18, vcc_lo, s9, v6, vcc_lo
	s_waitcnt vmcnt(2)
	v_subrev_nc_u32_e32 v3, s18, v3
	s_delay_alu instid0(VALU_DEP_1) | instskip(NEXT) | instid1(VALU_DEP_1)
	v_lshl_add_u32 v13, v3, 2, v3
	v_lshlrev_b64 v[19:20], 2, v[13:14]
	s_delay_alu instid0(VALU_DEP_1) | instskip(NEXT) | instid1(VALU_DEP_2)
	v_add_co_u32 v19, vcc_lo, s10, v19
	v_add_co_ci_u32_e32 v20, vcc_lo, s11, v20, vcc_lo
	global_load_b32 v3, v[19:20], off
	s_waitcnt vmcnt(0)
	v_dual_fmac_f32 v9, v15, v3 :: v_dual_add_nc_u32 v6, 1, v13
	s_delay_alu instid0(VALU_DEP_1) | instskip(SKIP_1) | instid1(VALU_DEP_2)
	v_lshlrev_b64 v[21:22], 2, v[6:7]
	v_fmac_f32_e32 v10, v8, v3
	v_add_co_u32 v19, vcc_lo, s10, v21
	s_delay_alu instid0(VALU_DEP_3) | instskip(SKIP_3) | instid1(VALU_DEP_1)
	v_add_co_ci_u32_e32 v20, vcc_lo, s11, v22, vcc_lo
	global_load_b32 v14, v[19:20], off
	s_waitcnt vmcnt(0)
	v_dual_fmac_f32 v9, v16, v14 :: v_dual_add_nc_u32 v6, -3, v4
	v_lshlrev_b64 v[23:24], 2, v[6:7]
	v_add_nc_u32_e32 v6, -7, v4
	s_delay_alu instid0(VALU_DEP_1) | instskip(SKIP_1) | instid1(VALU_DEP_4)
	v_lshlrev_b64 v[21:22], 2, v[6:7]
	v_add_nc_u32_e32 v6, 2, v13
	v_add_co_u32 v23, vcc_lo, s8, v23
	v_add_co_ci_u32_e32 v24, vcc_lo, s9, v24, vcc_lo
	s_delay_alu instid0(VALU_DEP_3) | instskip(SKIP_3) | instid1(VALU_DEP_4)
	v_lshlrev_b64 v[19:20], 2, v[6:7]
	v_add_co_u32 v21, vcc_lo, s8, v21
	v_add_nc_u32_e32 v6, -2, v4
	v_add_co_ci_u32_e32 v22, vcc_lo, s9, v22, vcc_lo
	v_add_co_u32 v19, vcc_lo, s10, v19
	s_clause 0x1
	global_load_b32 v25, v[23:24], off
	global_load_b32 v26, v[21:22], off
	v_lshlrev_b64 v[23:24], 2, v[6:7]
	v_add_co_ci_u32_e32 v20, vcc_lo, s11, v20, vcc_lo
	v_add_nc_u32_e32 v6, -6, v4
	global_load_b32 v27, v[19:20], off
	v_add_co_u32 v19, vcc_lo, s8, v23
	v_add_co_ci_u32_e32 v20, vcc_lo, s9, v24, vcc_lo
	global_load_b32 v28, v[19:20], off
	v_lshlrev_b64 v[21:22], 2, v[6:7]
	v_add_nc_u32_e32 v6, 3, v13
	s_delay_alu instid0(VALU_DEP_1) | instskip(SKIP_1) | instid1(VALU_DEP_4)
	v_lshlrev_b64 v[23:24], 2, v[6:7]
	v_add_nc_u32_e32 v6, -1, v4
	v_add_co_u32 v21, vcc_lo, s8, v21
	v_add_co_ci_u32_e32 v22, vcc_lo, s9, v22, vcc_lo
	s_delay_alu instid0(VALU_DEP_3)
	v_lshlrev_b64 v[19:20], 2, v[6:7]
	v_add_nc_u32_e32 v6, -5, v4
	v_add_nc_u32_e32 v4, 0x140, v4
	global_load_b32 v29, v[21:22], off
	v_add_co_u32 v21, vcc_lo, s10, v23
	v_add_co_ci_u32_e32 v22, vcc_lo, s11, v24, vcc_lo
	v_lshlrev_b64 v[23:24], 2, v[6:7]
	v_add_nc_u32_e32 v6, 4, v13
	v_add_co_u32 v12, vcc_lo, s8, v19
	v_add_co_ci_u32_e32 v13, vcc_lo, s9, v20, vcc_lo
	s_delay_alu instid0(VALU_DEP_3)
	v_lshlrev_b64 v[5:6], 2, v[6:7]
	global_load_b32 v19, v[21:22], off
	global_load_b32 v20, v[12:13], off
	v_add_co_u32 v12, vcc_lo, s8, v23
	v_add_co_ci_u32_e32 v13, vcc_lo, s9, v24, vcc_lo
	v_add_co_u32 v5, vcc_lo, s10, v5
	v_add_co_ci_u32_e32 v6, vcc_lo, s11, v6, vcc_lo
	s_clause 0x1
	global_load_b32 v17, v[17:18], off
	global_load_b32 v12, v[12:13], off
	;; [unrolled: 1-line block ×3, first 2 shown]
	v_cmp_ge_i32_e32 vcc_lo, v2, v11
	s_or_b32 s2, vcc_lo, s2
	s_waitcnt vmcnt(7)
	v_dual_fmac_f32 v10, v25, v14 :: v_dual_fmac_f32 v9, v26, v27
	s_waitcnt vmcnt(6)
	s_delay_alu instid0(VALU_DEP_1) | instskip(SKIP_1) | instid1(VALU_DEP_2)
	v_fmac_f32_e32 v10, v28, v27
	s_waitcnt vmcnt(4)
	v_fmac_f32_e32 v9, v29, v19
	s_waitcnt vmcnt(3)
	s_delay_alu instid0(VALU_DEP_2) | instskip(SKIP_1) | instid1(VALU_DEP_2)
	v_fmac_f32_e32 v10, v20, v19
	s_waitcnt vmcnt(0)
	v_fmac_f32_e32 v9, v12, v5
	s_delay_alu instid0(VALU_DEP_2)
	v_fmac_f32_e32 v10, v17, v5
	s_and_not1_b32 exec_lo, exec_lo, s2
	s_cbranch_execnz .LBB18_15
; %bb.16:
	s_or_b32 exec_lo, exec_lo, s2
.LBB18_17:
	s_delay_alu instid0(SALU_CYCLE_1)
	s_or_b32 exec_lo, exec_lo, s3
.LBB18_18:
	v_mbcnt_lo_u32_b32 v2, -1, 0
	s_mov_b32 s2, -1
	s_delay_alu instid0(VALU_DEP_1) | instskip(SKIP_2) | instid1(VALU_DEP_3)
	v_xor_b32_e32 v3, 16, v2
	v_xor_b32_e32 v5, 8, v2
	;; [unrolled: 1-line block ×3, first 2 shown]
	v_cmp_gt_i32_e32 vcc_lo, 32, v3
	v_cndmask_b32_e32 v3, v2, v3, vcc_lo
	s_delay_alu instid0(VALU_DEP_4) | instskip(NEXT) | instid1(VALU_DEP_2)
	v_cmp_gt_i32_e32 vcc_lo, 32, v5
	v_lshlrev_b32_e32 v3, 2, v3
	v_cndmask_b32_e32 v5, v2, v5, vcc_lo
	v_cmp_gt_i32_e32 vcc_lo, 32, v7
	ds_bpermute_b32 v4, v3, v9
	v_lshlrev_b32_e32 v5, 2, v5
	v_cndmask_b32_e32 v7, v2, v7, vcc_lo
	s_waitcnt lgkmcnt(0)
	s_delay_alu instid0(VALU_DEP_1)
	v_dual_add_f32 v4, v9, v4 :: v_dual_lshlrev_b32 v7, 2, v7
	ds_bpermute_b32 v6, v5, v4
	s_waitcnt lgkmcnt(0)
	v_add_f32_e32 v4, v4, v6
	ds_bpermute_b32 v3, v3, v10
	s_waitcnt lgkmcnt(0)
	v_add_f32_e32 v3, v10, v3
	;; [unrolled: 3-line block ×3, first 2 shown]
	ds_bpermute_b32 v5, v7, v4
	ds_bpermute_b32 v6, v7, v3
	v_xor_b32_e32 v7, 2, v2
	s_delay_alu instid0(VALU_DEP_1) | instskip(SKIP_2) | instid1(VALU_DEP_1)
	v_cmp_gt_i32_e32 vcc_lo, 32, v7
	s_waitcnt lgkmcnt(1)
	v_dual_cndmask_b32 v7, v2, v7 :: v_dual_add_f32 v4, v4, v5
	v_lshlrev_b32_e32 v7, 2, v7
	s_waitcnt lgkmcnt(0)
	v_add_f32_e32 v3, v3, v6
	ds_bpermute_b32 v5, v7, v4
	ds_bpermute_b32 v6, v7, v3
	v_xor_b32_e32 v7, 1, v2
	s_delay_alu instid0(VALU_DEP_1) | instskip(SKIP_3) | instid1(VALU_DEP_2)
	v_cmp_gt_i32_e32 vcc_lo, 32, v7
	v_cndmask_b32_e32 v2, v2, v7, vcc_lo
	v_cmp_eq_u32_e32 vcc_lo, 31, v0
	s_waitcnt lgkmcnt(1)
	v_dual_add_f32 v2, v4, v5 :: v_dual_lshlrev_b32 v7, 2, v2
	s_waitcnt lgkmcnt(0)
	v_add_f32_e32 v3, v3, v6
	ds_bpermute_b32 v4, v7, v2
	ds_bpermute_b32 v5, v7, v3
	s_and_b32 exec_lo, exec_lo, vcc_lo
	s_cbranch_execz .LBB18_23
; %bb.19:
	s_load_b64 s[0:1], s[0:1], 0x38
	s_waitcnt lgkmcnt(0)
	v_dual_add_f32 v0, v2, v4 :: v_dual_add_f32 v3, v3, v5
	v_cmp_eq_f32_e64 s3, s12, 0
	s_delay_alu instid0(VALU_DEP_2) | instskip(SKIP_1) | instid1(VALU_DEP_3)
	v_dual_mul_f32 v2, s16, v0 :: v_dual_mul_f32 v3, s16, v3
	v_lshlrev_b32_e32 v0, 1, v1
	s_and_b32 vcc_lo, exec_lo, s3
	s_cbranch_vccz .LBB18_21
; %bb.20:
	s_delay_alu instid0(VALU_DEP_1) | instskip(SKIP_1) | instid1(VALU_DEP_1)
	v_ashrrev_i32_e32 v1, 31, v0
	s_mov_b32 s2, 0
	v_lshlrev_b64 v[4:5], 2, v[0:1]
	s_delay_alu instid0(VALU_DEP_1) | instskip(NEXT) | instid1(VALU_DEP_2)
	v_add_co_u32 v4, vcc_lo, s0, v4
	v_add_co_ci_u32_e32 v5, vcc_lo, s1, v5, vcc_lo
	global_store_b64 v[4:5], v[2:3], off
.LBB18_21:
	s_and_not1_b32 vcc_lo, exec_lo, s2
	s_cbranch_vccnz .LBB18_23
; %bb.22:
	v_ashrrev_i32_e32 v1, 31, v0
	s_delay_alu instid0(VALU_DEP_1) | instskip(NEXT) | instid1(VALU_DEP_1)
	v_lshlrev_b64 v[0:1], 2, v[0:1]
	v_add_co_u32 v0, vcc_lo, s0, v0
	s_delay_alu instid0(VALU_DEP_2)
	v_add_co_ci_u32_e32 v1, vcc_lo, s1, v1, vcc_lo
	global_load_b64 v[4:5], v[0:1], off
	s_waitcnt vmcnt(0)
	v_dual_fmac_f32 v2, s12, v4 :: v_dual_fmac_f32 v3, s12, v5
	global_store_b64 v[0:1], v[2:3], off
.LBB18_23:
	s_nop 0
	s_sendmsg sendmsg(MSG_DEALLOC_VGPRS)
	s_endpgm
	.section	.rodata,"a",@progbits
	.p2align	6, 0x0
	.amdhsa_kernel _ZN9rocsparseL19gebsrmvn_2xn_kernelILj128ELj5ELj32EfEEvi20rocsparse_direction_NS_24const_host_device_scalarIT2_EEPKiS6_PKS3_S8_S4_PS3_21rocsparse_index_base_b
		.amdhsa_group_segment_fixed_size 0
		.amdhsa_private_segment_fixed_size 0
		.amdhsa_kernarg_size 72
		.amdhsa_user_sgpr_count 15
		.amdhsa_user_sgpr_dispatch_ptr 0
		.amdhsa_user_sgpr_queue_ptr 0
		.amdhsa_user_sgpr_kernarg_segment_ptr 1
		.amdhsa_user_sgpr_dispatch_id 0
		.amdhsa_user_sgpr_private_segment_size 0
		.amdhsa_wavefront_size32 1
		.amdhsa_uses_dynamic_stack 0
		.amdhsa_enable_private_segment 0
		.amdhsa_system_sgpr_workgroup_id_x 1
		.amdhsa_system_sgpr_workgroup_id_y 0
		.amdhsa_system_sgpr_workgroup_id_z 0
		.amdhsa_system_sgpr_workgroup_info 0
		.amdhsa_system_vgpr_workitem_id 0
		.amdhsa_next_free_vgpr 30
		.amdhsa_next_free_sgpr 20
		.amdhsa_reserve_vcc 1
		.amdhsa_float_round_mode_32 0
		.amdhsa_float_round_mode_16_64 0
		.amdhsa_float_denorm_mode_32 3
		.amdhsa_float_denorm_mode_16_64 3
		.amdhsa_dx10_clamp 1
		.amdhsa_ieee_mode 1
		.amdhsa_fp16_overflow 0
		.amdhsa_workgroup_processor_mode 1
		.amdhsa_memory_ordered 1
		.amdhsa_forward_progress 0
		.amdhsa_shared_vgpr_count 0
		.amdhsa_exception_fp_ieee_invalid_op 0
		.amdhsa_exception_fp_denorm_src 0
		.amdhsa_exception_fp_ieee_div_zero 0
		.amdhsa_exception_fp_ieee_overflow 0
		.amdhsa_exception_fp_ieee_underflow 0
		.amdhsa_exception_fp_ieee_inexact 0
		.amdhsa_exception_int_div_zero 0
	.end_amdhsa_kernel
	.section	.text._ZN9rocsparseL19gebsrmvn_2xn_kernelILj128ELj5ELj32EfEEvi20rocsparse_direction_NS_24const_host_device_scalarIT2_EEPKiS6_PKS3_S8_S4_PS3_21rocsparse_index_base_b,"axG",@progbits,_ZN9rocsparseL19gebsrmvn_2xn_kernelILj128ELj5ELj32EfEEvi20rocsparse_direction_NS_24const_host_device_scalarIT2_EEPKiS6_PKS3_S8_S4_PS3_21rocsparse_index_base_b,comdat
.Lfunc_end18:
	.size	_ZN9rocsparseL19gebsrmvn_2xn_kernelILj128ELj5ELj32EfEEvi20rocsparse_direction_NS_24const_host_device_scalarIT2_EEPKiS6_PKS3_S8_S4_PS3_21rocsparse_index_base_b, .Lfunc_end18-_ZN9rocsparseL19gebsrmvn_2xn_kernelILj128ELj5ELj32EfEEvi20rocsparse_direction_NS_24const_host_device_scalarIT2_EEPKiS6_PKS3_S8_S4_PS3_21rocsparse_index_base_b
                                        ; -- End function
	.section	.AMDGPU.csdata,"",@progbits
; Kernel info:
; codeLenInByte = 2016
; NumSgprs: 22
; NumVgprs: 30
; ScratchSize: 0
; MemoryBound: 0
; FloatMode: 240
; IeeeMode: 1
; LDSByteSize: 0 bytes/workgroup (compile time only)
; SGPRBlocks: 2
; VGPRBlocks: 3
; NumSGPRsForWavesPerEU: 22
; NumVGPRsForWavesPerEU: 30
; Occupancy: 16
; WaveLimiterHint : 1
; COMPUTE_PGM_RSRC2:SCRATCH_EN: 0
; COMPUTE_PGM_RSRC2:USER_SGPR: 15
; COMPUTE_PGM_RSRC2:TRAP_HANDLER: 0
; COMPUTE_PGM_RSRC2:TGID_X_EN: 1
; COMPUTE_PGM_RSRC2:TGID_Y_EN: 0
; COMPUTE_PGM_RSRC2:TGID_Z_EN: 0
; COMPUTE_PGM_RSRC2:TIDIG_COMP_CNT: 0
	.section	.text._ZN9rocsparseL19gebsrmvn_2xn_kernelILj128ELj5ELj64EfEEvi20rocsparse_direction_NS_24const_host_device_scalarIT2_EEPKiS6_PKS3_S8_S4_PS3_21rocsparse_index_base_b,"axG",@progbits,_ZN9rocsparseL19gebsrmvn_2xn_kernelILj128ELj5ELj64EfEEvi20rocsparse_direction_NS_24const_host_device_scalarIT2_EEPKiS6_PKS3_S8_S4_PS3_21rocsparse_index_base_b,comdat
	.globl	_ZN9rocsparseL19gebsrmvn_2xn_kernelILj128ELj5ELj64EfEEvi20rocsparse_direction_NS_24const_host_device_scalarIT2_EEPKiS6_PKS3_S8_S4_PS3_21rocsparse_index_base_b ; -- Begin function _ZN9rocsparseL19gebsrmvn_2xn_kernelILj128ELj5ELj64EfEEvi20rocsparse_direction_NS_24const_host_device_scalarIT2_EEPKiS6_PKS3_S8_S4_PS3_21rocsparse_index_base_b
	.p2align	8
	.type	_ZN9rocsparseL19gebsrmvn_2xn_kernelILj128ELj5ELj64EfEEvi20rocsparse_direction_NS_24const_host_device_scalarIT2_EEPKiS6_PKS3_S8_S4_PS3_21rocsparse_index_base_b,@function
_ZN9rocsparseL19gebsrmvn_2xn_kernelILj128ELj5ELj64EfEEvi20rocsparse_direction_NS_24const_host_device_scalarIT2_EEPKiS6_PKS3_S8_S4_PS3_21rocsparse_index_base_b: ; @_ZN9rocsparseL19gebsrmvn_2xn_kernelILj128ELj5ELj64EfEEvi20rocsparse_direction_NS_24const_host_device_scalarIT2_EEPKiS6_PKS3_S8_S4_PS3_21rocsparse_index_base_b
; %bb.0:
	s_clause 0x2
	s_load_b64 s[18:19], s[0:1], 0x40
	s_load_b64 s[16:17], s[0:1], 0x8
	;; [unrolled: 1-line block ×3, first 2 shown]
	s_waitcnt lgkmcnt(0)
	s_bitcmp1_b32 s19, 0
	s_cselect_b32 s2, -1, 0
	s_delay_alu instid0(SALU_CYCLE_1)
	s_and_b32 vcc_lo, exec_lo, s2
	s_xor_b32 s2, s2, -1
	s_cbranch_vccnz .LBB19_2
; %bb.1:
	s_load_b32 s16, s[16:17], 0x0
.LBB19_2:
	s_and_not1_b32 vcc_lo, exec_lo, s2
	s_cbranch_vccnz .LBB19_4
; %bb.3:
	s_load_b32 s12, s[12:13], 0x0
.LBB19_4:
	s_waitcnt lgkmcnt(0)
	v_cmp_eq_f32_e64 s2, s16, 0
	v_cmp_eq_f32_e64 s3, s12, 1.0
	s_delay_alu instid0(VALU_DEP_1) | instskip(NEXT) | instid1(SALU_CYCLE_1)
	s_and_b32 s2, s2, s3
	s_and_b32 vcc_lo, exec_lo, s2
	s_cbranch_vccnz .LBB19_23
; %bb.5:
	s_load_b64 s[2:3], s[0:1], 0x0
	v_lshrrev_b32_e32 v1, 6, v0
	s_delay_alu instid0(VALU_DEP_1) | instskip(SKIP_1) | instid1(VALU_DEP_1)
	v_lshl_or_b32 v1, s15, 1, v1
	s_waitcnt lgkmcnt(0)
	v_cmp_gt_i32_e32 vcc_lo, s2, v1
	s_and_saveexec_b32 s2, vcc_lo
	s_cbranch_execz .LBB19_23
; %bb.6:
	s_load_b256 s[4:11], s[0:1], 0x10
	v_ashrrev_i32_e32 v2, 31, v1
	v_and_b32_e32 v0, 63, v0
	s_cmp_lg_u32 s3, 0
	s_delay_alu instid0(VALU_DEP_2) | instskip(SKIP_1) | instid1(VALU_DEP_1)
	v_lshlrev_b64 v[2:3], 2, v[1:2]
	s_waitcnt lgkmcnt(0)
	v_add_co_u32 v2, vcc_lo, s4, v2
	s_delay_alu instid0(VALU_DEP_2) | instskip(SKIP_4) | instid1(VALU_DEP_2)
	v_add_co_ci_u32_e32 v3, vcc_lo, s5, v3, vcc_lo
	global_load_b64 v[2:3], v[2:3], off
	s_waitcnt vmcnt(0)
	v_subrev_nc_u32_e32 v2, s18, v2
	v_subrev_nc_u32_e32 v11, s18, v3
	v_add_nc_u32_e32 v2, v2, v0
	s_delay_alu instid0(VALU_DEP_1)
	v_cmp_lt_i32_e64 s2, v2, v11
	s_cbranch_scc0 .LBB19_12
; %bb.7:
	v_dual_mov_b32 v9, 0 :: v_dual_mov_b32 v10, 0
	s_mov_b32 s3, 0
	s_delay_alu instid0(VALU_DEP_2)
	s_and_saveexec_b32 s4, s2
	s_cbranch_execz .LBB19_11
; %bb.8:
	v_mad_u64_u32 v[3:4], null, v2, 10, 8
	v_dual_mov_b32 v6, 0 :: v_dual_mov_b32 v7, v2
	v_dual_mov_b32 v9, 0 :: v_dual_mov_b32 v10, 0
	s_mov_b32 s5, 0
.LBB19_9:                               ; =>This Inner Loop Header: Depth=1
	s_delay_alu instid0(VALU_DEP_2) | instskip(NEXT) | instid1(VALU_DEP_1)
	v_ashrrev_i32_e32 v8, 31, v7
	v_lshlrev_b64 v[4:5], 2, v[7:8]
	v_add_nc_u32_e32 v7, 64, v7
	s_delay_alu instid0(VALU_DEP_2) | instskip(NEXT) | instid1(VALU_DEP_3)
	v_add_co_u32 v4, vcc_lo, s6, v4
	v_add_co_ci_u32_e32 v5, vcc_lo, s7, v5, vcc_lo
	global_load_b32 v8, v[4:5], off
	v_dual_mov_b32 v4, v6 :: v_dual_add_nc_u32 v5, -8, v3
	s_delay_alu instid0(VALU_DEP_1) | instskip(SKIP_1) | instid1(VALU_DEP_3)
	v_lshlrev_b64 v[14:15], 2, v[5:6]
	v_add_nc_u32_e32 v5, -6, v3
	v_lshlrev_b64 v[16:17], 2, v[3:4]
	s_delay_alu instid0(VALU_DEP_2) | instskip(NEXT) | instid1(VALU_DEP_4)
	v_lshlrev_b64 v[4:5], 2, v[5:6]
	v_add_co_u32 v14, vcc_lo, s8, v14
	v_add_co_ci_u32_e32 v15, vcc_lo, s9, v15, vcc_lo
	s_delay_alu instid0(VALU_DEP_4)
	v_add_co_u32 v16, vcc_lo, s8, v16
	v_add_co_ci_u32_e32 v17, vcc_lo, s9, v17, vcc_lo
	v_add_co_u32 v4, vcc_lo, s8, v4
	v_add_co_ci_u32_e32 v5, vcc_lo, s9, v5, vcc_lo
	s_clause 0x1
	global_load_b64 v[14:15], v[14:15], off
	global_load_b64 v[18:19], v[4:5], off
	v_mov_b32_e32 v13, v6
	s_waitcnt vmcnt(2)
	v_subrev_nc_u32_e32 v4, s18, v8
	s_delay_alu instid0(VALU_DEP_1) | instskip(NEXT) | instid1(VALU_DEP_1)
	v_lshl_add_u32 v12, v4, 2, v4
	v_add_nc_u32_e32 v5, 1, v12
	v_lshlrev_b64 v[20:21], 2, v[12:13]
	s_delay_alu instid0(VALU_DEP_2) | instskip(SKIP_1) | instid1(VALU_DEP_3)
	v_lshlrev_b64 v[22:23], 2, v[5:6]
	v_add_nc_u32_e32 v5, -4, v3
	v_add_co_u32 v20, vcc_lo, s10, v20
	s_delay_alu instid0(VALU_DEP_4) | instskip(NEXT) | instid1(VALU_DEP_4)
	v_add_co_ci_u32_e32 v21, vcc_lo, s11, v21, vcc_lo
	v_add_co_u32 v22, vcc_lo, s10, v22
	s_delay_alu instid0(VALU_DEP_4)
	v_lshlrev_b64 v[24:25], 2, v[5:6]
	v_add_nc_u32_e32 v5, 2, v12
	v_add_co_ci_u32_e32 v23, vcc_lo, s11, v23, vcc_lo
	s_clause 0x1
	global_load_b32 v8, v[20:21], off
	global_load_b32 v28, v[22:23], off
	v_lshlrev_b64 v[20:21], 2, v[5:6]
	v_add_nc_u32_e32 v5, -2, v3
	v_add_co_u32 v22, vcc_lo, s8, v24
	v_add_co_ci_u32_e32 v23, vcc_lo, s9, v25, vcc_lo
	s_delay_alu instid0(VALU_DEP_3) | instskip(SKIP_3) | instid1(VALU_DEP_3)
	v_lshlrev_b64 v[24:25], 2, v[5:6]
	v_add_nc_u32_e32 v5, 3, v12
	v_add_co_u32 v20, vcc_lo, s10, v20
	v_add_co_ci_u32_e32 v21, vcc_lo, s11, v21, vcc_lo
	v_lshlrev_b64 v[26:27], 2, v[5:6]
	v_add_nc_u32_e32 v5, 4, v12
	v_add_co_u32 v12, vcc_lo, s8, v24
	v_add_co_ci_u32_e32 v13, vcc_lo, s9, v25, vcc_lo
	s_delay_alu instid0(VALU_DEP_3)
	v_lshlrev_b64 v[4:5], 2, v[5:6]
	global_load_b32 v29, v[20:21], off
	v_add_co_u32 v20, vcc_lo, s10, v26
	global_load_b64 v[22:23], v[22:23], off
	v_add_co_ci_u32_e32 v21, vcc_lo, s11, v27, vcc_lo
	v_add_co_u32 v4, vcc_lo, s10, v4
	global_load_b64 v[12:13], v[12:13], off
	global_load_b32 v20, v[20:21], off
	v_add_co_ci_u32_e32 v5, vcc_lo, s11, v5, vcc_lo
	global_load_b64 v[16:17], v[16:17], off
	global_load_b32 v4, v[4:5], off
	v_cmp_ge_i32_e32 vcc_lo, v7, v11
	v_add_nc_u32_e32 v3, 0x280, v3
	s_or_b32 s5, vcc_lo, s5
	s_waitcnt vmcnt(7)
	v_fmac_f32_e32 v9, v14, v8
	v_fmac_f32_e32 v10, v15, v8
	s_waitcnt vmcnt(6)
	s_delay_alu instid0(VALU_DEP_2) | instskip(SKIP_1) | instid1(VALU_DEP_1)
	v_fmac_f32_e32 v9, v18, v28
	s_waitcnt vmcnt(4)
	v_dual_fmac_f32 v10, v19, v28 :: v_dual_fmac_f32 v9, v22, v29
	s_waitcnt vmcnt(2)
	s_delay_alu instid0(VALU_DEP_1) | instskip(NEXT) | instid1(VALU_DEP_1)
	v_dual_fmac_f32 v10, v23, v29 :: v_dual_fmac_f32 v9, v12, v20
	v_fmac_f32_e32 v10, v13, v20
	s_waitcnt vmcnt(0)
	s_delay_alu instid0(VALU_DEP_2) | instskip(NEXT) | instid1(VALU_DEP_2)
	v_fmac_f32_e32 v9, v16, v4
	v_fmac_f32_e32 v10, v17, v4
	s_and_not1_b32 exec_lo, exec_lo, s5
	s_cbranch_execnz .LBB19_9
; %bb.10:
	s_or_b32 exec_lo, exec_lo, s5
.LBB19_11:
	s_delay_alu instid0(SALU_CYCLE_1) | instskip(NEXT) | instid1(SALU_CYCLE_1)
	s_or_b32 exec_lo, exec_lo, s4
	s_and_not1_b32 vcc_lo, exec_lo, s3
	s_cbranch_vccz .LBB19_13
	s_branch .LBB19_18
.LBB19_12:
                                        ; implicit-def: $vgpr9
                                        ; implicit-def: $vgpr10
.LBB19_13:
	v_dual_mov_b32 v9, 0 :: v_dual_mov_b32 v10, 0
	s_delay_alu instid0(VALU_DEP_2)
	s_and_saveexec_b32 s3, s2
	s_cbranch_execz .LBB19_17
; %bb.14:
	v_mad_u64_u32 v[4:5], null, v2, 10, 9
	v_dual_mov_b32 v7, 0 :: v_dual_mov_b32 v10, 0
	v_mov_b32_e32 v9, 0
	s_mov_b32 s2, 0
.LBB19_15:                              ; =>This Inner Loop Header: Depth=1
	v_ashrrev_i32_e32 v3, 31, v2
	s_delay_alu instid0(VALU_DEP_4) | instskip(SKIP_2) | instid1(VALU_DEP_4)
	v_add_nc_u32_e32 v12, -4, v4
	v_mov_b32_e32 v14, v7
	v_mov_b32_e32 v13, v7
	v_lshlrev_b64 v[5:6], 2, v[2:3]
	v_add_nc_u32_e32 v2, 64, v2
	s_delay_alu instid0(VALU_DEP_2) | instskip(NEXT) | instid1(VALU_DEP_3)
	v_add_co_u32 v5, vcc_lo, s6, v5
	v_add_co_ci_u32_e32 v6, vcc_lo, s7, v6, vcc_lo
	global_load_b32 v3, v[5:6], off
	v_dual_mov_b32 v5, v7 :: v_dual_add_nc_u32 v6, -9, v4
	v_lshlrev_b64 v[12:13], 2, v[12:13]
	s_delay_alu instid0(VALU_DEP_2) | instskip(NEXT) | instid1(VALU_DEP_3)
	v_lshlrev_b64 v[15:16], 2, v[6:7]
	v_lshlrev_b64 v[5:6], 2, v[4:5]
	s_delay_alu instid0(VALU_DEP_2) | instskip(NEXT) | instid1(VALU_DEP_3)
	v_add_co_u32 v15, vcc_lo, s8, v15
	v_add_co_ci_u32_e32 v16, vcc_lo, s9, v16, vcc_lo
	v_add_co_u32 v12, vcc_lo, s8, v12
	v_add_co_ci_u32_e32 v13, vcc_lo, s9, v13, vcc_lo
	s_clause 0x1
	global_load_b64 v[15:16], v[15:16], off
	global_load_b32 v8, v[12:13], off
	v_add_co_u32 v17, vcc_lo, s8, v5
	v_add_co_ci_u32_e32 v18, vcc_lo, s9, v6, vcc_lo
	s_waitcnt vmcnt(2)
	v_subrev_nc_u32_e32 v3, s18, v3
	s_delay_alu instid0(VALU_DEP_1) | instskip(NEXT) | instid1(VALU_DEP_1)
	v_lshl_add_u32 v13, v3, 2, v3
	v_lshlrev_b64 v[19:20], 2, v[13:14]
	s_delay_alu instid0(VALU_DEP_1) | instskip(NEXT) | instid1(VALU_DEP_2)
	v_add_co_u32 v19, vcc_lo, s10, v19
	v_add_co_ci_u32_e32 v20, vcc_lo, s11, v20, vcc_lo
	global_load_b32 v3, v[19:20], off
	s_waitcnt vmcnt(0)
	v_dual_fmac_f32 v9, v15, v3 :: v_dual_add_nc_u32 v6, 1, v13
	s_delay_alu instid0(VALU_DEP_1) | instskip(SKIP_1) | instid1(VALU_DEP_2)
	v_lshlrev_b64 v[21:22], 2, v[6:7]
	v_fmac_f32_e32 v10, v8, v3
	v_add_co_u32 v19, vcc_lo, s10, v21
	s_delay_alu instid0(VALU_DEP_3) | instskip(SKIP_3) | instid1(VALU_DEP_1)
	v_add_co_ci_u32_e32 v20, vcc_lo, s11, v22, vcc_lo
	global_load_b32 v14, v[19:20], off
	s_waitcnt vmcnt(0)
	v_dual_fmac_f32 v9, v16, v14 :: v_dual_add_nc_u32 v6, -3, v4
	v_lshlrev_b64 v[23:24], 2, v[6:7]
	v_add_nc_u32_e32 v6, -7, v4
	s_delay_alu instid0(VALU_DEP_1) | instskip(SKIP_1) | instid1(VALU_DEP_4)
	v_lshlrev_b64 v[21:22], 2, v[6:7]
	v_add_nc_u32_e32 v6, 2, v13
	v_add_co_u32 v23, vcc_lo, s8, v23
	v_add_co_ci_u32_e32 v24, vcc_lo, s9, v24, vcc_lo
	s_delay_alu instid0(VALU_DEP_3) | instskip(SKIP_3) | instid1(VALU_DEP_4)
	v_lshlrev_b64 v[19:20], 2, v[6:7]
	v_add_co_u32 v21, vcc_lo, s8, v21
	v_add_nc_u32_e32 v6, -2, v4
	v_add_co_ci_u32_e32 v22, vcc_lo, s9, v22, vcc_lo
	v_add_co_u32 v19, vcc_lo, s10, v19
	s_clause 0x1
	global_load_b32 v25, v[23:24], off
	global_load_b32 v26, v[21:22], off
	v_lshlrev_b64 v[23:24], 2, v[6:7]
	v_add_co_ci_u32_e32 v20, vcc_lo, s11, v20, vcc_lo
	v_add_nc_u32_e32 v6, -6, v4
	global_load_b32 v27, v[19:20], off
	v_add_co_u32 v19, vcc_lo, s8, v23
	v_add_co_ci_u32_e32 v20, vcc_lo, s9, v24, vcc_lo
	global_load_b32 v28, v[19:20], off
	v_lshlrev_b64 v[21:22], 2, v[6:7]
	v_add_nc_u32_e32 v6, 3, v13
	s_delay_alu instid0(VALU_DEP_1) | instskip(SKIP_1) | instid1(VALU_DEP_4)
	v_lshlrev_b64 v[23:24], 2, v[6:7]
	v_add_nc_u32_e32 v6, -1, v4
	v_add_co_u32 v21, vcc_lo, s8, v21
	v_add_co_ci_u32_e32 v22, vcc_lo, s9, v22, vcc_lo
	s_delay_alu instid0(VALU_DEP_3)
	v_lshlrev_b64 v[19:20], 2, v[6:7]
	v_add_nc_u32_e32 v6, -5, v4
	v_add_nc_u32_e32 v4, 0x280, v4
	global_load_b32 v29, v[21:22], off
	v_add_co_u32 v21, vcc_lo, s10, v23
	v_add_co_ci_u32_e32 v22, vcc_lo, s11, v24, vcc_lo
	v_lshlrev_b64 v[23:24], 2, v[6:7]
	v_add_nc_u32_e32 v6, 4, v13
	v_add_co_u32 v12, vcc_lo, s8, v19
	v_add_co_ci_u32_e32 v13, vcc_lo, s9, v20, vcc_lo
	s_delay_alu instid0(VALU_DEP_3)
	v_lshlrev_b64 v[5:6], 2, v[6:7]
	global_load_b32 v19, v[21:22], off
	global_load_b32 v20, v[12:13], off
	v_add_co_u32 v12, vcc_lo, s8, v23
	v_add_co_ci_u32_e32 v13, vcc_lo, s9, v24, vcc_lo
	v_add_co_u32 v5, vcc_lo, s10, v5
	v_add_co_ci_u32_e32 v6, vcc_lo, s11, v6, vcc_lo
	s_clause 0x1
	global_load_b32 v17, v[17:18], off
	global_load_b32 v12, v[12:13], off
	;; [unrolled: 1-line block ×3, first 2 shown]
	v_cmp_ge_i32_e32 vcc_lo, v2, v11
	s_or_b32 s2, vcc_lo, s2
	s_waitcnt vmcnt(7)
	v_dual_fmac_f32 v10, v25, v14 :: v_dual_fmac_f32 v9, v26, v27
	s_waitcnt vmcnt(6)
	s_delay_alu instid0(VALU_DEP_1) | instskip(SKIP_1) | instid1(VALU_DEP_2)
	v_fmac_f32_e32 v10, v28, v27
	s_waitcnt vmcnt(4)
	v_fmac_f32_e32 v9, v29, v19
	s_waitcnt vmcnt(3)
	s_delay_alu instid0(VALU_DEP_2) | instskip(SKIP_1) | instid1(VALU_DEP_2)
	v_fmac_f32_e32 v10, v20, v19
	s_waitcnt vmcnt(0)
	v_fmac_f32_e32 v9, v12, v5
	s_delay_alu instid0(VALU_DEP_2)
	v_fmac_f32_e32 v10, v17, v5
	s_and_not1_b32 exec_lo, exec_lo, s2
	s_cbranch_execnz .LBB19_15
; %bb.16:
	s_or_b32 exec_lo, exec_lo, s2
.LBB19_17:
	s_delay_alu instid0(SALU_CYCLE_1)
	s_or_b32 exec_lo, exec_lo, s3
.LBB19_18:
	v_mbcnt_lo_u32_b32 v2, -1, 0
	s_mov_b32 s2, -1
	s_delay_alu instid0(VALU_DEP_1) | instskip(SKIP_2) | instid1(VALU_DEP_3)
	v_or_b32_e32 v3, 32, v2
	v_xor_b32_e32 v5, 16, v2
	v_xor_b32_e32 v7, 8, v2
	v_cmp_gt_i32_e32 vcc_lo, 32, v3
	v_cndmask_b32_e32 v3, v2, v3, vcc_lo
	s_delay_alu instid0(VALU_DEP_4) | instskip(NEXT) | instid1(VALU_DEP_2)
	v_cmp_gt_i32_e32 vcc_lo, 32, v5
	v_lshlrev_b32_e32 v3, 2, v3
	v_cndmask_b32_e32 v5, v2, v5, vcc_lo
	v_cmp_gt_i32_e32 vcc_lo, 32, v7
	ds_bpermute_b32 v4, v3, v9
	v_lshlrev_b32_e32 v5, 2, v5
	v_cndmask_b32_e32 v7, v2, v7, vcc_lo
	s_waitcnt lgkmcnt(0)
	s_delay_alu instid0(VALU_DEP_1)
	v_dual_add_f32 v4, v9, v4 :: v_dual_lshlrev_b32 v7, 2, v7
	ds_bpermute_b32 v6, v5, v4
	s_waitcnt lgkmcnt(0)
	v_add_f32_e32 v4, v4, v6
	ds_bpermute_b32 v3, v3, v10
	s_waitcnt lgkmcnt(0)
	v_add_f32_e32 v3, v10, v3
	;; [unrolled: 3-line block ×3, first 2 shown]
	ds_bpermute_b32 v5, v7, v4
	ds_bpermute_b32 v6, v7, v3
	v_xor_b32_e32 v7, 4, v2
	s_delay_alu instid0(VALU_DEP_1) | instskip(SKIP_2) | instid1(VALU_DEP_1)
	v_cmp_gt_i32_e32 vcc_lo, 32, v7
	s_waitcnt lgkmcnt(1)
	v_dual_cndmask_b32 v7, v2, v7 :: v_dual_add_f32 v4, v4, v5
	v_lshlrev_b32_e32 v7, 2, v7
	s_waitcnt lgkmcnt(0)
	v_add_f32_e32 v3, v3, v6
	ds_bpermute_b32 v5, v7, v4
	ds_bpermute_b32 v6, v7, v3
	v_xor_b32_e32 v7, 2, v2
	s_delay_alu instid0(VALU_DEP_1) | instskip(SKIP_2) | instid1(VALU_DEP_1)
	v_cmp_gt_i32_e32 vcc_lo, 32, v7
	v_cndmask_b32_e32 v7, v2, v7, vcc_lo
	s_waitcnt lgkmcnt(1)
	v_dual_add_f32 v4, v4, v5 :: v_dual_lshlrev_b32 v7, 2, v7
	s_waitcnt lgkmcnt(0)
	v_add_f32_e32 v3, v3, v6
	ds_bpermute_b32 v5, v7, v4
	ds_bpermute_b32 v6, v7, v3
	v_xor_b32_e32 v7, 1, v2
	s_delay_alu instid0(VALU_DEP_1) | instskip(SKIP_3) | instid1(VALU_DEP_2)
	v_cmp_gt_i32_e32 vcc_lo, 32, v7
	v_cndmask_b32_e32 v2, v2, v7, vcc_lo
	v_cmp_eq_u32_e32 vcc_lo, 63, v0
	s_waitcnt lgkmcnt(1)
	v_dual_add_f32 v2, v4, v5 :: v_dual_lshlrev_b32 v7, 2, v2
	s_waitcnt lgkmcnt(0)
	v_add_f32_e32 v3, v3, v6
	ds_bpermute_b32 v4, v7, v2
	ds_bpermute_b32 v5, v7, v3
	s_and_b32 exec_lo, exec_lo, vcc_lo
	s_cbranch_execz .LBB19_23
; %bb.19:
	s_load_b64 s[0:1], s[0:1], 0x38
	s_waitcnt lgkmcnt(0)
	v_dual_add_f32 v0, v2, v4 :: v_dual_add_f32 v3, v3, v5
	v_cmp_eq_f32_e64 s3, s12, 0
	s_delay_alu instid0(VALU_DEP_2) | instskip(SKIP_1) | instid1(VALU_DEP_3)
	v_dual_mul_f32 v2, s16, v0 :: v_dual_mul_f32 v3, s16, v3
	v_lshlrev_b32_e32 v0, 1, v1
	s_and_b32 vcc_lo, exec_lo, s3
	s_cbranch_vccz .LBB19_21
; %bb.20:
	s_delay_alu instid0(VALU_DEP_1) | instskip(SKIP_1) | instid1(VALU_DEP_1)
	v_ashrrev_i32_e32 v1, 31, v0
	s_mov_b32 s2, 0
	v_lshlrev_b64 v[4:5], 2, v[0:1]
	s_delay_alu instid0(VALU_DEP_1) | instskip(NEXT) | instid1(VALU_DEP_2)
	v_add_co_u32 v4, vcc_lo, s0, v4
	v_add_co_ci_u32_e32 v5, vcc_lo, s1, v5, vcc_lo
	global_store_b64 v[4:5], v[2:3], off
.LBB19_21:
	s_and_not1_b32 vcc_lo, exec_lo, s2
	s_cbranch_vccnz .LBB19_23
; %bb.22:
	v_ashrrev_i32_e32 v1, 31, v0
	s_delay_alu instid0(VALU_DEP_1) | instskip(NEXT) | instid1(VALU_DEP_1)
	v_lshlrev_b64 v[0:1], 2, v[0:1]
	v_add_co_u32 v0, vcc_lo, s0, v0
	s_delay_alu instid0(VALU_DEP_2)
	v_add_co_ci_u32_e32 v1, vcc_lo, s1, v1, vcc_lo
	global_load_b64 v[4:5], v[0:1], off
	s_waitcnt vmcnt(0)
	v_dual_fmac_f32 v2, s12, v4 :: v_dual_fmac_f32 v3, s12, v5
	global_store_b64 v[0:1], v[2:3], off
.LBB19_23:
	s_nop 0
	s_sendmsg sendmsg(MSG_DEALLOC_VGPRS)
	s_endpgm
	.section	.rodata,"a",@progbits
	.p2align	6, 0x0
	.amdhsa_kernel _ZN9rocsparseL19gebsrmvn_2xn_kernelILj128ELj5ELj64EfEEvi20rocsparse_direction_NS_24const_host_device_scalarIT2_EEPKiS6_PKS3_S8_S4_PS3_21rocsparse_index_base_b
		.amdhsa_group_segment_fixed_size 0
		.amdhsa_private_segment_fixed_size 0
		.amdhsa_kernarg_size 72
		.amdhsa_user_sgpr_count 15
		.amdhsa_user_sgpr_dispatch_ptr 0
		.amdhsa_user_sgpr_queue_ptr 0
		.amdhsa_user_sgpr_kernarg_segment_ptr 1
		.amdhsa_user_sgpr_dispatch_id 0
		.amdhsa_user_sgpr_private_segment_size 0
		.amdhsa_wavefront_size32 1
		.amdhsa_uses_dynamic_stack 0
		.amdhsa_enable_private_segment 0
		.amdhsa_system_sgpr_workgroup_id_x 1
		.amdhsa_system_sgpr_workgroup_id_y 0
		.amdhsa_system_sgpr_workgroup_id_z 0
		.amdhsa_system_sgpr_workgroup_info 0
		.amdhsa_system_vgpr_workitem_id 0
		.amdhsa_next_free_vgpr 30
		.amdhsa_next_free_sgpr 20
		.amdhsa_reserve_vcc 1
		.amdhsa_float_round_mode_32 0
		.amdhsa_float_round_mode_16_64 0
		.amdhsa_float_denorm_mode_32 3
		.amdhsa_float_denorm_mode_16_64 3
		.amdhsa_dx10_clamp 1
		.amdhsa_ieee_mode 1
		.amdhsa_fp16_overflow 0
		.amdhsa_workgroup_processor_mode 1
		.amdhsa_memory_ordered 1
		.amdhsa_forward_progress 0
		.amdhsa_shared_vgpr_count 0
		.amdhsa_exception_fp_ieee_invalid_op 0
		.amdhsa_exception_fp_denorm_src 0
		.amdhsa_exception_fp_ieee_div_zero 0
		.amdhsa_exception_fp_ieee_overflow 0
		.amdhsa_exception_fp_ieee_underflow 0
		.amdhsa_exception_fp_ieee_inexact 0
		.amdhsa_exception_int_div_zero 0
	.end_amdhsa_kernel
	.section	.text._ZN9rocsparseL19gebsrmvn_2xn_kernelILj128ELj5ELj64EfEEvi20rocsparse_direction_NS_24const_host_device_scalarIT2_EEPKiS6_PKS3_S8_S4_PS3_21rocsparse_index_base_b,"axG",@progbits,_ZN9rocsparseL19gebsrmvn_2xn_kernelILj128ELj5ELj64EfEEvi20rocsparse_direction_NS_24const_host_device_scalarIT2_EEPKiS6_PKS3_S8_S4_PS3_21rocsparse_index_base_b,comdat
.Lfunc_end19:
	.size	_ZN9rocsparseL19gebsrmvn_2xn_kernelILj128ELj5ELj64EfEEvi20rocsparse_direction_NS_24const_host_device_scalarIT2_EEPKiS6_PKS3_S8_S4_PS3_21rocsparse_index_base_b, .Lfunc_end19-_ZN9rocsparseL19gebsrmvn_2xn_kernelILj128ELj5ELj64EfEEvi20rocsparse_direction_NS_24const_host_device_scalarIT2_EEPKiS6_PKS3_S8_S4_PS3_21rocsparse_index_base_b
                                        ; -- End function
	.section	.AMDGPU.csdata,"",@progbits
; Kernel info:
; codeLenInByte = 2068
; NumSgprs: 22
; NumVgprs: 30
; ScratchSize: 0
; MemoryBound: 0
; FloatMode: 240
; IeeeMode: 1
; LDSByteSize: 0 bytes/workgroup (compile time only)
; SGPRBlocks: 2
; VGPRBlocks: 3
; NumSGPRsForWavesPerEU: 22
; NumVGPRsForWavesPerEU: 30
; Occupancy: 16
; WaveLimiterHint : 1
; COMPUTE_PGM_RSRC2:SCRATCH_EN: 0
; COMPUTE_PGM_RSRC2:USER_SGPR: 15
; COMPUTE_PGM_RSRC2:TRAP_HANDLER: 0
; COMPUTE_PGM_RSRC2:TGID_X_EN: 1
; COMPUTE_PGM_RSRC2:TGID_Y_EN: 0
; COMPUTE_PGM_RSRC2:TGID_Z_EN: 0
; COMPUTE_PGM_RSRC2:TIDIG_COMP_CNT: 0
	.section	.text._ZN9rocsparseL19gebsrmvn_2xn_kernelILj128ELj6ELj4EfEEvi20rocsparse_direction_NS_24const_host_device_scalarIT2_EEPKiS6_PKS3_S8_S4_PS3_21rocsparse_index_base_b,"axG",@progbits,_ZN9rocsparseL19gebsrmvn_2xn_kernelILj128ELj6ELj4EfEEvi20rocsparse_direction_NS_24const_host_device_scalarIT2_EEPKiS6_PKS3_S8_S4_PS3_21rocsparse_index_base_b,comdat
	.globl	_ZN9rocsparseL19gebsrmvn_2xn_kernelILj128ELj6ELj4EfEEvi20rocsparse_direction_NS_24const_host_device_scalarIT2_EEPKiS6_PKS3_S8_S4_PS3_21rocsparse_index_base_b ; -- Begin function _ZN9rocsparseL19gebsrmvn_2xn_kernelILj128ELj6ELj4EfEEvi20rocsparse_direction_NS_24const_host_device_scalarIT2_EEPKiS6_PKS3_S8_S4_PS3_21rocsparse_index_base_b
	.p2align	8
	.type	_ZN9rocsparseL19gebsrmvn_2xn_kernelILj128ELj6ELj4EfEEvi20rocsparse_direction_NS_24const_host_device_scalarIT2_EEPKiS6_PKS3_S8_S4_PS3_21rocsparse_index_base_b,@function
_ZN9rocsparseL19gebsrmvn_2xn_kernelILj128ELj6ELj4EfEEvi20rocsparse_direction_NS_24const_host_device_scalarIT2_EEPKiS6_PKS3_S8_S4_PS3_21rocsparse_index_base_b: ; @_ZN9rocsparseL19gebsrmvn_2xn_kernelILj128ELj6ELj4EfEEvi20rocsparse_direction_NS_24const_host_device_scalarIT2_EEPKiS6_PKS3_S8_S4_PS3_21rocsparse_index_base_b
; %bb.0:
	s_clause 0x2
	s_load_b64 s[18:19], s[0:1], 0x40
	s_load_b64 s[16:17], s[0:1], 0x8
	;; [unrolled: 1-line block ×3, first 2 shown]
	s_waitcnt lgkmcnt(0)
	s_bitcmp1_b32 s19, 0
	s_cselect_b32 s2, -1, 0
	s_delay_alu instid0(SALU_CYCLE_1)
	s_and_b32 vcc_lo, exec_lo, s2
	s_xor_b32 s2, s2, -1
	s_cbranch_vccnz .LBB20_2
; %bb.1:
	s_load_b32 s16, s[16:17], 0x0
.LBB20_2:
	s_and_not1_b32 vcc_lo, exec_lo, s2
	s_cbranch_vccnz .LBB20_4
; %bb.3:
	s_load_b32 s12, s[12:13], 0x0
.LBB20_4:
	s_waitcnt lgkmcnt(0)
	v_cmp_eq_f32_e64 s2, s16, 0
	v_cmp_eq_f32_e64 s3, s12, 1.0
	s_delay_alu instid0(VALU_DEP_1) | instskip(NEXT) | instid1(SALU_CYCLE_1)
	s_and_b32 s2, s2, s3
	s_and_b32 vcc_lo, exec_lo, s2
	s_cbranch_vccnz .LBB20_23
; %bb.5:
	s_load_b64 s[2:3], s[0:1], 0x0
	v_lshrrev_b32_e32 v1, 2, v0
	s_delay_alu instid0(VALU_DEP_1) | instskip(SKIP_1) | instid1(VALU_DEP_1)
	v_lshl_or_b32 v1, s15, 5, v1
	s_waitcnt lgkmcnt(0)
	v_cmp_gt_i32_e32 vcc_lo, s2, v1
	s_and_saveexec_b32 s2, vcc_lo
	s_cbranch_execz .LBB20_23
; %bb.6:
	s_load_b256 s[4:11], s[0:1], 0x10
	v_ashrrev_i32_e32 v2, 31, v1
	v_and_b32_e32 v0, 3, v0
	s_cmp_lg_u32 s3, 0
	s_delay_alu instid0(VALU_DEP_2) | instskip(SKIP_1) | instid1(VALU_DEP_1)
	v_lshlrev_b64 v[2:3], 2, v[1:2]
	s_waitcnt lgkmcnt(0)
	v_add_co_u32 v2, vcc_lo, s4, v2
	s_delay_alu instid0(VALU_DEP_2) | instskip(SKIP_4) | instid1(VALU_DEP_2)
	v_add_co_ci_u32_e32 v3, vcc_lo, s5, v3, vcc_lo
	global_load_b64 v[2:3], v[2:3], off
	s_waitcnt vmcnt(0)
	v_subrev_nc_u32_e32 v2, s18, v2
	v_subrev_nc_u32_e32 v10, s18, v3
	v_add_nc_u32_e32 v2, v2, v0
	s_delay_alu instid0(VALU_DEP_1)
	v_cmp_lt_i32_e64 s2, v2, v10
	s_cbranch_scc0 .LBB20_12
; %bb.7:
	v_mov_b32_e32 v9, 0
	v_mov_b32_e32 v11, 0
	s_mov_b32 s4, 0
	s_and_saveexec_b32 s5, s2
	s_cbranch_execz .LBB20_11
; %bb.8:
	v_mad_u64_u32 v[3:4], null, v2, 12, 10
	v_dual_mov_b32 v6, 0 :: v_dual_mov_b32 v7, v2
	v_mov_b32_e32 v9, 0
	v_mov_b32_e32 v11, 0
	s_mov_b32 s13, 0
.LBB20_9:                               ; =>This Inner Loop Header: Depth=1
	s_delay_alu instid0(VALU_DEP_3) | instskip(SKIP_1) | instid1(VALU_DEP_2)
	v_ashrrev_i32_e32 v8, 31, v7
	v_mov_b32_e32 v17, v6
	v_lshlrev_b64 v[4:5], 2, v[7:8]
	v_add_nc_u32_e32 v7, 4, v7
	s_delay_alu instid0(VALU_DEP_2) | instskip(NEXT) | instid1(VALU_DEP_3)
	v_add_co_u32 v4, vcc_lo, s6, v4
	v_add_co_ci_u32_e32 v5, vcc_lo, s7, v5, vcc_lo
	global_load_b32 v8, v[4:5], off
	v_dual_mov_b32 v4, v6 :: v_dual_add_nc_u32 v5, -10, v3
	s_delay_alu instid0(VALU_DEP_1) | instskip(SKIP_1) | instid1(VALU_DEP_3)
	v_lshlrev_b64 v[12:13], 2, v[5:6]
	v_add_nc_u32_e32 v5, -6, v3
	v_lshlrev_b64 v[18:19], 2, v[3:4]
	s_delay_alu instid0(VALU_DEP_2) | instskip(NEXT) | instid1(VALU_DEP_4)
	v_lshlrev_b64 v[4:5], 2, v[5:6]
	v_add_co_u32 v12, vcc_lo, s8, v12
	v_add_co_ci_u32_e32 v13, vcc_lo, s9, v13, vcc_lo
	s_delay_alu instid0(VALU_DEP_4) | instskip(NEXT) | instid1(VALU_DEP_4)
	v_add_co_u32 v18, vcc_lo, s8, v18
	v_add_co_u32 v4, s3, s8, v4
	s_delay_alu instid0(VALU_DEP_1)
	v_add_co_ci_u32_e64 v5, s3, s9, v5, s3
	s_clause 0x1
	global_load_b128 v[12:15], v[12:13], off
	global_load_b64 v[20:21], v[4:5], off
	v_add_co_ci_u32_e32 v19, vcc_lo, s9, v19, vcc_lo
	v_cmp_ge_i32_e32 vcc_lo, v7, v10
	s_or_b32 s13, vcc_lo, s13
	s_waitcnt vmcnt(2)
	v_subrev_nc_u32_e32 v4, s18, v8
	s_delay_alu instid0(VALU_DEP_1) | instskip(NEXT) | instid1(VALU_DEP_1)
	v_mul_lo_u32 v16, v4, 6
	v_lshlrev_b64 v[22:23], 2, v[16:17]
	v_add_nc_u32_e32 v5, 2, v16
	s_delay_alu instid0(VALU_DEP_1) | instskip(NEXT) | instid1(VALU_DEP_3)
	v_lshlrev_b64 v[24:25], 2, v[5:6]
	v_add_co_u32 v22, s3, s10, v22
	v_add_nc_u32_e32 v5, -4, v3
	v_add_co_ci_u32_e64 v23, s3, s11, v23, s3
	s_delay_alu instid0(VALU_DEP_4) | instskip(NEXT) | instid1(VALU_DEP_3)
	v_add_co_u32 v24, s3, s10, v24
	v_lshlrev_b64 v[26:27], 2, v[5:6]
	v_add_nc_u32_e32 v5, -2, v3
	global_load_b64 v[22:23], v[22:23], off
	v_add_co_ci_u32_e64 v25, s3, s11, v25, s3
	v_add_nc_u32_e32 v3, 48, v3
	v_lshlrev_b64 v[28:29], 2, v[5:6]
	v_add_nc_u32_e32 v5, 4, v16
	global_load_b64 v[24:25], v[24:25], off
	v_add_co_u32 v16, s3, s8, v26
	s_delay_alu instid0(VALU_DEP_1) | instskip(SKIP_2) | instid1(VALU_DEP_1)
	v_add_co_ci_u32_e64 v17, s3, s9, v27, s3
	v_lshlrev_b64 v[4:5], 2, v[5:6]
	v_add_co_u32 v26, s3, s8, v28
	v_add_co_ci_u32_e64 v27, s3, s9, v29, s3
	global_load_b64 v[16:17], v[16:17], off
	v_add_co_u32 v4, s3, s10, v4
	s_delay_alu instid0(VALU_DEP_1)
	v_add_co_ci_u32_e64 v5, s3, s11, v5, s3
	global_load_b64 v[26:27], v[26:27], off
	global_load_b64 v[4:5], v[4:5], off
	;; [unrolled: 1-line block ×3, first 2 shown]
	s_waitcnt vmcnt(5)
	v_fmac_f32_e32 v9, v12, v22
	v_fmac_f32_e32 v11, v13, v22
	s_delay_alu instid0(VALU_DEP_2) | instskip(NEXT) | instid1(VALU_DEP_2)
	v_fmac_f32_e32 v9, v14, v23
	v_fmac_f32_e32 v11, v15, v23
	s_waitcnt vmcnt(4)
	s_delay_alu instid0(VALU_DEP_2) | instskip(NEXT) | instid1(VALU_DEP_2)
	v_fmac_f32_e32 v9, v20, v24
	v_fmac_f32_e32 v11, v21, v24
	s_waitcnt vmcnt(3)
	;; [unrolled: 4-line block ×4, first 2 shown]
	s_delay_alu instid0(VALU_DEP_2) | instskip(NEXT) | instid1(VALU_DEP_2)
	v_fmac_f32_e32 v9, v18, v5
	v_fmac_f32_e32 v11, v19, v5
	s_and_not1_b32 exec_lo, exec_lo, s13
	s_cbranch_execnz .LBB20_9
; %bb.10:
	s_or_b32 exec_lo, exec_lo, s13
.LBB20_11:
	s_delay_alu instid0(SALU_CYCLE_1) | instskip(NEXT) | instid1(SALU_CYCLE_1)
	s_or_b32 exec_lo, exec_lo, s5
	s_and_not1_b32 vcc_lo, exec_lo, s4
	s_cbranch_vccz .LBB20_13
	s_branch .LBB20_18
.LBB20_12:
                                        ; implicit-def: $vgpr9
                                        ; implicit-def: $vgpr11
.LBB20_13:
	v_mov_b32_e32 v9, 0
	v_mov_b32_e32 v11, 0
	s_delay_alu instid0(VALU_DEP_3)
	s_and_saveexec_b32 s3, s2
	s_cbranch_execz .LBB20_17
; %bb.14:
	v_mad_u64_u32 v[4:5], null, v2, 12, 11
	v_mov_b32_e32 v7, 0
	v_mov_b32_e32 v9, 0
	;; [unrolled: 1-line block ×3, first 2 shown]
	s_mov_b32 s2, 0
.LBB20_15:                              ; =>This Inner Loop Header: Depth=1
	v_ashrrev_i32_e32 v3, 31, v2
	v_dual_mov_b32 v13, v7 :: v_dual_add_nc_u32 v12, -5, v4
	v_mov_b32_e32 v17, v7
	s_delay_alu instid0(VALU_DEP_3) | instskip(SKIP_1) | instid1(VALU_DEP_4)
	v_lshlrev_b64 v[5:6], 2, v[2:3]
	v_add_nc_u32_e32 v2, 4, v2
	v_lshlrev_b64 v[12:13], 2, v[12:13]
	s_delay_alu instid0(VALU_DEP_3) | instskip(NEXT) | instid1(VALU_DEP_4)
	v_add_co_u32 v5, vcc_lo, s6, v5
	v_add_co_ci_u32_e32 v6, vcc_lo, s7, v6, vcc_lo
	global_load_b32 v3, v[5:6], off
	v_dual_mov_b32 v5, v7 :: v_dual_add_nc_u32 v6, -11, v4
	s_delay_alu instid0(VALU_DEP_1) | instskip(SKIP_1) | instid1(VALU_DEP_3)
	v_lshlrev_b64 v[14:15], 2, v[6:7]
	v_add_nc_u32_e32 v6, -4, v4
	v_lshlrev_b64 v[18:19], 2, v[4:5]
	s_delay_alu instid0(VALU_DEP_3) | instskip(NEXT) | instid1(VALU_DEP_4)
	v_add_co_u32 v14, vcc_lo, s8, v14
	v_add_co_ci_u32_e32 v15, vcc_lo, s9, v15, vcc_lo
	s_delay_alu instid0(VALU_DEP_4)
	v_lshlrev_b64 v[5:6], 2, v[6:7]
	v_add_co_u32 v20, vcc_lo, s8, v12
	v_add_co_ci_u32_e32 v21, vcc_lo, s9, v13, vcc_lo
	v_add_co_u32 v18, vcc_lo, s8, v18
	v_add_co_ci_u32_e32 v19, vcc_lo, s9, v19, vcc_lo
	;; [unrolled: 2-line block ×3, first 2 shown]
	s_clause 0x2
	global_load_b128 v[12:15], v[14:15], off
	global_load_b32 v8, v[20:21], off
	global_load_b32 v30, v[5:6], off
	s_waitcnt vmcnt(3)
	v_subrev_nc_u32_e32 v3, s18, v3
	s_delay_alu instid0(VALU_DEP_1) | instskip(NEXT) | instid1(VALU_DEP_1)
	v_mul_lo_u32 v16, v3, 6
	v_lshlrev_b64 v[20:21], 2, v[16:17]
	s_delay_alu instid0(VALU_DEP_1) | instskip(NEXT) | instid1(VALU_DEP_2)
	v_add_co_u32 v20, vcc_lo, s10, v20
	v_add_co_ci_u32_e32 v21, vcc_lo, s11, v21, vcc_lo
	global_load_b64 v[20:21], v[20:21], off
	v_add_nc_u32_e32 v6, 2, v16
	s_delay_alu instid0(VALU_DEP_1) | instskip(NEXT) | instid1(VALU_DEP_1)
	v_lshlrev_b64 v[22:23], 2, v[6:7]
	v_add_co_u32 v22, vcc_lo, s10, v22
	s_delay_alu instid0(VALU_DEP_2)
	v_add_co_ci_u32_e32 v23, vcc_lo, s11, v23, vcc_lo
	global_load_b64 v[22:23], v[22:23], off
	s_waitcnt vmcnt(1)
	v_fmac_f32_e32 v11, v8, v20
	v_add_nc_u32_e32 v6, -3, v4
	v_fmac_f32_e32 v9, v12, v20
	s_delay_alu instid0(VALU_DEP_3) | instskip(NEXT) | instid1(VALU_DEP_3)
	v_fmac_f32_e32 v11, v30, v21
	v_lshlrev_b64 v[24:25], 2, v[6:7]
	s_delay_alu instid0(VALU_DEP_3) | instskip(NEXT) | instid1(VALU_DEP_2)
	v_dual_fmac_f32 v9, v13, v21 :: v_dual_add_nc_u32 v6, -2, v4
	v_add_co_u32 v24, vcc_lo, s8, v24
	s_delay_alu instid0(VALU_DEP_3) | instskip(SKIP_1) | instid1(VALU_DEP_3)
	v_add_co_ci_u32_e32 v25, vcc_lo, s9, v25, vcc_lo
	s_waitcnt vmcnt(0)
	v_fmac_f32_e32 v9, v14, v22
	global_load_b32 v3, v[24:25], off
	v_lshlrev_b64 v[26:27], 2, v[6:7]
	v_dual_fmac_f32 v9, v15, v23 :: v_dual_add_nc_u32 v6, -7, v4
	s_waitcnt vmcnt(0)
	v_fmac_f32_e32 v11, v3, v22
	s_delay_alu instid0(VALU_DEP_2) | instskip(SKIP_3) | instid1(VALU_DEP_3)
	v_lshlrev_b64 v[28:29], 2, v[6:7]
	v_add_nc_u32_e32 v6, 4, v16
	v_add_co_u32 v16, vcc_lo, s8, v26
	v_add_co_ci_u32_e32 v17, vcc_lo, s9, v27, vcc_lo
	v_lshlrev_b64 v[24:25], 2, v[6:7]
	global_load_b32 v31, v[16:17], off
	v_add_co_u32 v16, vcc_lo, s8, v28
	v_add_co_ci_u32_e32 v17, vcc_lo, s9, v29, vcc_lo
	v_add_co_u32 v24, vcc_lo, s10, v24
	v_add_co_ci_u32_e32 v25, vcc_lo, s11, v25, vcc_lo
	global_load_b32 v28, v[16:17], off
	v_add_nc_u32_e32 v6, -1, v4
	global_load_b64 v[16:17], v[24:25], off
	s_waitcnt vmcnt(2)
	v_fmac_f32_e32 v11, v31, v23
	v_lshlrev_b64 v[26:27], 2, v[6:7]
	s_delay_alu instid0(VALU_DEP_1) | instskip(NEXT) | instid1(VALU_DEP_2)
	v_add_co_u32 v24, vcc_lo, s8, v26
	v_add_co_ci_u32_e32 v25, vcc_lo, s9, v27, vcc_lo
	s_waitcnt vmcnt(0)
	v_fmac_f32_e32 v9, v28, v16
	v_add_nc_u32_e32 v6, -6, v4
	s_delay_alu instid0(VALU_DEP_1) | instskip(NEXT) | instid1(VALU_DEP_1)
	v_lshlrev_b64 v[5:6], 2, v[6:7]
	v_add_co_u32 v5, vcc_lo, s8, v5
	s_delay_alu instid0(VALU_DEP_2)
	v_add_co_ci_u32_e32 v6, vcc_lo, s9, v6, vcc_lo
	s_clause 0x2
	global_load_b32 v24, v[24:25], off
	global_load_b32 v5, v[5:6], off
	;; [unrolled: 1-line block ×3, first 2 shown]
	v_cmp_ge_i32_e32 vcc_lo, v2, v10
	s_or_b32 s2, vcc_lo, s2
	s_waitcnt vmcnt(2)
	v_fmac_f32_e32 v11, v24, v16
	s_waitcnt vmcnt(1)
	v_dual_fmac_f32 v9, v5, v17 :: v_dual_add_nc_u32 v4, 48, v4
	s_waitcnt vmcnt(0)
	s_delay_alu instid0(VALU_DEP_2)
	v_fmac_f32_e32 v11, v6, v17
	s_and_not1_b32 exec_lo, exec_lo, s2
	s_cbranch_execnz .LBB20_15
; %bb.16:
	s_or_b32 exec_lo, exec_lo, s2
.LBB20_17:
	s_delay_alu instid0(SALU_CYCLE_1)
	s_or_b32 exec_lo, exec_lo, s3
.LBB20_18:
	v_mbcnt_lo_u32_b32 v2, -1, 0
	s_mov_b32 s2, -1
	s_delay_alu instid0(VALU_DEP_1) | instskip(SKIP_1) | instid1(VALU_DEP_2)
	v_xor_b32_e32 v3, 2, v2
	v_xor_b32_e32 v5, 1, v2
	v_cmp_gt_i32_e32 vcc_lo, 32, v3
	v_cndmask_b32_e32 v3, v2, v3, vcc_lo
	s_delay_alu instid0(VALU_DEP_3) | instskip(NEXT) | instid1(VALU_DEP_2)
	v_cmp_gt_i32_e32 vcc_lo, 32, v5
	v_dual_cndmask_b32 v2, v2, v5 :: v_dual_lshlrev_b32 v3, 2, v3
	v_cmp_eq_u32_e32 vcc_lo, 3, v0
	ds_bpermute_b32 v4, v3, v9
	ds_bpermute_b32 v3, v3, v11
	s_waitcnt lgkmcnt(1)
	v_dual_add_f32 v2, v9, v4 :: v_dual_lshlrev_b32 v5, 2, v2
	s_waitcnt lgkmcnt(0)
	v_add_f32_e32 v3, v11, v3
	ds_bpermute_b32 v4, v5, v2
	ds_bpermute_b32 v5, v5, v3
	s_and_b32 exec_lo, exec_lo, vcc_lo
	s_cbranch_execz .LBB20_23
; %bb.19:
	s_load_b64 s[0:1], s[0:1], 0x38
	s_waitcnt lgkmcnt(0)
	v_dual_add_f32 v0, v2, v4 :: v_dual_add_f32 v3, v3, v5
	v_cmp_eq_f32_e64 s3, s12, 0
	s_delay_alu instid0(VALU_DEP_2) | instskip(SKIP_1) | instid1(VALU_DEP_3)
	v_dual_mul_f32 v2, s16, v0 :: v_dual_mul_f32 v3, s16, v3
	v_lshlrev_b32_e32 v0, 1, v1
	s_and_b32 vcc_lo, exec_lo, s3
	s_cbranch_vccz .LBB20_21
; %bb.20:
	s_delay_alu instid0(VALU_DEP_1) | instskip(SKIP_1) | instid1(VALU_DEP_1)
	v_ashrrev_i32_e32 v1, 31, v0
	s_mov_b32 s2, 0
	v_lshlrev_b64 v[4:5], 2, v[0:1]
	s_delay_alu instid0(VALU_DEP_1) | instskip(NEXT) | instid1(VALU_DEP_2)
	v_add_co_u32 v4, vcc_lo, s0, v4
	v_add_co_ci_u32_e32 v5, vcc_lo, s1, v5, vcc_lo
	global_store_b64 v[4:5], v[2:3], off
.LBB20_21:
	s_and_not1_b32 vcc_lo, exec_lo, s2
	s_cbranch_vccnz .LBB20_23
; %bb.22:
	v_ashrrev_i32_e32 v1, 31, v0
	s_delay_alu instid0(VALU_DEP_1) | instskip(NEXT) | instid1(VALU_DEP_1)
	v_lshlrev_b64 v[0:1], 2, v[0:1]
	v_add_co_u32 v0, vcc_lo, s0, v0
	s_delay_alu instid0(VALU_DEP_2)
	v_add_co_ci_u32_e32 v1, vcc_lo, s1, v1, vcc_lo
	global_load_b64 v[4:5], v[0:1], off
	s_waitcnt vmcnt(0)
	v_dual_fmac_f32 v2, s12, v4 :: v_dual_fmac_f32 v3, s12, v5
	global_store_b64 v[0:1], v[2:3], off
.LBB20_23:
	s_nop 0
	s_sendmsg sendmsg(MSG_DEALLOC_VGPRS)
	s_endpgm
	.section	.rodata,"a",@progbits
	.p2align	6, 0x0
	.amdhsa_kernel _ZN9rocsparseL19gebsrmvn_2xn_kernelILj128ELj6ELj4EfEEvi20rocsparse_direction_NS_24const_host_device_scalarIT2_EEPKiS6_PKS3_S8_S4_PS3_21rocsparse_index_base_b
		.amdhsa_group_segment_fixed_size 0
		.amdhsa_private_segment_fixed_size 0
		.amdhsa_kernarg_size 72
		.amdhsa_user_sgpr_count 15
		.amdhsa_user_sgpr_dispatch_ptr 0
		.amdhsa_user_sgpr_queue_ptr 0
		.amdhsa_user_sgpr_kernarg_segment_ptr 1
		.amdhsa_user_sgpr_dispatch_id 0
		.amdhsa_user_sgpr_private_segment_size 0
		.amdhsa_wavefront_size32 1
		.amdhsa_uses_dynamic_stack 0
		.amdhsa_enable_private_segment 0
		.amdhsa_system_sgpr_workgroup_id_x 1
		.amdhsa_system_sgpr_workgroup_id_y 0
		.amdhsa_system_sgpr_workgroup_id_z 0
		.amdhsa_system_sgpr_workgroup_info 0
		.amdhsa_system_vgpr_workitem_id 0
		.amdhsa_next_free_vgpr 32
		.amdhsa_next_free_sgpr 20
		.amdhsa_reserve_vcc 1
		.amdhsa_float_round_mode_32 0
		.amdhsa_float_round_mode_16_64 0
		.amdhsa_float_denorm_mode_32 3
		.amdhsa_float_denorm_mode_16_64 3
		.amdhsa_dx10_clamp 1
		.amdhsa_ieee_mode 1
		.amdhsa_fp16_overflow 0
		.amdhsa_workgroup_processor_mode 1
		.amdhsa_memory_ordered 1
		.amdhsa_forward_progress 0
		.amdhsa_shared_vgpr_count 0
		.amdhsa_exception_fp_ieee_invalid_op 0
		.amdhsa_exception_fp_denorm_src 0
		.amdhsa_exception_fp_ieee_div_zero 0
		.amdhsa_exception_fp_ieee_overflow 0
		.amdhsa_exception_fp_ieee_underflow 0
		.amdhsa_exception_fp_ieee_inexact 0
		.amdhsa_exception_int_div_zero 0
	.end_amdhsa_kernel
	.section	.text._ZN9rocsparseL19gebsrmvn_2xn_kernelILj128ELj6ELj4EfEEvi20rocsparse_direction_NS_24const_host_device_scalarIT2_EEPKiS6_PKS3_S8_S4_PS3_21rocsparse_index_base_b,"axG",@progbits,_ZN9rocsparseL19gebsrmvn_2xn_kernelILj128ELj6ELj4EfEEvi20rocsparse_direction_NS_24const_host_device_scalarIT2_EEPKiS6_PKS3_S8_S4_PS3_21rocsparse_index_base_b,comdat
.Lfunc_end20:
	.size	_ZN9rocsparseL19gebsrmvn_2xn_kernelILj128ELj6ELj4EfEEvi20rocsparse_direction_NS_24const_host_device_scalarIT2_EEPKiS6_PKS3_S8_S4_PS3_21rocsparse_index_base_b, .Lfunc_end20-_ZN9rocsparseL19gebsrmvn_2xn_kernelILj128ELj6ELj4EfEEvi20rocsparse_direction_NS_24const_host_device_scalarIT2_EEPKiS6_PKS3_S8_S4_PS3_21rocsparse_index_base_b
                                        ; -- End function
	.section	.AMDGPU.csdata,"",@progbits
; Kernel info:
; codeLenInByte = 1768
; NumSgprs: 22
; NumVgprs: 32
; ScratchSize: 0
; MemoryBound: 0
; FloatMode: 240
; IeeeMode: 1
; LDSByteSize: 0 bytes/workgroup (compile time only)
; SGPRBlocks: 2
; VGPRBlocks: 3
; NumSGPRsForWavesPerEU: 22
; NumVGPRsForWavesPerEU: 32
; Occupancy: 16
; WaveLimiterHint : 1
; COMPUTE_PGM_RSRC2:SCRATCH_EN: 0
; COMPUTE_PGM_RSRC2:USER_SGPR: 15
; COMPUTE_PGM_RSRC2:TRAP_HANDLER: 0
; COMPUTE_PGM_RSRC2:TGID_X_EN: 1
; COMPUTE_PGM_RSRC2:TGID_Y_EN: 0
; COMPUTE_PGM_RSRC2:TGID_Z_EN: 0
; COMPUTE_PGM_RSRC2:TIDIG_COMP_CNT: 0
	.section	.text._ZN9rocsparseL19gebsrmvn_2xn_kernelILj128ELj6ELj8EfEEvi20rocsparse_direction_NS_24const_host_device_scalarIT2_EEPKiS6_PKS3_S8_S4_PS3_21rocsparse_index_base_b,"axG",@progbits,_ZN9rocsparseL19gebsrmvn_2xn_kernelILj128ELj6ELj8EfEEvi20rocsparse_direction_NS_24const_host_device_scalarIT2_EEPKiS6_PKS3_S8_S4_PS3_21rocsparse_index_base_b,comdat
	.globl	_ZN9rocsparseL19gebsrmvn_2xn_kernelILj128ELj6ELj8EfEEvi20rocsparse_direction_NS_24const_host_device_scalarIT2_EEPKiS6_PKS3_S8_S4_PS3_21rocsparse_index_base_b ; -- Begin function _ZN9rocsparseL19gebsrmvn_2xn_kernelILj128ELj6ELj8EfEEvi20rocsparse_direction_NS_24const_host_device_scalarIT2_EEPKiS6_PKS3_S8_S4_PS3_21rocsparse_index_base_b
	.p2align	8
	.type	_ZN9rocsparseL19gebsrmvn_2xn_kernelILj128ELj6ELj8EfEEvi20rocsparse_direction_NS_24const_host_device_scalarIT2_EEPKiS6_PKS3_S8_S4_PS3_21rocsparse_index_base_b,@function
_ZN9rocsparseL19gebsrmvn_2xn_kernelILj128ELj6ELj8EfEEvi20rocsparse_direction_NS_24const_host_device_scalarIT2_EEPKiS6_PKS3_S8_S4_PS3_21rocsparse_index_base_b: ; @_ZN9rocsparseL19gebsrmvn_2xn_kernelILj128ELj6ELj8EfEEvi20rocsparse_direction_NS_24const_host_device_scalarIT2_EEPKiS6_PKS3_S8_S4_PS3_21rocsparse_index_base_b
; %bb.0:
	s_clause 0x2
	s_load_b64 s[18:19], s[0:1], 0x40
	s_load_b64 s[16:17], s[0:1], 0x8
	s_load_b64 s[12:13], s[0:1], 0x30
	s_waitcnt lgkmcnt(0)
	s_bitcmp1_b32 s19, 0
	s_cselect_b32 s2, -1, 0
	s_delay_alu instid0(SALU_CYCLE_1)
	s_and_b32 vcc_lo, exec_lo, s2
	s_xor_b32 s2, s2, -1
	s_cbranch_vccnz .LBB21_2
; %bb.1:
	s_load_b32 s16, s[16:17], 0x0
.LBB21_2:
	s_and_not1_b32 vcc_lo, exec_lo, s2
	s_cbranch_vccnz .LBB21_4
; %bb.3:
	s_load_b32 s12, s[12:13], 0x0
.LBB21_4:
	s_waitcnt lgkmcnt(0)
	v_cmp_eq_f32_e64 s2, s16, 0
	v_cmp_eq_f32_e64 s3, s12, 1.0
	s_delay_alu instid0(VALU_DEP_1) | instskip(NEXT) | instid1(SALU_CYCLE_1)
	s_and_b32 s2, s2, s3
	s_and_b32 vcc_lo, exec_lo, s2
	s_cbranch_vccnz .LBB21_23
; %bb.5:
	s_load_b64 s[2:3], s[0:1], 0x0
	v_lshrrev_b32_e32 v1, 3, v0
	s_delay_alu instid0(VALU_DEP_1) | instskip(SKIP_1) | instid1(VALU_DEP_1)
	v_lshl_or_b32 v1, s15, 4, v1
	s_waitcnt lgkmcnt(0)
	v_cmp_gt_i32_e32 vcc_lo, s2, v1
	s_and_saveexec_b32 s2, vcc_lo
	s_cbranch_execz .LBB21_23
; %bb.6:
	s_load_b256 s[4:11], s[0:1], 0x10
	v_ashrrev_i32_e32 v2, 31, v1
	v_and_b32_e32 v0, 7, v0
	s_cmp_lg_u32 s3, 0
	s_delay_alu instid0(VALU_DEP_2) | instskip(SKIP_1) | instid1(VALU_DEP_1)
	v_lshlrev_b64 v[2:3], 2, v[1:2]
	s_waitcnt lgkmcnt(0)
	v_add_co_u32 v2, vcc_lo, s4, v2
	s_delay_alu instid0(VALU_DEP_2) | instskip(SKIP_4) | instid1(VALU_DEP_2)
	v_add_co_ci_u32_e32 v3, vcc_lo, s5, v3, vcc_lo
	global_load_b64 v[2:3], v[2:3], off
	s_waitcnt vmcnt(0)
	v_subrev_nc_u32_e32 v2, s18, v2
	v_subrev_nc_u32_e32 v11, s18, v3
	v_add_nc_u32_e32 v2, v2, v0
	s_delay_alu instid0(VALU_DEP_1)
	v_cmp_lt_i32_e64 s2, v2, v11
	s_cbranch_scc0 .LBB21_12
; %bb.7:
	v_dual_mov_b32 v9, 0 :: v_dual_mov_b32 v10, 0
	s_mov_b32 s4, 0
	s_delay_alu instid0(VALU_DEP_2)
	s_and_saveexec_b32 s5, s2
	s_cbranch_execz .LBB21_11
; %bb.8:
	v_mad_u64_u32 v[3:4], null, v2, 12, 10
	v_dual_mov_b32 v6, 0 :: v_dual_mov_b32 v7, v2
	v_dual_mov_b32 v9, 0 :: v_dual_mov_b32 v10, 0
	s_mov_b32 s13, 0
.LBB21_9:                               ; =>This Inner Loop Header: Depth=1
	s_delay_alu instid0(VALU_DEP_2) | instskip(NEXT) | instid1(VALU_DEP_1)
	v_ashrrev_i32_e32 v8, 31, v7
	v_lshlrev_b64 v[4:5], 2, v[7:8]
	v_add_nc_u32_e32 v7, 8, v7
	s_delay_alu instid0(VALU_DEP_2) | instskip(NEXT) | instid1(VALU_DEP_3)
	v_add_co_u32 v4, vcc_lo, s6, v4
	v_add_co_ci_u32_e32 v5, vcc_lo, s7, v5, vcc_lo
	global_load_b32 v8, v[4:5], off
	v_dual_mov_b32 v4, v6 :: v_dual_add_nc_u32 v5, -10, v3
	s_delay_alu instid0(VALU_DEP_1) | instskip(SKIP_1) | instid1(VALU_DEP_3)
	v_lshlrev_b64 v[12:13], 2, v[5:6]
	v_add_nc_u32_e32 v5, -6, v3
	v_lshlrev_b64 v[18:19], 2, v[3:4]
	s_delay_alu instid0(VALU_DEP_2) | instskip(NEXT) | instid1(VALU_DEP_4)
	v_lshlrev_b64 v[4:5], 2, v[5:6]
	v_add_co_u32 v12, vcc_lo, s8, v12
	v_add_co_ci_u32_e32 v13, vcc_lo, s9, v13, vcc_lo
	s_delay_alu instid0(VALU_DEP_4) | instskip(NEXT) | instid1(VALU_DEP_4)
	v_add_co_u32 v18, vcc_lo, s8, v18
	v_add_co_u32 v4, s3, s8, v4
	s_delay_alu instid0(VALU_DEP_1)
	v_add_co_ci_u32_e64 v5, s3, s9, v5, s3
	s_clause 0x1
	global_load_b128 v[12:15], v[12:13], off
	global_load_b64 v[20:21], v[4:5], off
	v_mov_b32_e32 v17, v6
	v_add_co_ci_u32_e32 v19, vcc_lo, s9, v19, vcc_lo
	v_cmp_ge_i32_e32 vcc_lo, v7, v11
	s_or_b32 s13, vcc_lo, s13
	s_waitcnt vmcnt(2)
	v_subrev_nc_u32_e32 v4, s18, v8
	s_delay_alu instid0(VALU_DEP_1) | instskip(NEXT) | instid1(VALU_DEP_1)
	v_mul_lo_u32 v16, v4, 6
	v_lshlrev_b64 v[22:23], 2, v[16:17]
	s_delay_alu instid0(VALU_DEP_1) | instskip(NEXT) | instid1(VALU_DEP_1)
	v_add_co_u32 v22, s3, s10, v22
	v_add_co_ci_u32_e64 v23, s3, s11, v23, s3
	global_load_b64 v[22:23], v[22:23], off
	v_add_nc_u32_e32 v5, 2, v16
	s_delay_alu instid0(VALU_DEP_1) | instskip(NEXT) | instid1(VALU_DEP_1)
	v_lshlrev_b64 v[24:25], 2, v[5:6]
	v_add_co_u32 v24, s3, s10, v24
	s_delay_alu instid0(VALU_DEP_1) | instskip(SKIP_3) | instid1(VALU_DEP_1)
	v_add_co_ci_u32_e64 v25, s3, s11, v25, s3
	global_load_b64 v[24:25], v[24:25], off
	s_waitcnt vmcnt(1)
	v_fmac_f32_e32 v10, v13, v22
	v_fmac_f32_e32 v10, v15, v23
	s_waitcnt vmcnt(0)
	s_delay_alu instid0(VALU_DEP_1) | instskip(NEXT) | instid1(VALU_DEP_1)
	v_dual_fmac_f32 v10, v21, v24 :: v_dual_add_nc_u32 v5, -4, v3
	v_lshlrev_b64 v[26:27], 2, v[5:6]
	v_add_nc_u32_e32 v5, -2, v3
	v_add_nc_u32_e32 v3, 0x60, v3
	s_delay_alu instid0(VALU_DEP_2) | instskip(SKIP_2) | instid1(VALU_DEP_1)
	v_lshlrev_b64 v[28:29], 2, v[5:6]
	v_add_nc_u32_e32 v5, 4, v16
	v_add_co_u32 v16, s3, s8, v26
	v_add_co_ci_u32_e64 v17, s3, s9, v27, s3
	s_delay_alu instid0(VALU_DEP_3) | instskip(SKIP_1) | instid1(VALU_DEP_1)
	v_lshlrev_b64 v[4:5], 2, v[5:6]
	v_add_co_u32 v26, s3, s8, v28
	v_add_co_ci_u32_e64 v27, s3, s9, v29, s3
	global_load_b64 v[16:17], v[16:17], off
	v_add_co_u32 v4, s3, s10, v4
	s_delay_alu instid0(VALU_DEP_1)
	v_add_co_ci_u32_e64 v5, s3, s11, v5, s3
	global_load_b64 v[26:27], v[26:27], off
	global_load_b64 v[4:5], v[4:5], off
	;; [unrolled: 1-line block ×3, first 2 shown]
	s_waitcnt vmcnt(3)
	v_fmac_f32_e32 v10, v17, v25
	s_waitcnt vmcnt(1)
	s_delay_alu instid0(VALU_DEP_1) | instskip(SKIP_1) | instid1(VALU_DEP_1)
	v_dual_fmac_f32 v10, v27, v4 :: v_dual_fmac_f32 v9, v12, v22
	s_waitcnt vmcnt(0)
	v_dual_fmac_f32 v10, v19, v5 :: v_dual_fmac_f32 v9, v14, v23
	s_delay_alu instid0(VALU_DEP_1) | instskip(NEXT) | instid1(VALU_DEP_1)
	v_fmac_f32_e32 v9, v20, v24
	v_fmac_f32_e32 v9, v16, v25
	s_delay_alu instid0(VALU_DEP_1) | instskip(NEXT) | instid1(VALU_DEP_1)
	v_fmac_f32_e32 v9, v26, v4
	v_fmac_f32_e32 v9, v18, v5
	s_and_not1_b32 exec_lo, exec_lo, s13
	s_cbranch_execnz .LBB21_9
; %bb.10:
	s_or_b32 exec_lo, exec_lo, s13
.LBB21_11:
	s_delay_alu instid0(SALU_CYCLE_1) | instskip(NEXT) | instid1(SALU_CYCLE_1)
	s_or_b32 exec_lo, exec_lo, s5
	s_and_not1_b32 vcc_lo, exec_lo, s4
	s_cbranch_vccz .LBB21_13
	s_branch .LBB21_18
.LBB21_12:
                                        ; implicit-def: $vgpr9
                                        ; implicit-def: $vgpr10
.LBB21_13:
	v_dual_mov_b32 v9, 0 :: v_dual_mov_b32 v10, 0
	s_delay_alu instid0(VALU_DEP_2)
	s_and_saveexec_b32 s3, s2
	s_cbranch_execz .LBB21_17
; %bb.14:
	v_mad_u64_u32 v[4:5], null, v2, 12, 11
	v_dual_mov_b32 v7, 0 :: v_dual_mov_b32 v10, 0
	v_mov_b32_e32 v9, 0
	s_mov_b32 s2, 0
.LBB21_15:                              ; =>This Inner Loop Header: Depth=1
	v_ashrrev_i32_e32 v3, 31, v2
	s_delay_alu instid0(VALU_DEP_3) | instskip(SKIP_1) | instid1(VALU_DEP_3)
	v_dual_mov_b32 v13, v7 :: v_dual_add_nc_u32 v12, -5, v4
	v_mov_b32_e32 v17, v7
	v_lshlrev_b64 v[5:6], 2, v[2:3]
	v_add_nc_u32_e32 v2, 8, v2
	s_delay_alu instid0(VALU_DEP_4) | instskip(NEXT) | instid1(VALU_DEP_3)
	v_lshlrev_b64 v[12:13], 2, v[12:13]
	v_add_co_u32 v5, vcc_lo, s6, v5
	s_delay_alu instid0(VALU_DEP_4) | instskip(SKIP_2) | instid1(VALU_DEP_1)
	v_add_co_ci_u32_e32 v6, vcc_lo, s7, v6, vcc_lo
	global_load_b32 v3, v[5:6], off
	v_dual_mov_b32 v5, v7 :: v_dual_add_nc_u32 v6, -11, v4
	v_lshlrev_b64 v[14:15], 2, v[6:7]
	v_add_nc_u32_e32 v6, -4, v4
	s_delay_alu instid0(VALU_DEP_3) | instskip(NEXT) | instid1(VALU_DEP_2)
	v_lshlrev_b64 v[18:19], 2, v[4:5]
	v_lshlrev_b64 v[5:6], 2, v[6:7]
	s_delay_alu instid0(VALU_DEP_4)
	v_add_co_u32 v14, vcc_lo, s8, v14
	v_add_co_ci_u32_e32 v15, vcc_lo, s9, v15, vcc_lo
	v_add_co_u32 v20, vcc_lo, s8, v12
	v_add_co_ci_u32_e32 v21, vcc_lo, s9, v13, vcc_lo
	;; [unrolled: 2-line block ×4, first 2 shown]
	s_clause 0x2
	global_load_b128 v[12:15], v[14:15], off
	global_load_b32 v8, v[20:21], off
	global_load_b32 v30, v[5:6], off
	s_waitcnt vmcnt(3)
	v_subrev_nc_u32_e32 v3, s18, v3
	s_delay_alu instid0(VALU_DEP_1) | instskip(NEXT) | instid1(VALU_DEP_1)
	v_mul_lo_u32 v16, v3, 6
	v_lshlrev_b64 v[20:21], 2, v[16:17]
	s_delay_alu instid0(VALU_DEP_1) | instskip(NEXT) | instid1(VALU_DEP_2)
	v_add_co_u32 v20, vcc_lo, s10, v20
	v_add_co_ci_u32_e32 v21, vcc_lo, s11, v21, vcc_lo
	global_load_b64 v[20:21], v[20:21], off
	v_add_nc_u32_e32 v6, 2, v16
	s_delay_alu instid0(VALU_DEP_1) | instskip(NEXT) | instid1(VALU_DEP_1)
	v_lshlrev_b64 v[22:23], 2, v[6:7]
	v_add_co_u32 v22, vcc_lo, s10, v22
	s_delay_alu instid0(VALU_DEP_2) | instskip(SKIP_3) | instid1(VALU_DEP_1)
	v_add_co_ci_u32_e32 v23, vcc_lo, s11, v23, vcc_lo
	global_load_b64 v[22:23], v[22:23], off
	s_waitcnt vmcnt(1)
	v_fmac_f32_e32 v10, v8, v20
	v_dual_fmac_f32 v9, v12, v20 :: v_dual_fmac_f32 v10, v30, v21
	s_delay_alu instid0(VALU_DEP_1) | instskip(SKIP_1) | instid1(VALU_DEP_1)
	v_dual_fmac_f32 v9, v13, v21 :: v_dual_add_nc_u32 v6, -3, v4
	s_waitcnt vmcnt(0)
	v_fmac_f32_e32 v9, v14, v22
	s_delay_alu instid0(VALU_DEP_2) | instskip(NEXT) | instid1(VALU_DEP_2)
	v_lshlrev_b64 v[24:25], 2, v[6:7]
	v_dual_fmac_f32 v9, v15, v23 :: v_dual_add_nc_u32 v6, -2, v4
	s_delay_alu instid0(VALU_DEP_1) | instskip(SKIP_1) | instid1(VALU_DEP_4)
	v_lshlrev_b64 v[26:27], 2, v[6:7]
	v_add_nc_u32_e32 v6, -7, v4
	v_add_co_u32 v24, vcc_lo, s8, v24
	v_add_co_ci_u32_e32 v25, vcc_lo, s9, v25, vcc_lo
	s_delay_alu instid0(VALU_DEP_3)
	v_lshlrev_b64 v[28:29], 2, v[6:7]
	v_add_nc_u32_e32 v6, 4, v16
	v_add_co_u32 v16, vcc_lo, s8, v26
	v_add_co_ci_u32_e32 v17, vcc_lo, s9, v27, vcc_lo
	global_load_b32 v3, v[24:25], off
	v_lshlrev_b64 v[24:25], 2, v[6:7]
	v_add_nc_u32_e32 v6, -1, v4
	global_load_b32 v31, v[16:17], off
	v_add_co_u32 v16, vcc_lo, s8, v28
	v_add_co_ci_u32_e32 v17, vcc_lo, s9, v29, vcc_lo
	v_lshlrev_b64 v[26:27], 2, v[6:7]
	v_add_nc_u32_e32 v6, -6, v4
	v_add_co_u32 v24, vcc_lo, s10, v24
	v_add_co_ci_u32_e32 v25, vcc_lo, s11, v25, vcc_lo
	s_delay_alu instid0(VALU_DEP_3)
	v_lshlrev_b64 v[5:6], 2, v[6:7]
	global_load_b32 v28, v[16:17], off
	v_add_nc_u32_e32 v4, 0x60, v4
	global_load_b64 v[16:17], v[24:25], off
	v_add_co_u32 v24, vcc_lo, s8, v26
	v_add_co_ci_u32_e32 v25, vcc_lo, s9, v27, vcc_lo
	v_add_co_u32 v5, vcc_lo, s8, v5
	v_add_co_ci_u32_e32 v6, vcc_lo, s9, v6, vcc_lo
	s_clause 0x2
	global_load_b32 v24, v[24:25], off
	global_load_b32 v5, v[5:6], off
	;; [unrolled: 1-line block ×3, first 2 shown]
	v_cmp_ge_i32_e32 vcc_lo, v2, v11
	s_or_b32 s2, vcc_lo, s2
	s_waitcnt vmcnt(3)
	v_dual_fmac_f32 v10, v3, v22 :: v_dual_fmac_f32 v9, v28, v16
	s_delay_alu instid0(VALU_DEP_1) | instskip(SKIP_1) | instid1(VALU_DEP_1)
	v_fmac_f32_e32 v10, v31, v23
	s_waitcnt vmcnt(1)
	v_dual_fmac_f32 v10, v24, v16 :: v_dual_fmac_f32 v9, v5, v17
	s_waitcnt vmcnt(0)
	s_delay_alu instid0(VALU_DEP_1)
	v_fmac_f32_e32 v10, v6, v17
	s_and_not1_b32 exec_lo, exec_lo, s2
	s_cbranch_execnz .LBB21_15
; %bb.16:
	s_or_b32 exec_lo, exec_lo, s2
.LBB21_17:
	s_delay_alu instid0(SALU_CYCLE_1)
	s_or_b32 exec_lo, exec_lo, s3
.LBB21_18:
	v_mbcnt_lo_u32_b32 v2, -1, 0
	s_mov_b32 s2, -1
	s_delay_alu instid0(VALU_DEP_1) | instskip(SKIP_2) | instid1(VALU_DEP_3)
	v_xor_b32_e32 v3, 4, v2
	v_xor_b32_e32 v5, 2, v2
	;; [unrolled: 1-line block ×3, first 2 shown]
	v_cmp_gt_i32_e32 vcc_lo, 32, v3
	v_cndmask_b32_e32 v3, v2, v3, vcc_lo
	s_delay_alu instid0(VALU_DEP_4) | instskip(NEXT) | instid1(VALU_DEP_2)
	v_cmp_gt_i32_e32 vcc_lo, 32, v5
	v_lshlrev_b32_e32 v3, 2, v3
	v_cndmask_b32_e32 v5, v2, v5, vcc_lo
	v_cmp_gt_i32_e32 vcc_lo, 32, v7
	ds_bpermute_b32 v4, v3, v9
	v_dual_cndmask_b32 v2, v2, v7 :: v_dual_lshlrev_b32 v5, 2, v5
	v_cmp_eq_u32_e32 vcc_lo, 7, v0
	s_waitcnt lgkmcnt(0)
	s_delay_alu instid0(VALU_DEP_2)
	v_dual_add_f32 v4, v9, v4 :: v_dual_lshlrev_b32 v7, 2, v2
	ds_bpermute_b32 v6, v5, v4
	s_waitcnt lgkmcnt(0)
	v_add_f32_e32 v2, v4, v6
	ds_bpermute_b32 v3, v3, v10
	ds_bpermute_b32 v4, v7, v2
	s_waitcnt lgkmcnt(1)
	v_add_f32_e32 v3, v10, v3
	ds_bpermute_b32 v5, v5, v3
	s_waitcnt lgkmcnt(0)
	v_add_f32_e32 v3, v3, v5
	ds_bpermute_b32 v5, v7, v3
	s_and_b32 exec_lo, exec_lo, vcc_lo
	s_cbranch_execz .LBB21_23
; %bb.19:
	s_load_b64 s[0:1], s[0:1], 0x38
	s_waitcnt lgkmcnt(0)
	v_dual_add_f32 v0, v2, v4 :: v_dual_add_f32 v3, v3, v5
	v_cmp_eq_f32_e64 s3, s12, 0
	s_delay_alu instid0(VALU_DEP_2) | instskip(SKIP_1) | instid1(VALU_DEP_3)
	v_dual_mul_f32 v2, s16, v0 :: v_dual_mul_f32 v3, s16, v3
	v_lshlrev_b32_e32 v0, 1, v1
	s_and_b32 vcc_lo, exec_lo, s3
	s_cbranch_vccz .LBB21_21
; %bb.20:
	s_delay_alu instid0(VALU_DEP_1) | instskip(SKIP_1) | instid1(VALU_DEP_1)
	v_ashrrev_i32_e32 v1, 31, v0
	s_mov_b32 s2, 0
	v_lshlrev_b64 v[4:5], 2, v[0:1]
	s_delay_alu instid0(VALU_DEP_1) | instskip(NEXT) | instid1(VALU_DEP_2)
	v_add_co_u32 v4, vcc_lo, s0, v4
	v_add_co_ci_u32_e32 v5, vcc_lo, s1, v5, vcc_lo
	global_store_b64 v[4:5], v[2:3], off
.LBB21_21:
	s_and_not1_b32 vcc_lo, exec_lo, s2
	s_cbranch_vccnz .LBB21_23
; %bb.22:
	v_ashrrev_i32_e32 v1, 31, v0
	s_delay_alu instid0(VALU_DEP_1) | instskip(NEXT) | instid1(VALU_DEP_1)
	v_lshlrev_b64 v[0:1], 2, v[0:1]
	v_add_co_u32 v0, vcc_lo, s0, v0
	s_delay_alu instid0(VALU_DEP_2)
	v_add_co_ci_u32_e32 v1, vcc_lo, s1, v1, vcc_lo
	global_load_b64 v[4:5], v[0:1], off
	s_waitcnt vmcnt(0)
	v_dual_fmac_f32 v2, s12, v4 :: v_dual_fmac_f32 v3, s12, v5
	global_store_b64 v[0:1], v[2:3], off
.LBB21_23:
	s_nop 0
	s_sendmsg sendmsg(MSG_DEALLOC_VGPRS)
	s_endpgm
	.section	.rodata,"a",@progbits
	.p2align	6, 0x0
	.amdhsa_kernel _ZN9rocsparseL19gebsrmvn_2xn_kernelILj128ELj6ELj8EfEEvi20rocsparse_direction_NS_24const_host_device_scalarIT2_EEPKiS6_PKS3_S8_S4_PS3_21rocsparse_index_base_b
		.amdhsa_group_segment_fixed_size 0
		.amdhsa_private_segment_fixed_size 0
		.amdhsa_kernarg_size 72
		.amdhsa_user_sgpr_count 15
		.amdhsa_user_sgpr_dispatch_ptr 0
		.amdhsa_user_sgpr_queue_ptr 0
		.amdhsa_user_sgpr_kernarg_segment_ptr 1
		.amdhsa_user_sgpr_dispatch_id 0
		.amdhsa_user_sgpr_private_segment_size 0
		.amdhsa_wavefront_size32 1
		.amdhsa_uses_dynamic_stack 0
		.amdhsa_enable_private_segment 0
		.amdhsa_system_sgpr_workgroup_id_x 1
		.amdhsa_system_sgpr_workgroup_id_y 0
		.amdhsa_system_sgpr_workgroup_id_z 0
		.amdhsa_system_sgpr_workgroup_info 0
		.amdhsa_system_vgpr_workitem_id 0
		.amdhsa_next_free_vgpr 32
		.amdhsa_next_free_sgpr 20
		.amdhsa_reserve_vcc 1
		.amdhsa_float_round_mode_32 0
		.amdhsa_float_round_mode_16_64 0
		.amdhsa_float_denorm_mode_32 3
		.amdhsa_float_denorm_mode_16_64 3
		.amdhsa_dx10_clamp 1
		.amdhsa_ieee_mode 1
		.amdhsa_fp16_overflow 0
		.amdhsa_workgroup_processor_mode 1
		.amdhsa_memory_ordered 1
		.amdhsa_forward_progress 0
		.amdhsa_shared_vgpr_count 0
		.amdhsa_exception_fp_ieee_invalid_op 0
		.amdhsa_exception_fp_denorm_src 0
		.amdhsa_exception_fp_ieee_div_zero 0
		.amdhsa_exception_fp_ieee_overflow 0
		.amdhsa_exception_fp_ieee_underflow 0
		.amdhsa_exception_fp_ieee_inexact 0
		.amdhsa_exception_int_div_zero 0
	.end_amdhsa_kernel
	.section	.text._ZN9rocsparseL19gebsrmvn_2xn_kernelILj128ELj6ELj8EfEEvi20rocsparse_direction_NS_24const_host_device_scalarIT2_EEPKiS6_PKS3_S8_S4_PS3_21rocsparse_index_base_b,"axG",@progbits,_ZN9rocsparseL19gebsrmvn_2xn_kernelILj128ELj6ELj8EfEEvi20rocsparse_direction_NS_24const_host_device_scalarIT2_EEPKiS6_PKS3_S8_S4_PS3_21rocsparse_index_base_b,comdat
.Lfunc_end21:
	.size	_ZN9rocsparseL19gebsrmvn_2xn_kernelILj128ELj6ELj8EfEEvi20rocsparse_direction_NS_24const_host_device_scalarIT2_EEPKiS6_PKS3_S8_S4_PS3_21rocsparse_index_base_b, .Lfunc_end21-_ZN9rocsparseL19gebsrmvn_2xn_kernelILj128ELj6ELj8EfEEvi20rocsparse_direction_NS_24const_host_device_scalarIT2_EEPKiS6_PKS3_S8_S4_PS3_21rocsparse_index_base_b
                                        ; -- End function
	.section	.AMDGPU.csdata,"",@progbits
; Kernel info:
; codeLenInByte = 1820
; NumSgprs: 22
; NumVgprs: 32
; ScratchSize: 0
; MemoryBound: 0
; FloatMode: 240
; IeeeMode: 1
; LDSByteSize: 0 bytes/workgroup (compile time only)
; SGPRBlocks: 2
; VGPRBlocks: 3
; NumSGPRsForWavesPerEU: 22
; NumVGPRsForWavesPerEU: 32
; Occupancy: 16
; WaveLimiterHint : 1
; COMPUTE_PGM_RSRC2:SCRATCH_EN: 0
; COMPUTE_PGM_RSRC2:USER_SGPR: 15
; COMPUTE_PGM_RSRC2:TRAP_HANDLER: 0
; COMPUTE_PGM_RSRC2:TGID_X_EN: 1
; COMPUTE_PGM_RSRC2:TGID_Y_EN: 0
; COMPUTE_PGM_RSRC2:TGID_Z_EN: 0
; COMPUTE_PGM_RSRC2:TIDIG_COMP_CNT: 0
	.section	.text._ZN9rocsparseL19gebsrmvn_2xn_kernelILj128ELj6ELj16EfEEvi20rocsparse_direction_NS_24const_host_device_scalarIT2_EEPKiS6_PKS3_S8_S4_PS3_21rocsparse_index_base_b,"axG",@progbits,_ZN9rocsparseL19gebsrmvn_2xn_kernelILj128ELj6ELj16EfEEvi20rocsparse_direction_NS_24const_host_device_scalarIT2_EEPKiS6_PKS3_S8_S4_PS3_21rocsparse_index_base_b,comdat
	.globl	_ZN9rocsparseL19gebsrmvn_2xn_kernelILj128ELj6ELj16EfEEvi20rocsparse_direction_NS_24const_host_device_scalarIT2_EEPKiS6_PKS3_S8_S4_PS3_21rocsparse_index_base_b ; -- Begin function _ZN9rocsparseL19gebsrmvn_2xn_kernelILj128ELj6ELj16EfEEvi20rocsparse_direction_NS_24const_host_device_scalarIT2_EEPKiS6_PKS3_S8_S4_PS3_21rocsparse_index_base_b
	.p2align	8
	.type	_ZN9rocsparseL19gebsrmvn_2xn_kernelILj128ELj6ELj16EfEEvi20rocsparse_direction_NS_24const_host_device_scalarIT2_EEPKiS6_PKS3_S8_S4_PS3_21rocsparse_index_base_b,@function
_ZN9rocsparseL19gebsrmvn_2xn_kernelILj128ELj6ELj16EfEEvi20rocsparse_direction_NS_24const_host_device_scalarIT2_EEPKiS6_PKS3_S8_S4_PS3_21rocsparse_index_base_b: ; @_ZN9rocsparseL19gebsrmvn_2xn_kernelILj128ELj6ELj16EfEEvi20rocsparse_direction_NS_24const_host_device_scalarIT2_EEPKiS6_PKS3_S8_S4_PS3_21rocsparse_index_base_b
; %bb.0:
	s_clause 0x2
	s_load_b64 s[18:19], s[0:1], 0x40
	s_load_b64 s[16:17], s[0:1], 0x8
	;; [unrolled: 1-line block ×3, first 2 shown]
	s_waitcnt lgkmcnt(0)
	s_bitcmp1_b32 s19, 0
	s_cselect_b32 s2, -1, 0
	s_delay_alu instid0(SALU_CYCLE_1)
	s_and_b32 vcc_lo, exec_lo, s2
	s_xor_b32 s2, s2, -1
	s_cbranch_vccnz .LBB22_2
; %bb.1:
	s_load_b32 s16, s[16:17], 0x0
.LBB22_2:
	s_and_not1_b32 vcc_lo, exec_lo, s2
	s_cbranch_vccnz .LBB22_4
; %bb.3:
	s_load_b32 s12, s[12:13], 0x0
.LBB22_4:
	s_waitcnt lgkmcnt(0)
	v_cmp_eq_f32_e64 s2, s16, 0
	v_cmp_eq_f32_e64 s3, s12, 1.0
	s_delay_alu instid0(VALU_DEP_1) | instskip(NEXT) | instid1(SALU_CYCLE_1)
	s_and_b32 s2, s2, s3
	s_and_b32 vcc_lo, exec_lo, s2
	s_cbranch_vccnz .LBB22_23
; %bb.5:
	s_load_b64 s[2:3], s[0:1], 0x0
	v_lshrrev_b32_e32 v1, 4, v0
	s_delay_alu instid0(VALU_DEP_1) | instskip(SKIP_1) | instid1(VALU_DEP_1)
	v_lshl_or_b32 v1, s15, 3, v1
	s_waitcnt lgkmcnt(0)
	v_cmp_gt_i32_e32 vcc_lo, s2, v1
	s_and_saveexec_b32 s2, vcc_lo
	s_cbranch_execz .LBB22_23
; %bb.6:
	s_load_b256 s[4:11], s[0:1], 0x10
	v_ashrrev_i32_e32 v2, 31, v1
	v_and_b32_e32 v0, 15, v0
	s_cmp_lg_u32 s3, 0
	s_delay_alu instid0(VALU_DEP_2) | instskip(SKIP_1) | instid1(VALU_DEP_1)
	v_lshlrev_b64 v[2:3], 2, v[1:2]
	s_waitcnt lgkmcnt(0)
	v_add_co_u32 v2, vcc_lo, s4, v2
	s_delay_alu instid0(VALU_DEP_2) | instskip(SKIP_4) | instid1(VALU_DEP_2)
	v_add_co_ci_u32_e32 v3, vcc_lo, s5, v3, vcc_lo
	global_load_b64 v[2:3], v[2:3], off
	s_waitcnt vmcnt(0)
	v_subrev_nc_u32_e32 v2, s18, v2
	v_subrev_nc_u32_e32 v11, s18, v3
	v_add_nc_u32_e32 v2, v2, v0
	s_delay_alu instid0(VALU_DEP_1)
	v_cmp_lt_i32_e64 s2, v2, v11
	s_cbranch_scc0 .LBB22_12
; %bb.7:
	v_dual_mov_b32 v9, 0 :: v_dual_mov_b32 v10, 0
	s_mov_b32 s4, 0
	s_delay_alu instid0(VALU_DEP_2)
	s_and_saveexec_b32 s5, s2
	s_cbranch_execz .LBB22_11
; %bb.8:
	v_mad_u64_u32 v[3:4], null, v2, 12, 10
	v_dual_mov_b32 v6, 0 :: v_dual_mov_b32 v7, v2
	v_dual_mov_b32 v9, 0 :: v_dual_mov_b32 v10, 0
	s_mov_b32 s13, 0
.LBB22_9:                               ; =>This Inner Loop Header: Depth=1
	s_delay_alu instid0(VALU_DEP_2) | instskip(NEXT) | instid1(VALU_DEP_1)
	v_ashrrev_i32_e32 v8, 31, v7
	v_lshlrev_b64 v[4:5], 2, v[7:8]
	v_add_nc_u32_e32 v7, 16, v7
	s_delay_alu instid0(VALU_DEP_2) | instskip(NEXT) | instid1(VALU_DEP_3)
	v_add_co_u32 v4, vcc_lo, s6, v4
	v_add_co_ci_u32_e32 v5, vcc_lo, s7, v5, vcc_lo
	global_load_b32 v8, v[4:5], off
	v_dual_mov_b32 v4, v6 :: v_dual_add_nc_u32 v5, -10, v3
	s_delay_alu instid0(VALU_DEP_1) | instskip(SKIP_1) | instid1(VALU_DEP_3)
	v_lshlrev_b64 v[12:13], 2, v[5:6]
	v_add_nc_u32_e32 v5, -6, v3
	v_lshlrev_b64 v[18:19], 2, v[3:4]
	s_delay_alu instid0(VALU_DEP_2) | instskip(NEXT) | instid1(VALU_DEP_4)
	v_lshlrev_b64 v[4:5], 2, v[5:6]
	v_add_co_u32 v12, vcc_lo, s8, v12
	v_add_co_ci_u32_e32 v13, vcc_lo, s9, v13, vcc_lo
	s_delay_alu instid0(VALU_DEP_4) | instskip(NEXT) | instid1(VALU_DEP_4)
	v_add_co_u32 v18, vcc_lo, s8, v18
	v_add_co_u32 v4, s3, s8, v4
	s_delay_alu instid0(VALU_DEP_1)
	v_add_co_ci_u32_e64 v5, s3, s9, v5, s3
	s_clause 0x1
	global_load_b128 v[12:15], v[12:13], off
	global_load_b64 v[20:21], v[4:5], off
	v_mov_b32_e32 v17, v6
	v_add_co_ci_u32_e32 v19, vcc_lo, s9, v19, vcc_lo
	v_cmp_ge_i32_e32 vcc_lo, v7, v11
	s_or_b32 s13, vcc_lo, s13
	s_waitcnt vmcnt(2)
	v_subrev_nc_u32_e32 v4, s18, v8
	s_delay_alu instid0(VALU_DEP_1) | instskip(NEXT) | instid1(VALU_DEP_1)
	v_mul_lo_u32 v16, v4, 6
	v_lshlrev_b64 v[22:23], 2, v[16:17]
	s_delay_alu instid0(VALU_DEP_1) | instskip(NEXT) | instid1(VALU_DEP_1)
	v_add_co_u32 v22, s3, s10, v22
	v_add_co_ci_u32_e64 v23, s3, s11, v23, s3
	global_load_b64 v[22:23], v[22:23], off
	v_add_nc_u32_e32 v5, 2, v16
	s_delay_alu instid0(VALU_DEP_1) | instskip(NEXT) | instid1(VALU_DEP_1)
	v_lshlrev_b64 v[24:25], 2, v[5:6]
	v_add_co_u32 v24, s3, s10, v24
	s_delay_alu instid0(VALU_DEP_1) | instskip(SKIP_3) | instid1(VALU_DEP_1)
	v_add_co_ci_u32_e64 v25, s3, s11, v25, s3
	global_load_b64 v[24:25], v[24:25], off
	s_waitcnt vmcnt(1)
	v_fmac_f32_e32 v10, v13, v22
	v_fmac_f32_e32 v10, v15, v23
	s_waitcnt vmcnt(0)
	s_delay_alu instid0(VALU_DEP_1) | instskip(NEXT) | instid1(VALU_DEP_1)
	v_dual_fmac_f32 v10, v21, v24 :: v_dual_add_nc_u32 v5, -4, v3
	v_lshlrev_b64 v[26:27], 2, v[5:6]
	v_add_nc_u32_e32 v5, -2, v3
	v_add_nc_u32_e32 v3, 0xc0, v3
	s_delay_alu instid0(VALU_DEP_2) | instskip(SKIP_2) | instid1(VALU_DEP_1)
	v_lshlrev_b64 v[28:29], 2, v[5:6]
	v_add_nc_u32_e32 v5, 4, v16
	v_add_co_u32 v16, s3, s8, v26
	v_add_co_ci_u32_e64 v17, s3, s9, v27, s3
	s_delay_alu instid0(VALU_DEP_3) | instskip(SKIP_1) | instid1(VALU_DEP_1)
	v_lshlrev_b64 v[4:5], 2, v[5:6]
	v_add_co_u32 v26, s3, s8, v28
	v_add_co_ci_u32_e64 v27, s3, s9, v29, s3
	global_load_b64 v[16:17], v[16:17], off
	v_add_co_u32 v4, s3, s10, v4
	s_delay_alu instid0(VALU_DEP_1)
	v_add_co_ci_u32_e64 v5, s3, s11, v5, s3
	global_load_b64 v[26:27], v[26:27], off
	global_load_b64 v[4:5], v[4:5], off
	;; [unrolled: 1-line block ×3, first 2 shown]
	s_waitcnt vmcnt(3)
	v_fmac_f32_e32 v10, v17, v25
	s_waitcnt vmcnt(1)
	s_delay_alu instid0(VALU_DEP_1) | instskip(SKIP_1) | instid1(VALU_DEP_1)
	v_dual_fmac_f32 v10, v27, v4 :: v_dual_fmac_f32 v9, v12, v22
	s_waitcnt vmcnt(0)
	v_dual_fmac_f32 v10, v19, v5 :: v_dual_fmac_f32 v9, v14, v23
	s_delay_alu instid0(VALU_DEP_1) | instskip(NEXT) | instid1(VALU_DEP_1)
	v_fmac_f32_e32 v9, v20, v24
	v_fmac_f32_e32 v9, v16, v25
	s_delay_alu instid0(VALU_DEP_1) | instskip(NEXT) | instid1(VALU_DEP_1)
	v_fmac_f32_e32 v9, v26, v4
	v_fmac_f32_e32 v9, v18, v5
	s_and_not1_b32 exec_lo, exec_lo, s13
	s_cbranch_execnz .LBB22_9
; %bb.10:
	s_or_b32 exec_lo, exec_lo, s13
.LBB22_11:
	s_delay_alu instid0(SALU_CYCLE_1) | instskip(NEXT) | instid1(SALU_CYCLE_1)
	s_or_b32 exec_lo, exec_lo, s5
	s_and_not1_b32 vcc_lo, exec_lo, s4
	s_cbranch_vccz .LBB22_13
	s_branch .LBB22_18
.LBB22_12:
                                        ; implicit-def: $vgpr9
                                        ; implicit-def: $vgpr10
.LBB22_13:
	v_dual_mov_b32 v9, 0 :: v_dual_mov_b32 v10, 0
	s_delay_alu instid0(VALU_DEP_2)
	s_and_saveexec_b32 s3, s2
	s_cbranch_execz .LBB22_17
; %bb.14:
	v_mad_u64_u32 v[4:5], null, v2, 12, 11
	v_dual_mov_b32 v7, 0 :: v_dual_mov_b32 v10, 0
	v_mov_b32_e32 v9, 0
	s_mov_b32 s2, 0
.LBB22_15:                              ; =>This Inner Loop Header: Depth=1
	v_ashrrev_i32_e32 v3, 31, v2
	s_delay_alu instid0(VALU_DEP_3) | instskip(SKIP_1) | instid1(VALU_DEP_3)
	v_dual_mov_b32 v13, v7 :: v_dual_add_nc_u32 v12, -5, v4
	v_mov_b32_e32 v17, v7
	v_lshlrev_b64 v[5:6], 2, v[2:3]
	v_add_nc_u32_e32 v2, 16, v2
	s_delay_alu instid0(VALU_DEP_4) | instskip(NEXT) | instid1(VALU_DEP_3)
	v_lshlrev_b64 v[12:13], 2, v[12:13]
	v_add_co_u32 v5, vcc_lo, s6, v5
	s_delay_alu instid0(VALU_DEP_4) | instskip(SKIP_2) | instid1(VALU_DEP_1)
	v_add_co_ci_u32_e32 v6, vcc_lo, s7, v6, vcc_lo
	global_load_b32 v3, v[5:6], off
	v_dual_mov_b32 v5, v7 :: v_dual_add_nc_u32 v6, -11, v4
	v_lshlrev_b64 v[14:15], 2, v[6:7]
	v_add_nc_u32_e32 v6, -4, v4
	s_delay_alu instid0(VALU_DEP_3) | instskip(NEXT) | instid1(VALU_DEP_2)
	v_lshlrev_b64 v[18:19], 2, v[4:5]
	v_lshlrev_b64 v[5:6], 2, v[6:7]
	s_delay_alu instid0(VALU_DEP_4)
	v_add_co_u32 v14, vcc_lo, s8, v14
	v_add_co_ci_u32_e32 v15, vcc_lo, s9, v15, vcc_lo
	v_add_co_u32 v20, vcc_lo, s8, v12
	v_add_co_ci_u32_e32 v21, vcc_lo, s9, v13, vcc_lo
	;; [unrolled: 2-line block ×4, first 2 shown]
	s_clause 0x2
	global_load_b128 v[12:15], v[14:15], off
	global_load_b32 v8, v[20:21], off
	global_load_b32 v30, v[5:6], off
	s_waitcnt vmcnt(3)
	v_subrev_nc_u32_e32 v3, s18, v3
	s_delay_alu instid0(VALU_DEP_1) | instskip(NEXT) | instid1(VALU_DEP_1)
	v_mul_lo_u32 v16, v3, 6
	v_lshlrev_b64 v[20:21], 2, v[16:17]
	s_delay_alu instid0(VALU_DEP_1) | instskip(NEXT) | instid1(VALU_DEP_2)
	v_add_co_u32 v20, vcc_lo, s10, v20
	v_add_co_ci_u32_e32 v21, vcc_lo, s11, v21, vcc_lo
	global_load_b64 v[20:21], v[20:21], off
	v_add_nc_u32_e32 v6, 2, v16
	s_delay_alu instid0(VALU_DEP_1) | instskip(NEXT) | instid1(VALU_DEP_1)
	v_lshlrev_b64 v[22:23], 2, v[6:7]
	v_add_co_u32 v22, vcc_lo, s10, v22
	s_delay_alu instid0(VALU_DEP_2) | instskip(SKIP_3) | instid1(VALU_DEP_1)
	v_add_co_ci_u32_e32 v23, vcc_lo, s11, v23, vcc_lo
	global_load_b64 v[22:23], v[22:23], off
	s_waitcnt vmcnt(1)
	v_fmac_f32_e32 v10, v8, v20
	v_dual_fmac_f32 v9, v12, v20 :: v_dual_fmac_f32 v10, v30, v21
	s_delay_alu instid0(VALU_DEP_1) | instskip(SKIP_1) | instid1(VALU_DEP_1)
	v_dual_fmac_f32 v9, v13, v21 :: v_dual_add_nc_u32 v6, -3, v4
	s_waitcnt vmcnt(0)
	v_fmac_f32_e32 v9, v14, v22
	s_delay_alu instid0(VALU_DEP_2) | instskip(NEXT) | instid1(VALU_DEP_2)
	v_lshlrev_b64 v[24:25], 2, v[6:7]
	v_dual_fmac_f32 v9, v15, v23 :: v_dual_add_nc_u32 v6, -2, v4
	s_delay_alu instid0(VALU_DEP_1) | instskip(SKIP_1) | instid1(VALU_DEP_4)
	v_lshlrev_b64 v[26:27], 2, v[6:7]
	v_add_nc_u32_e32 v6, -7, v4
	v_add_co_u32 v24, vcc_lo, s8, v24
	v_add_co_ci_u32_e32 v25, vcc_lo, s9, v25, vcc_lo
	s_delay_alu instid0(VALU_DEP_3)
	v_lshlrev_b64 v[28:29], 2, v[6:7]
	v_add_nc_u32_e32 v6, 4, v16
	v_add_co_u32 v16, vcc_lo, s8, v26
	v_add_co_ci_u32_e32 v17, vcc_lo, s9, v27, vcc_lo
	global_load_b32 v3, v[24:25], off
	v_lshlrev_b64 v[24:25], 2, v[6:7]
	v_add_nc_u32_e32 v6, -1, v4
	global_load_b32 v31, v[16:17], off
	v_add_co_u32 v16, vcc_lo, s8, v28
	v_add_co_ci_u32_e32 v17, vcc_lo, s9, v29, vcc_lo
	v_lshlrev_b64 v[26:27], 2, v[6:7]
	v_add_nc_u32_e32 v6, -6, v4
	v_add_co_u32 v24, vcc_lo, s10, v24
	v_add_co_ci_u32_e32 v25, vcc_lo, s11, v25, vcc_lo
	s_delay_alu instid0(VALU_DEP_3)
	v_lshlrev_b64 v[5:6], 2, v[6:7]
	global_load_b32 v28, v[16:17], off
	v_add_nc_u32_e32 v4, 0xc0, v4
	global_load_b64 v[16:17], v[24:25], off
	v_add_co_u32 v24, vcc_lo, s8, v26
	v_add_co_ci_u32_e32 v25, vcc_lo, s9, v27, vcc_lo
	v_add_co_u32 v5, vcc_lo, s8, v5
	v_add_co_ci_u32_e32 v6, vcc_lo, s9, v6, vcc_lo
	s_clause 0x2
	global_load_b32 v24, v[24:25], off
	global_load_b32 v5, v[5:6], off
	;; [unrolled: 1-line block ×3, first 2 shown]
	v_cmp_ge_i32_e32 vcc_lo, v2, v11
	s_or_b32 s2, vcc_lo, s2
	s_waitcnt vmcnt(3)
	v_dual_fmac_f32 v10, v3, v22 :: v_dual_fmac_f32 v9, v28, v16
	s_delay_alu instid0(VALU_DEP_1) | instskip(SKIP_1) | instid1(VALU_DEP_1)
	v_fmac_f32_e32 v10, v31, v23
	s_waitcnt vmcnt(1)
	v_dual_fmac_f32 v10, v24, v16 :: v_dual_fmac_f32 v9, v5, v17
	s_waitcnt vmcnt(0)
	s_delay_alu instid0(VALU_DEP_1)
	v_fmac_f32_e32 v10, v6, v17
	s_and_not1_b32 exec_lo, exec_lo, s2
	s_cbranch_execnz .LBB22_15
; %bb.16:
	s_or_b32 exec_lo, exec_lo, s2
.LBB22_17:
	s_delay_alu instid0(SALU_CYCLE_1)
	s_or_b32 exec_lo, exec_lo, s3
.LBB22_18:
	v_mbcnt_lo_u32_b32 v2, -1, 0
	s_mov_b32 s2, -1
	s_delay_alu instid0(VALU_DEP_1) | instskip(SKIP_2) | instid1(VALU_DEP_3)
	v_xor_b32_e32 v3, 8, v2
	v_xor_b32_e32 v5, 4, v2
	;; [unrolled: 1-line block ×3, first 2 shown]
	v_cmp_gt_i32_e32 vcc_lo, 32, v3
	v_cndmask_b32_e32 v3, v2, v3, vcc_lo
	s_delay_alu instid0(VALU_DEP_4) | instskip(NEXT) | instid1(VALU_DEP_2)
	v_cmp_gt_i32_e32 vcc_lo, 32, v5
	v_lshlrev_b32_e32 v3, 2, v3
	v_cndmask_b32_e32 v5, v2, v5, vcc_lo
	v_cmp_gt_i32_e32 vcc_lo, 32, v7
	ds_bpermute_b32 v4, v3, v9
	v_lshlrev_b32_e32 v5, 2, v5
	v_cndmask_b32_e32 v7, v2, v7, vcc_lo
	s_waitcnt lgkmcnt(0)
	s_delay_alu instid0(VALU_DEP_1)
	v_dual_add_f32 v4, v9, v4 :: v_dual_lshlrev_b32 v7, 2, v7
	ds_bpermute_b32 v6, v5, v4
	s_waitcnt lgkmcnt(0)
	v_add_f32_e32 v4, v4, v6
	ds_bpermute_b32 v3, v3, v10
	s_waitcnt lgkmcnt(0)
	v_add_f32_e32 v3, v10, v3
	;; [unrolled: 3-line block ×3, first 2 shown]
	ds_bpermute_b32 v5, v7, v4
	ds_bpermute_b32 v6, v7, v3
	v_xor_b32_e32 v7, 1, v2
	s_delay_alu instid0(VALU_DEP_1) | instskip(SKIP_3) | instid1(VALU_DEP_2)
	v_cmp_gt_i32_e32 vcc_lo, 32, v7
	v_cndmask_b32_e32 v2, v2, v7, vcc_lo
	v_cmp_eq_u32_e32 vcc_lo, 15, v0
	s_waitcnt lgkmcnt(1)
	v_dual_add_f32 v2, v4, v5 :: v_dual_lshlrev_b32 v7, 2, v2
	s_waitcnt lgkmcnt(0)
	v_add_f32_e32 v3, v3, v6
	ds_bpermute_b32 v4, v7, v2
	ds_bpermute_b32 v5, v7, v3
	s_and_b32 exec_lo, exec_lo, vcc_lo
	s_cbranch_execz .LBB22_23
; %bb.19:
	s_load_b64 s[0:1], s[0:1], 0x38
	s_waitcnt lgkmcnt(0)
	v_dual_add_f32 v0, v2, v4 :: v_dual_add_f32 v3, v3, v5
	v_cmp_eq_f32_e64 s3, s12, 0
	s_delay_alu instid0(VALU_DEP_2) | instskip(SKIP_1) | instid1(VALU_DEP_3)
	v_dual_mul_f32 v2, s16, v0 :: v_dual_mul_f32 v3, s16, v3
	v_lshlrev_b32_e32 v0, 1, v1
	s_and_b32 vcc_lo, exec_lo, s3
	s_cbranch_vccz .LBB22_21
; %bb.20:
	s_delay_alu instid0(VALU_DEP_1) | instskip(SKIP_1) | instid1(VALU_DEP_1)
	v_ashrrev_i32_e32 v1, 31, v0
	s_mov_b32 s2, 0
	v_lshlrev_b64 v[4:5], 2, v[0:1]
	s_delay_alu instid0(VALU_DEP_1) | instskip(NEXT) | instid1(VALU_DEP_2)
	v_add_co_u32 v4, vcc_lo, s0, v4
	v_add_co_ci_u32_e32 v5, vcc_lo, s1, v5, vcc_lo
	global_store_b64 v[4:5], v[2:3], off
.LBB22_21:
	s_and_not1_b32 vcc_lo, exec_lo, s2
	s_cbranch_vccnz .LBB22_23
; %bb.22:
	v_ashrrev_i32_e32 v1, 31, v0
	s_delay_alu instid0(VALU_DEP_1) | instskip(NEXT) | instid1(VALU_DEP_1)
	v_lshlrev_b64 v[0:1], 2, v[0:1]
	v_add_co_u32 v0, vcc_lo, s0, v0
	s_delay_alu instid0(VALU_DEP_2)
	v_add_co_ci_u32_e32 v1, vcc_lo, s1, v1, vcc_lo
	global_load_b64 v[4:5], v[0:1], off
	s_waitcnt vmcnt(0)
	v_dual_fmac_f32 v2, s12, v4 :: v_dual_fmac_f32 v3, s12, v5
	global_store_b64 v[0:1], v[2:3], off
.LBB22_23:
	s_nop 0
	s_sendmsg sendmsg(MSG_DEALLOC_VGPRS)
	s_endpgm
	.section	.rodata,"a",@progbits
	.p2align	6, 0x0
	.amdhsa_kernel _ZN9rocsparseL19gebsrmvn_2xn_kernelILj128ELj6ELj16EfEEvi20rocsparse_direction_NS_24const_host_device_scalarIT2_EEPKiS6_PKS3_S8_S4_PS3_21rocsparse_index_base_b
		.amdhsa_group_segment_fixed_size 0
		.amdhsa_private_segment_fixed_size 0
		.amdhsa_kernarg_size 72
		.amdhsa_user_sgpr_count 15
		.amdhsa_user_sgpr_dispatch_ptr 0
		.amdhsa_user_sgpr_queue_ptr 0
		.amdhsa_user_sgpr_kernarg_segment_ptr 1
		.amdhsa_user_sgpr_dispatch_id 0
		.amdhsa_user_sgpr_private_segment_size 0
		.amdhsa_wavefront_size32 1
		.amdhsa_uses_dynamic_stack 0
		.amdhsa_enable_private_segment 0
		.amdhsa_system_sgpr_workgroup_id_x 1
		.amdhsa_system_sgpr_workgroup_id_y 0
		.amdhsa_system_sgpr_workgroup_id_z 0
		.amdhsa_system_sgpr_workgroup_info 0
		.amdhsa_system_vgpr_workitem_id 0
		.amdhsa_next_free_vgpr 32
		.amdhsa_next_free_sgpr 20
		.amdhsa_reserve_vcc 1
		.amdhsa_float_round_mode_32 0
		.amdhsa_float_round_mode_16_64 0
		.amdhsa_float_denorm_mode_32 3
		.amdhsa_float_denorm_mode_16_64 3
		.amdhsa_dx10_clamp 1
		.amdhsa_ieee_mode 1
		.amdhsa_fp16_overflow 0
		.amdhsa_workgroup_processor_mode 1
		.amdhsa_memory_ordered 1
		.amdhsa_forward_progress 0
		.amdhsa_shared_vgpr_count 0
		.amdhsa_exception_fp_ieee_invalid_op 0
		.amdhsa_exception_fp_denorm_src 0
		.amdhsa_exception_fp_ieee_div_zero 0
		.amdhsa_exception_fp_ieee_overflow 0
		.amdhsa_exception_fp_ieee_underflow 0
		.amdhsa_exception_fp_ieee_inexact 0
		.amdhsa_exception_int_div_zero 0
	.end_amdhsa_kernel
	.section	.text._ZN9rocsparseL19gebsrmvn_2xn_kernelILj128ELj6ELj16EfEEvi20rocsparse_direction_NS_24const_host_device_scalarIT2_EEPKiS6_PKS3_S8_S4_PS3_21rocsparse_index_base_b,"axG",@progbits,_ZN9rocsparseL19gebsrmvn_2xn_kernelILj128ELj6ELj16EfEEvi20rocsparse_direction_NS_24const_host_device_scalarIT2_EEPKiS6_PKS3_S8_S4_PS3_21rocsparse_index_base_b,comdat
.Lfunc_end22:
	.size	_ZN9rocsparseL19gebsrmvn_2xn_kernelILj128ELj6ELj16EfEEvi20rocsparse_direction_NS_24const_host_device_scalarIT2_EEPKiS6_PKS3_S8_S4_PS3_21rocsparse_index_base_b, .Lfunc_end22-_ZN9rocsparseL19gebsrmvn_2xn_kernelILj128ELj6ELj16EfEEvi20rocsparse_direction_NS_24const_host_device_scalarIT2_EEPKiS6_PKS3_S8_S4_PS3_21rocsparse_index_base_b
                                        ; -- End function
	.section	.AMDGPU.csdata,"",@progbits
; Kernel info:
; codeLenInByte = 1872
; NumSgprs: 22
; NumVgprs: 32
; ScratchSize: 0
; MemoryBound: 0
; FloatMode: 240
; IeeeMode: 1
; LDSByteSize: 0 bytes/workgroup (compile time only)
; SGPRBlocks: 2
; VGPRBlocks: 3
; NumSGPRsForWavesPerEU: 22
; NumVGPRsForWavesPerEU: 32
; Occupancy: 16
; WaveLimiterHint : 1
; COMPUTE_PGM_RSRC2:SCRATCH_EN: 0
; COMPUTE_PGM_RSRC2:USER_SGPR: 15
; COMPUTE_PGM_RSRC2:TRAP_HANDLER: 0
; COMPUTE_PGM_RSRC2:TGID_X_EN: 1
; COMPUTE_PGM_RSRC2:TGID_Y_EN: 0
; COMPUTE_PGM_RSRC2:TGID_Z_EN: 0
; COMPUTE_PGM_RSRC2:TIDIG_COMP_CNT: 0
	.section	.text._ZN9rocsparseL19gebsrmvn_2xn_kernelILj128ELj6ELj32EfEEvi20rocsparse_direction_NS_24const_host_device_scalarIT2_EEPKiS6_PKS3_S8_S4_PS3_21rocsparse_index_base_b,"axG",@progbits,_ZN9rocsparseL19gebsrmvn_2xn_kernelILj128ELj6ELj32EfEEvi20rocsparse_direction_NS_24const_host_device_scalarIT2_EEPKiS6_PKS3_S8_S4_PS3_21rocsparse_index_base_b,comdat
	.globl	_ZN9rocsparseL19gebsrmvn_2xn_kernelILj128ELj6ELj32EfEEvi20rocsparse_direction_NS_24const_host_device_scalarIT2_EEPKiS6_PKS3_S8_S4_PS3_21rocsparse_index_base_b ; -- Begin function _ZN9rocsparseL19gebsrmvn_2xn_kernelILj128ELj6ELj32EfEEvi20rocsparse_direction_NS_24const_host_device_scalarIT2_EEPKiS6_PKS3_S8_S4_PS3_21rocsparse_index_base_b
	.p2align	8
	.type	_ZN9rocsparseL19gebsrmvn_2xn_kernelILj128ELj6ELj32EfEEvi20rocsparse_direction_NS_24const_host_device_scalarIT2_EEPKiS6_PKS3_S8_S4_PS3_21rocsparse_index_base_b,@function
_ZN9rocsparseL19gebsrmvn_2xn_kernelILj128ELj6ELj32EfEEvi20rocsparse_direction_NS_24const_host_device_scalarIT2_EEPKiS6_PKS3_S8_S4_PS3_21rocsparse_index_base_b: ; @_ZN9rocsparseL19gebsrmvn_2xn_kernelILj128ELj6ELj32EfEEvi20rocsparse_direction_NS_24const_host_device_scalarIT2_EEPKiS6_PKS3_S8_S4_PS3_21rocsparse_index_base_b
; %bb.0:
	s_clause 0x2
	s_load_b64 s[18:19], s[0:1], 0x40
	s_load_b64 s[16:17], s[0:1], 0x8
	;; [unrolled: 1-line block ×3, first 2 shown]
	s_waitcnt lgkmcnt(0)
	s_bitcmp1_b32 s19, 0
	s_cselect_b32 s2, -1, 0
	s_delay_alu instid0(SALU_CYCLE_1)
	s_and_b32 vcc_lo, exec_lo, s2
	s_xor_b32 s2, s2, -1
	s_cbranch_vccnz .LBB23_2
; %bb.1:
	s_load_b32 s16, s[16:17], 0x0
.LBB23_2:
	s_and_not1_b32 vcc_lo, exec_lo, s2
	s_cbranch_vccnz .LBB23_4
; %bb.3:
	s_load_b32 s12, s[12:13], 0x0
.LBB23_4:
	s_waitcnt lgkmcnt(0)
	v_cmp_eq_f32_e64 s2, s16, 0
	v_cmp_eq_f32_e64 s3, s12, 1.0
	s_delay_alu instid0(VALU_DEP_1) | instskip(NEXT) | instid1(SALU_CYCLE_1)
	s_and_b32 s2, s2, s3
	s_and_b32 vcc_lo, exec_lo, s2
	s_cbranch_vccnz .LBB23_23
; %bb.5:
	s_load_b64 s[2:3], s[0:1], 0x0
	v_lshrrev_b32_e32 v1, 5, v0
	s_delay_alu instid0(VALU_DEP_1) | instskip(SKIP_1) | instid1(VALU_DEP_1)
	v_lshl_or_b32 v1, s15, 2, v1
	s_waitcnt lgkmcnt(0)
	v_cmp_gt_i32_e32 vcc_lo, s2, v1
	s_and_saveexec_b32 s2, vcc_lo
	s_cbranch_execz .LBB23_23
; %bb.6:
	s_load_b256 s[4:11], s[0:1], 0x10
	v_ashrrev_i32_e32 v2, 31, v1
	v_and_b32_e32 v0, 31, v0
	s_cmp_lg_u32 s3, 0
	s_delay_alu instid0(VALU_DEP_2) | instskip(SKIP_1) | instid1(VALU_DEP_1)
	v_lshlrev_b64 v[2:3], 2, v[1:2]
	s_waitcnt lgkmcnt(0)
	v_add_co_u32 v2, vcc_lo, s4, v2
	s_delay_alu instid0(VALU_DEP_2) | instskip(SKIP_4) | instid1(VALU_DEP_2)
	v_add_co_ci_u32_e32 v3, vcc_lo, s5, v3, vcc_lo
	global_load_b64 v[2:3], v[2:3], off
	s_waitcnt vmcnt(0)
	v_subrev_nc_u32_e32 v2, s18, v2
	v_subrev_nc_u32_e32 v11, s18, v3
	v_add_nc_u32_e32 v2, v2, v0
	s_delay_alu instid0(VALU_DEP_1)
	v_cmp_lt_i32_e64 s2, v2, v11
	s_cbranch_scc0 .LBB23_12
; %bb.7:
	v_dual_mov_b32 v9, 0 :: v_dual_mov_b32 v10, 0
	s_mov_b32 s4, 0
	s_delay_alu instid0(VALU_DEP_2)
	s_and_saveexec_b32 s5, s2
	s_cbranch_execz .LBB23_11
; %bb.8:
	v_mad_u64_u32 v[3:4], null, v2, 12, 10
	v_dual_mov_b32 v6, 0 :: v_dual_mov_b32 v7, v2
	v_dual_mov_b32 v9, 0 :: v_dual_mov_b32 v10, 0
	s_mov_b32 s13, 0
.LBB23_9:                               ; =>This Inner Loop Header: Depth=1
	s_delay_alu instid0(VALU_DEP_2) | instskip(NEXT) | instid1(VALU_DEP_1)
	v_ashrrev_i32_e32 v8, 31, v7
	v_lshlrev_b64 v[4:5], 2, v[7:8]
	v_add_nc_u32_e32 v7, 32, v7
	s_delay_alu instid0(VALU_DEP_2) | instskip(NEXT) | instid1(VALU_DEP_3)
	v_add_co_u32 v4, vcc_lo, s6, v4
	v_add_co_ci_u32_e32 v5, vcc_lo, s7, v5, vcc_lo
	global_load_b32 v8, v[4:5], off
	v_dual_mov_b32 v4, v6 :: v_dual_add_nc_u32 v5, -10, v3
	s_delay_alu instid0(VALU_DEP_1) | instskip(SKIP_1) | instid1(VALU_DEP_3)
	v_lshlrev_b64 v[12:13], 2, v[5:6]
	v_add_nc_u32_e32 v5, -6, v3
	v_lshlrev_b64 v[18:19], 2, v[3:4]
	s_delay_alu instid0(VALU_DEP_2) | instskip(NEXT) | instid1(VALU_DEP_4)
	v_lshlrev_b64 v[4:5], 2, v[5:6]
	v_add_co_u32 v12, vcc_lo, s8, v12
	v_add_co_ci_u32_e32 v13, vcc_lo, s9, v13, vcc_lo
	s_delay_alu instid0(VALU_DEP_4) | instskip(NEXT) | instid1(VALU_DEP_4)
	v_add_co_u32 v18, vcc_lo, s8, v18
	v_add_co_u32 v4, s3, s8, v4
	s_delay_alu instid0(VALU_DEP_1)
	v_add_co_ci_u32_e64 v5, s3, s9, v5, s3
	s_clause 0x1
	global_load_b128 v[12:15], v[12:13], off
	global_load_b64 v[20:21], v[4:5], off
	v_mov_b32_e32 v17, v6
	v_add_co_ci_u32_e32 v19, vcc_lo, s9, v19, vcc_lo
	v_cmp_ge_i32_e32 vcc_lo, v7, v11
	s_or_b32 s13, vcc_lo, s13
	s_waitcnt vmcnt(2)
	v_subrev_nc_u32_e32 v4, s18, v8
	s_delay_alu instid0(VALU_DEP_1) | instskip(NEXT) | instid1(VALU_DEP_1)
	v_mul_lo_u32 v16, v4, 6
	v_lshlrev_b64 v[22:23], 2, v[16:17]
	s_delay_alu instid0(VALU_DEP_1) | instskip(NEXT) | instid1(VALU_DEP_1)
	v_add_co_u32 v22, s3, s10, v22
	v_add_co_ci_u32_e64 v23, s3, s11, v23, s3
	global_load_b64 v[22:23], v[22:23], off
	v_add_nc_u32_e32 v5, 2, v16
	s_delay_alu instid0(VALU_DEP_1) | instskip(NEXT) | instid1(VALU_DEP_1)
	v_lshlrev_b64 v[24:25], 2, v[5:6]
	v_add_co_u32 v24, s3, s10, v24
	s_delay_alu instid0(VALU_DEP_1) | instskip(SKIP_3) | instid1(VALU_DEP_1)
	v_add_co_ci_u32_e64 v25, s3, s11, v25, s3
	global_load_b64 v[24:25], v[24:25], off
	s_waitcnt vmcnt(1)
	v_fmac_f32_e32 v10, v13, v22
	v_fmac_f32_e32 v10, v15, v23
	s_waitcnt vmcnt(0)
	s_delay_alu instid0(VALU_DEP_1) | instskip(NEXT) | instid1(VALU_DEP_1)
	v_dual_fmac_f32 v10, v21, v24 :: v_dual_add_nc_u32 v5, -4, v3
	v_lshlrev_b64 v[26:27], 2, v[5:6]
	v_add_nc_u32_e32 v5, -2, v3
	v_add_nc_u32_e32 v3, 0x180, v3
	s_delay_alu instid0(VALU_DEP_2) | instskip(SKIP_2) | instid1(VALU_DEP_1)
	v_lshlrev_b64 v[28:29], 2, v[5:6]
	v_add_nc_u32_e32 v5, 4, v16
	v_add_co_u32 v16, s3, s8, v26
	v_add_co_ci_u32_e64 v17, s3, s9, v27, s3
	s_delay_alu instid0(VALU_DEP_3) | instskip(SKIP_1) | instid1(VALU_DEP_1)
	v_lshlrev_b64 v[4:5], 2, v[5:6]
	v_add_co_u32 v26, s3, s8, v28
	v_add_co_ci_u32_e64 v27, s3, s9, v29, s3
	global_load_b64 v[16:17], v[16:17], off
	v_add_co_u32 v4, s3, s10, v4
	s_delay_alu instid0(VALU_DEP_1)
	v_add_co_ci_u32_e64 v5, s3, s11, v5, s3
	global_load_b64 v[26:27], v[26:27], off
	global_load_b64 v[4:5], v[4:5], off
	;; [unrolled: 1-line block ×3, first 2 shown]
	s_waitcnt vmcnt(3)
	v_fmac_f32_e32 v10, v17, v25
	s_waitcnt vmcnt(1)
	s_delay_alu instid0(VALU_DEP_1) | instskip(SKIP_1) | instid1(VALU_DEP_1)
	v_dual_fmac_f32 v10, v27, v4 :: v_dual_fmac_f32 v9, v12, v22
	s_waitcnt vmcnt(0)
	v_dual_fmac_f32 v10, v19, v5 :: v_dual_fmac_f32 v9, v14, v23
	s_delay_alu instid0(VALU_DEP_1) | instskip(NEXT) | instid1(VALU_DEP_1)
	v_fmac_f32_e32 v9, v20, v24
	v_fmac_f32_e32 v9, v16, v25
	s_delay_alu instid0(VALU_DEP_1) | instskip(NEXT) | instid1(VALU_DEP_1)
	v_fmac_f32_e32 v9, v26, v4
	v_fmac_f32_e32 v9, v18, v5
	s_and_not1_b32 exec_lo, exec_lo, s13
	s_cbranch_execnz .LBB23_9
; %bb.10:
	s_or_b32 exec_lo, exec_lo, s13
.LBB23_11:
	s_delay_alu instid0(SALU_CYCLE_1) | instskip(NEXT) | instid1(SALU_CYCLE_1)
	s_or_b32 exec_lo, exec_lo, s5
	s_and_not1_b32 vcc_lo, exec_lo, s4
	s_cbranch_vccz .LBB23_13
	s_branch .LBB23_18
.LBB23_12:
                                        ; implicit-def: $vgpr9
                                        ; implicit-def: $vgpr10
.LBB23_13:
	v_dual_mov_b32 v9, 0 :: v_dual_mov_b32 v10, 0
	s_delay_alu instid0(VALU_DEP_2)
	s_and_saveexec_b32 s3, s2
	s_cbranch_execz .LBB23_17
; %bb.14:
	v_mad_u64_u32 v[4:5], null, v2, 12, 11
	v_dual_mov_b32 v7, 0 :: v_dual_mov_b32 v10, 0
	v_mov_b32_e32 v9, 0
	s_mov_b32 s2, 0
.LBB23_15:                              ; =>This Inner Loop Header: Depth=1
	v_ashrrev_i32_e32 v3, 31, v2
	s_delay_alu instid0(VALU_DEP_3) | instskip(SKIP_1) | instid1(VALU_DEP_3)
	v_dual_mov_b32 v13, v7 :: v_dual_add_nc_u32 v12, -5, v4
	v_mov_b32_e32 v17, v7
	v_lshlrev_b64 v[5:6], 2, v[2:3]
	v_add_nc_u32_e32 v2, 32, v2
	s_delay_alu instid0(VALU_DEP_4) | instskip(NEXT) | instid1(VALU_DEP_3)
	v_lshlrev_b64 v[12:13], 2, v[12:13]
	v_add_co_u32 v5, vcc_lo, s6, v5
	s_delay_alu instid0(VALU_DEP_4) | instskip(SKIP_2) | instid1(VALU_DEP_1)
	v_add_co_ci_u32_e32 v6, vcc_lo, s7, v6, vcc_lo
	global_load_b32 v3, v[5:6], off
	v_dual_mov_b32 v5, v7 :: v_dual_add_nc_u32 v6, -11, v4
	v_lshlrev_b64 v[14:15], 2, v[6:7]
	v_add_nc_u32_e32 v6, -4, v4
	s_delay_alu instid0(VALU_DEP_3) | instskip(NEXT) | instid1(VALU_DEP_2)
	v_lshlrev_b64 v[18:19], 2, v[4:5]
	v_lshlrev_b64 v[5:6], 2, v[6:7]
	s_delay_alu instid0(VALU_DEP_4)
	v_add_co_u32 v14, vcc_lo, s8, v14
	v_add_co_ci_u32_e32 v15, vcc_lo, s9, v15, vcc_lo
	v_add_co_u32 v20, vcc_lo, s8, v12
	v_add_co_ci_u32_e32 v21, vcc_lo, s9, v13, vcc_lo
	v_add_co_u32 v18, vcc_lo, s8, v18
	v_add_co_ci_u32_e32 v19, vcc_lo, s9, v19, vcc_lo
	v_add_co_u32 v5, vcc_lo, s8, v5
	v_add_co_ci_u32_e32 v6, vcc_lo, s9, v6, vcc_lo
	s_clause 0x2
	global_load_b128 v[12:15], v[14:15], off
	global_load_b32 v8, v[20:21], off
	global_load_b32 v30, v[5:6], off
	s_waitcnt vmcnt(3)
	v_subrev_nc_u32_e32 v3, s18, v3
	s_delay_alu instid0(VALU_DEP_1) | instskip(NEXT) | instid1(VALU_DEP_1)
	v_mul_lo_u32 v16, v3, 6
	v_lshlrev_b64 v[20:21], 2, v[16:17]
	s_delay_alu instid0(VALU_DEP_1) | instskip(NEXT) | instid1(VALU_DEP_2)
	v_add_co_u32 v20, vcc_lo, s10, v20
	v_add_co_ci_u32_e32 v21, vcc_lo, s11, v21, vcc_lo
	global_load_b64 v[20:21], v[20:21], off
	v_add_nc_u32_e32 v6, 2, v16
	s_delay_alu instid0(VALU_DEP_1) | instskip(NEXT) | instid1(VALU_DEP_1)
	v_lshlrev_b64 v[22:23], 2, v[6:7]
	v_add_co_u32 v22, vcc_lo, s10, v22
	s_delay_alu instid0(VALU_DEP_2) | instskip(SKIP_3) | instid1(VALU_DEP_1)
	v_add_co_ci_u32_e32 v23, vcc_lo, s11, v23, vcc_lo
	global_load_b64 v[22:23], v[22:23], off
	s_waitcnt vmcnt(1)
	v_fmac_f32_e32 v10, v8, v20
	v_dual_fmac_f32 v9, v12, v20 :: v_dual_fmac_f32 v10, v30, v21
	s_delay_alu instid0(VALU_DEP_1) | instskip(SKIP_1) | instid1(VALU_DEP_1)
	v_dual_fmac_f32 v9, v13, v21 :: v_dual_add_nc_u32 v6, -3, v4
	s_waitcnt vmcnt(0)
	v_fmac_f32_e32 v9, v14, v22
	s_delay_alu instid0(VALU_DEP_2) | instskip(NEXT) | instid1(VALU_DEP_2)
	v_lshlrev_b64 v[24:25], 2, v[6:7]
	v_dual_fmac_f32 v9, v15, v23 :: v_dual_add_nc_u32 v6, -2, v4
	s_delay_alu instid0(VALU_DEP_1) | instskip(SKIP_1) | instid1(VALU_DEP_4)
	v_lshlrev_b64 v[26:27], 2, v[6:7]
	v_add_nc_u32_e32 v6, -7, v4
	v_add_co_u32 v24, vcc_lo, s8, v24
	v_add_co_ci_u32_e32 v25, vcc_lo, s9, v25, vcc_lo
	s_delay_alu instid0(VALU_DEP_3)
	v_lshlrev_b64 v[28:29], 2, v[6:7]
	v_add_nc_u32_e32 v6, 4, v16
	v_add_co_u32 v16, vcc_lo, s8, v26
	v_add_co_ci_u32_e32 v17, vcc_lo, s9, v27, vcc_lo
	global_load_b32 v3, v[24:25], off
	v_lshlrev_b64 v[24:25], 2, v[6:7]
	v_add_nc_u32_e32 v6, -1, v4
	global_load_b32 v31, v[16:17], off
	v_add_co_u32 v16, vcc_lo, s8, v28
	v_add_co_ci_u32_e32 v17, vcc_lo, s9, v29, vcc_lo
	v_lshlrev_b64 v[26:27], 2, v[6:7]
	v_add_nc_u32_e32 v6, -6, v4
	v_add_co_u32 v24, vcc_lo, s10, v24
	v_add_co_ci_u32_e32 v25, vcc_lo, s11, v25, vcc_lo
	s_delay_alu instid0(VALU_DEP_3)
	v_lshlrev_b64 v[5:6], 2, v[6:7]
	global_load_b32 v28, v[16:17], off
	v_add_nc_u32_e32 v4, 0x180, v4
	global_load_b64 v[16:17], v[24:25], off
	v_add_co_u32 v24, vcc_lo, s8, v26
	v_add_co_ci_u32_e32 v25, vcc_lo, s9, v27, vcc_lo
	v_add_co_u32 v5, vcc_lo, s8, v5
	v_add_co_ci_u32_e32 v6, vcc_lo, s9, v6, vcc_lo
	s_clause 0x2
	global_load_b32 v24, v[24:25], off
	global_load_b32 v5, v[5:6], off
	global_load_b32 v6, v[18:19], off
	v_cmp_ge_i32_e32 vcc_lo, v2, v11
	s_or_b32 s2, vcc_lo, s2
	s_waitcnt vmcnt(3)
	v_dual_fmac_f32 v10, v3, v22 :: v_dual_fmac_f32 v9, v28, v16
	s_delay_alu instid0(VALU_DEP_1) | instskip(SKIP_1) | instid1(VALU_DEP_1)
	v_fmac_f32_e32 v10, v31, v23
	s_waitcnt vmcnt(1)
	v_dual_fmac_f32 v10, v24, v16 :: v_dual_fmac_f32 v9, v5, v17
	s_waitcnt vmcnt(0)
	s_delay_alu instid0(VALU_DEP_1)
	v_fmac_f32_e32 v10, v6, v17
	s_and_not1_b32 exec_lo, exec_lo, s2
	s_cbranch_execnz .LBB23_15
; %bb.16:
	s_or_b32 exec_lo, exec_lo, s2
.LBB23_17:
	s_delay_alu instid0(SALU_CYCLE_1)
	s_or_b32 exec_lo, exec_lo, s3
.LBB23_18:
	v_mbcnt_lo_u32_b32 v2, -1, 0
	s_mov_b32 s2, -1
	s_delay_alu instid0(VALU_DEP_1) | instskip(SKIP_2) | instid1(VALU_DEP_3)
	v_xor_b32_e32 v3, 16, v2
	v_xor_b32_e32 v5, 8, v2
	;; [unrolled: 1-line block ×3, first 2 shown]
	v_cmp_gt_i32_e32 vcc_lo, 32, v3
	v_cndmask_b32_e32 v3, v2, v3, vcc_lo
	s_delay_alu instid0(VALU_DEP_4) | instskip(NEXT) | instid1(VALU_DEP_2)
	v_cmp_gt_i32_e32 vcc_lo, 32, v5
	v_lshlrev_b32_e32 v3, 2, v3
	v_cndmask_b32_e32 v5, v2, v5, vcc_lo
	v_cmp_gt_i32_e32 vcc_lo, 32, v7
	ds_bpermute_b32 v4, v3, v9
	v_lshlrev_b32_e32 v5, 2, v5
	v_cndmask_b32_e32 v7, v2, v7, vcc_lo
	s_waitcnt lgkmcnt(0)
	s_delay_alu instid0(VALU_DEP_1)
	v_dual_add_f32 v4, v9, v4 :: v_dual_lshlrev_b32 v7, 2, v7
	ds_bpermute_b32 v6, v5, v4
	s_waitcnt lgkmcnt(0)
	v_add_f32_e32 v4, v4, v6
	ds_bpermute_b32 v3, v3, v10
	s_waitcnt lgkmcnt(0)
	v_add_f32_e32 v3, v10, v3
	;; [unrolled: 3-line block ×3, first 2 shown]
	ds_bpermute_b32 v5, v7, v4
	ds_bpermute_b32 v6, v7, v3
	v_xor_b32_e32 v7, 2, v2
	s_delay_alu instid0(VALU_DEP_1) | instskip(SKIP_2) | instid1(VALU_DEP_1)
	v_cmp_gt_i32_e32 vcc_lo, 32, v7
	s_waitcnt lgkmcnt(1)
	v_dual_cndmask_b32 v7, v2, v7 :: v_dual_add_f32 v4, v4, v5
	v_lshlrev_b32_e32 v7, 2, v7
	s_waitcnt lgkmcnt(0)
	v_add_f32_e32 v3, v3, v6
	ds_bpermute_b32 v5, v7, v4
	ds_bpermute_b32 v6, v7, v3
	v_xor_b32_e32 v7, 1, v2
	s_delay_alu instid0(VALU_DEP_1) | instskip(SKIP_3) | instid1(VALU_DEP_2)
	v_cmp_gt_i32_e32 vcc_lo, 32, v7
	v_cndmask_b32_e32 v2, v2, v7, vcc_lo
	v_cmp_eq_u32_e32 vcc_lo, 31, v0
	s_waitcnt lgkmcnt(1)
	v_dual_add_f32 v2, v4, v5 :: v_dual_lshlrev_b32 v7, 2, v2
	s_waitcnt lgkmcnt(0)
	v_add_f32_e32 v3, v3, v6
	ds_bpermute_b32 v4, v7, v2
	ds_bpermute_b32 v5, v7, v3
	s_and_b32 exec_lo, exec_lo, vcc_lo
	s_cbranch_execz .LBB23_23
; %bb.19:
	s_load_b64 s[0:1], s[0:1], 0x38
	s_waitcnt lgkmcnt(0)
	v_dual_add_f32 v0, v2, v4 :: v_dual_add_f32 v3, v3, v5
	v_cmp_eq_f32_e64 s3, s12, 0
	s_delay_alu instid0(VALU_DEP_2) | instskip(SKIP_1) | instid1(VALU_DEP_3)
	v_dual_mul_f32 v2, s16, v0 :: v_dual_mul_f32 v3, s16, v3
	v_lshlrev_b32_e32 v0, 1, v1
	s_and_b32 vcc_lo, exec_lo, s3
	s_cbranch_vccz .LBB23_21
; %bb.20:
	s_delay_alu instid0(VALU_DEP_1) | instskip(SKIP_1) | instid1(VALU_DEP_1)
	v_ashrrev_i32_e32 v1, 31, v0
	s_mov_b32 s2, 0
	v_lshlrev_b64 v[4:5], 2, v[0:1]
	s_delay_alu instid0(VALU_DEP_1) | instskip(NEXT) | instid1(VALU_DEP_2)
	v_add_co_u32 v4, vcc_lo, s0, v4
	v_add_co_ci_u32_e32 v5, vcc_lo, s1, v5, vcc_lo
	global_store_b64 v[4:5], v[2:3], off
.LBB23_21:
	s_and_not1_b32 vcc_lo, exec_lo, s2
	s_cbranch_vccnz .LBB23_23
; %bb.22:
	v_ashrrev_i32_e32 v1, 31, v0
	s_delay_alu instid0(VALU_DEP_1) | instskip(NEXT) | instid1(VALU_DEP_1)
	v_lshlrev_b64 v[0:1], 2, v[0:1]
	v_add_co_u32 v0, vcc_lo, s0, v0
	s_delay_alu instid0(VALU_DEP_2)
	v_add_co_ci_u32_e32 v1, vcc_lo, s1, v1, vcc_lo
	global_load_b64 v[4:5], v[0:1], off
	s_waitcnt vmcnt(0)
	v_dual_fmac_f32 v2, s12, v4 :: v_dual_fmac_f32 v3, s12, v5
	global_store_b64 v[0:1], v[2:3], off
.LBB23_23:
	s_nop 0
	s_sendmsg sendmsg(MSG_DEALLOC_VGPRS)
	s_endpgm
	.section	.rodata,"a",@progbits
	.p2align	6, 0x0
	.amdhsa_kernel _ZN9rocsparseL19gebsrmvn_2xn_kernelILj128ELj6ELj32EfEEvi20rocsparse_direction_NS_24const_host_device_scalarIT2_EEPKiS6_PKS3_S8_S4_PS3_21rocsparse_index_base_b
		.amdhsa_group_segment_fixed_size 0
		.amdhsa_private_segment_fixed_size 0
		.amdhsa_kernarg_size 72
		.amdhsa_user_sgpr_count 15
		.amdhsa_user_sgpr_dispatch_ptr 0
		.amdhsa_user_sgpr_queue_ptr 0
		.amdhsa_user_sgpr_kernarg_segment_ptr 1
		.amdhsa_user_sgpr_dispatch_id 0
		.amdhsa_user_sgpr_private_segment_size 0
		.amdhsa_wavefront_size32 1
		.amdhsa_uses_dynamic_stack 0
		.amdhsa_enable_private_segment 0
		.amdhsa_system_sgpr_workgroup_id_x 1
		.amdhsa_system_sgpr_workgroup_id_y 0
		.amdhsa_system_sgpr_workgroup_id_z 0
		.amdhsa_system_sgpr_workgroup_info 0
		.amdhsa_system_vgpr_workitem_id 0
		.amdhsa_next_free_vgpr 32
		.amdhsa_next_free_sgpr 20
		.amdhsa_reserve_vcc 1
		.amdhsa_float_round_mode_32 0
		.amdhsa_float_round_mode_16_64 0
		.amdhsa_float_denorm_mode_32 3
		.amdhsa_float_denorm_mode_16_64 3
		.amdhsa_dx10_clamp 1
		.amdhsa_ieee_mode 1
		.amdhsa_fp16_overflow 0
		.amdhsa_workgroup_processor_mode 1
		.amdhsa_memory_ordered 1
		.amdhsa_forward_progress 0
		.amdhsa_shared_vgpr_count 0
		.amdhsa_exception_fp_ieee_invalid_op 0
		.amdhsa_exception_fp_denorm_src 0
		.amdhsa_exception_fp_ieee_div_zero 0
		.amdhsa_exception_fp_ieee_overflow 0
		.amdhsa_exception_fp_ieee_underflow 0
		.amdhsa_exception_fp_ieee_inexact 0
		.amdhsa_exception_int_div_zero 0
	.end_amdhsa_kernel
	.section	.text._ZN9rocsparseL19gebsrmvn_2xn_kernelILj128ELj6ELj32EfEEvi20rocsparse_direction_NS_24const_host_device_scalarIT2_EEPKiS6_PKS3_S8_S4_PS3_21rocsparse_index_base_b,"axG",@progbits,_ZN9rocsparseL19gebsrmvn_2xn_kernelILj128ELj6ELj32EfEEvi20rocsparse_direction_NS_24const_host_device_scalarIT2_EEPKiS6_PKS3_S8_S4_PS3_21rocsparse_index_base_b,comdat
.Lfunc_end23:
	.size	_ZN9rocsparseL19gebsrmvn_2xn_kernelILj128ELj6ELj32EfEEvi20rocsparse_direction_NS_24const_host_device_scalarIT2_EEPKiS6_PKS3_S8_S4_PS3_21rocsparse_index_base_b, .Lfunc_end23-_ZN9rocsparseL19gebsrmvn_2xn_kernelILj128ELj6ELj32EfEEvi20rocsparse_direction_NS_24const_host_device_scalarIT2_EEPKiS6_PKS3_S8_S4_PS3_21rocsparse_index_base_b
                                        ; -- End function
	.section	.AMDGPU.csdata,"",@progbits
; Kernel info:
; codeLenInByte = 1924
; NumSgprs: 22
; NumVgprs: 32
; ScratchSize: 0
; MemoryBound: 0
; FloatMode: 240
; IeeeMode: 1
; LDSByteSize: 0 bytes/workgroup (compile time only)
; SGPRBlocks: 2
; VGPRBlocks: 3
; NumSGPRsForWavesPerEU: 22
; NumVGPRsForWavesPerEU: 32
; Occupancy: 16
; WaveLimiterHint : 1
; COMPUTE_PGM_RSRC2:SCRATCH_EN: 0
; COMPUTE_PGM_RSRC2:USER_SGPR: 15
; COMPUTE_PGM_RSRC2:TRAP_HANDLER: 0
; COMPUTE_PGM_RSRC2:TGID_X_EN: 1
; COMPUTE_PGM_RSRC2:TGID_Y_EN: 0
; COMPUTE_PGM_RSRC2:TGID_Z_EN: 0
; COMPUTE_PGM_RSRC2:TIDIG_COMP_CNT: 0
	.section	.text._ZN9rocsparseL19gebsrmvn_2xn_kernelILj128ELj6ELj64EfEEvi20rocsparse_direction_NS_24const_host_device_scalarIT2_EEPKiS6_PKS3_S8_S4_PS3_21rocsparse_index_base_b,"axG",@progbits,_ZN9rocsparseL19gebsrmvn_2xn_kernelILj128ELj6ELj64EfEEvi20rocsparse_direction_NS_24const_host_device_scalarIT2_EEPKiS6_PKS3_S8_S4_PS3_21rocsparse_index_base_b,comdat
	.globl	_ZN9rocsparseL19gebsrmvn_2xn_kernelILj128ELj6ELj64EfEEvi20rocsparse_direction_NS_24const_host_device_scalarIT2_EEPKiS6_PKS3_S8_S4_PS3_21rocsparse_index_base_b ; -- Begin function _ZN9rocsparseL19gebsrmvn_2xn_kernelILj128ELj6ELj64EfEEvi20rocsparse_direction_NS_24const_host_device_scalarIT2_EEPKiS6_PKS3_S8_S4_PS3_21rocsparse_index_base_b
	.p2align	8
	.type	_ZN9rocsparseL19gebsrmvn_2xn_kernelILj128ELj6ELj64EfEEvi20rocsparse_direction_NS_24const_host_device_scalarIT2_EEPKiS6_PKS3_S8_S4_PS3_21rocsparse_index_base_b,@function
_ZN9rocsparseL19gebsrmvn_2xn_kernelILj128ELj6ELj64EfEEvi20rocsparse_direction_NS_24const_host_device_scalarIT2_EEPKiS6_PKS3_S8_S4_PS3_21rocsparse_index_base_b: ; @_ZN9rocsparseL19gebsrmvn_2xn_kernelILj128ELj6ELj64EfEEvi20rocsparse_direction_NS_24const_host_device_scalarIT2_EEPKiS6_PKS3_S8_S4_PS3_21rocsparse_index_base_b
; %bb.0:
	s_clause 0x2
	s_load_b64 s[18:19], s[0:1], 0x40
	s_load_b64 s[16:17], s[0:1], 0x8
	;; [unrolled: 1-line block ×3, first 2 shown]
	s_waitcnt lgkmcnt(0)
	s_bitcmp1_b32 s19, 0
	s_cselect_b32 s2, -1, 0
	s_delay_alu instid0(SALU_CYCLE_1)
	s_and_b32 vcc_lo, exec_lo, s2
	s_xor_b32 s2, s2, -1
	s_cbranch_vccnz .LBB24_2
; %bb.1:
	s_load_b32 s16, s[16:17], 0x0
.LBB24_2:
	s_and_not1_b32 vcc_lo, exec_lo, s2
	s_cbranch_vccnz .LBB24_4
; %bb.3:
	s_load_b32 s12, s[12:13], 0x0
.LBB24_4:
	s_waitcnt lgkmcnt(0)
	v_cmp_eq_f32_e64 s2, s16, 0
	v_cmp_eq_f32_e64 s3, s12, 1.0
	s_delay_alu instid0(VALU_DEP_1) | instskip(NEXT) | instid1(SALU_CYCLE_1)
	s_and_b32 s2, s2, s3
	s_and_b32 vcc_lo, exec_lo, s2
	s_cbranch_vccnz .LBB24_23
; %bb.5:
	s_load_b64 s[2:3], s[0:1], 0x0
	v_lshrrev_b32_e32 v1, 6, v0
	s_delay_alu instid0(VALU_DEP_1) | instskip(SKIP_1) | instid1(VALU_DEP_1)
	v_lshl_or_b32 v1, s15, 1, v1
	s_waitcnt lgkmcnt(0)
	v_cmp_gt_i32_e32 vcc_lo, s2, v1
	s_and_saveexec_b32 s2, vcc_lo
	s_cbranch_execz .LBB24_23
; %bb.6:
	s_load_b256 s[4:11], s[0:1], 0x10
	v_ashrrev_i32_e32 v2, 31, v1
	v_and_b32_e32 v0, 63, v0
	s_cmp_lg_u32 s3, 0
	s_delay_alu instid0(VALU_DEP_2) | instskip(SKIP_1) | instid1(VALU_DEP_1)
	v_lshlrev_b64 v[2:3], 2, v[1:2]
	s_waitcnt lgkmcnt(0)
	v_add_co_u32 v2, vcc_lo, s4, v2
	s_delay_alu instid0(VALU_DEP_2) | instskip(SKIP_4) | instid1(VALU_DEP_2)
	v_add_co_ci_u32_e32 v3, vcc_lo, s5, v3, vcc_lo
	global_load_b64 v[2:3], v[2:3], off
	s_waitcnt vmcnt(0)
	v_subrev_nc_u32_e32 v2, s18, v2
	v_subrev_nc_u32_e32 v11, s18, v3
	v_add_nc_u32_e32 v2, v2, v0
	s_delay_alu instid0(VALU_DEP_1)
	v_cmp_lt_i32_e64 s2, v2, v11
	s_cbranch_scc0 .LBB24_12
; %bb.7:
	v_dual_mov_b32 v9, 0 :: v_dual_mov_b32 v10, 0
	s_mov_b32 s4, 0
	s_delay_alu instid0(VALU_DEP_2)
	s_and_saveexec_b32 s5, s2
	s_cbranch_execz .LBB24_11
; %bb.8:
	v_mad_u64_u32 v[3:4], null, v2, 12, 10
	v_dual_mov_b32 v6, 0 :: v_dual_mov_b32 v7, v2
	v_dual_mov_b32 v9, 0 :: v_dual_mov_b32 v10, 0
	s_mov_b32 s13, 0
.LBB24_9:                               ; =>This Inner Loop Header: Depth=1
	s_delay_alu instid0(VALU_DEP_2) | instskip(NEXT) | instid1(VALU_DEP_1)
	v_ashrrev_i32_e32 v8, 31, v7
	v_lshlrev_b64 v[4:5], 2, v[7:8]
	v_add_nc_u32_e32 v7, 64, v7
	s_delay_alu instid0(VALU_DEP_2) | instskip(NEXT) | instid1(VALU_DEP_3)
	v_add_co_u32 v4, vcc_lo, s6, v4
	v_add_co_ci_u32_e32 v5, vcc_lo, s7, v5, vcc_lo
	global_load_b32 v8, v[4:5], off
	v_dual_mov_b32 v4, v6 :: v_dual_add_nc_u32 v5, -10, v3
	s_delay_alu instid0(VALU_DEP_1) | instskip(SKIP_1) | instid1(VALU_DEP_3)
	v_lshlrev_b64 v[12:13], 2, v[5:6]
	v_add_nc_u32_e32 v5, -6, v3
	v_lshlrev_b64 v[18:19], 2, v[3:4]
	s_delay_alu instid0(VALU_DEP_2) | instskip(NEXT) | instid1(VALU_DEP_4)
	v_lshlrev_b64 v[4:5], 2, v[5:6]
	v_add_co_u32 v12, vcc_lo, s8, v12
	v_add_co_ci_u32_e32 v13, vcc_lo, s9, v13, vcc_lo
	s_delay_alu instid0(VALU_DEP_4) | instskip(NEXT) | instid1(VALU_DEP_4)
	v_add_co_u32 v18, vcc_lo, s8, v18
	v_add_co_u32 v4, s3, s8, v4
	s_delay_alu instid0(VALU_DEP_1)
	v_add_co_ci_u32_e64 v5, s3, s9, v5, s3
	s_clause 0x1
	global_load_b128 v[12:15], v[12:13], off
	global_load_b64 v[20:21], v[4:5], off
	v_mov_b32_e32 v17, v6
	v_add_co_ci_u32_e32 v19, vcc_lo, s9, v19, vcc_lo
	v_cmp_ge_i32_e32 vcc_lo, v7, v11
	s_or_b32 s13, vcc_lo, s13
	s_waitcnt vmcnt(2)
	v_subrev_nc_u32_e32 v4, s18, v8
	s_delay_alu instid0(VALU_DEP_1) | instskip(NEXT) | instid1(VALU_DEP_1)
	v_mul_lo_u32 v16, v4, 6
	v_lshlrev_b64 v[22:23], 2, v[16:17]
	s_delay_alu instid0(VALU_DEP_1) | instskip(NEXT) | instid1(VALU_DEP_1)
	v_add_co_u32 v22, s3, s10, v22
	v_add_co_ci_u32_e64 v23, s3, s11, v23, s3
	global_load_b64 v[22:23], v[22:23], off
	v_add_nc_u32_e32 v5, 2, v16
	s_delay_alu instid0(VALU_DEP_1) | instskip(NEXT) | instid1(VALU_DEP_1)
	v_lshlrev_b64 v[24:25], 2, v[5:6]
	v_add_co_u32 v24, s3, s10, v24
	s_delay_alu instid0(VALU_DEP_1) | instskip(SKIP_3) | instid1(VALU_DEP_1)
	v_add_co_ci_u32_e64 v25, s3, s11, v25, s3
	global_load_b64 v[24:25], v[24:25], off
	s_waitcnt vmcnt(1)
	v_fmac_f32_e32 v10, v13, v22
	v_fmac_f32_e32 v10, v15, v23
	s_waitcnt vmcnt(0)
	s_delay_alu instid0(VALU_DEP_1) | instskip(NEXT) | instid1(VALU_DEP_1)
	v_dual_fmac_f32 v10, v21, v24 :: v_dual_add_nc_u32 v5, -4, v3
	v_lshlrev_b64 v[26:27], 2, v[5:6]
	v_add_nc_u32_e32 v5, -2, v3
	v_add_nc_u32_e32 v3, 0x300, v3
	s_delay_alu instid0(VALU_DEP_2) | instskip(SKIP_2) | instid1(VALU_DEP_1)
	v_lshlrev_b64 v[28:29], 2, v[5:6]
	v_add_nc_u32_e32 v5, 4, v16
	v_add_co_u32 v16, s3, s8, v26
	v_add_co_ci_u32_e64 v17, s3, s9, v27, s3
	s_delay_alu instid0(VALU_DEP_3) | instskip(SKIP_1) | instid1(VALU_DEP_1)
	v_lshlrev_b64 v[4:5], 2, v[5:6]
	v_add_co_u32 v26, s3, s8, v28
	v_add_co_ci_u32_e64 v27, s3, s9, v29, s3
	global_load_b64 v[16:17], v[16:17], off
	v_add_co_u32 v4, s3, s10, v4
	s_delay_alu instid0(VALU_DEP_1)
	v_add_co_ci_u32_e64 v5, s3, s11, v5, s3
	global_load_b64 v[26:27], v[26:27], off
	global_load_b64 v[4:5], v[4:5], off
	;; [unrolled: 1-line block ×3, first 2 shown]
	s_waitcnt vmcnt(3)
	v_fmac_f32_e32 v10, v17, v25
	s_waitcnt vmcnt(1)
	s_delay_alu instid0(VALU_DEP_1) | instskip(SKIP_1) | instid1(VALU_DEP_1)
	v_dual_fmac_f32 v10, v27, v4 :: v_dual_fmac_f32 v9, v12, v22
	s_waitcnt vmcnt(0)
	v_dual_fmac_f32 v10, v19, v5 :: v_dual_fmac_f32 v9, v14, v23
	s_delay_alu instid0(VALU_DEP_1) | instskip(NEXT) | instid1(VALU_DEP_1)
	v_fmac_f32_e32 v9, v20, v24
	v_fmac_f32_e32 v9, v16, v25
	s_delay_alu instid0(VALU_DEP_1) | instskip(NEXT) | instid1(VALU_DEP_1)
	v_fmac_f32_e32 v9, v26, v4
	v_fmac_f32_e32 v9, v18, v5
	s_and_not1_b32 exec_lo, exec_lo, s13
	s_cbranch_execnz .LBB24_9
; %bb.10:
	s_or_b32 exec_lo, exec_lo, s13
.LBB24_11:
	s_delay_alu instid0(SALU_CYCLE_1) | instskip(NEXT) | instid1(SALU_CYCLE_1)
	s_or_b32 exec_lo, exec_lo, s5
	s_and_not1_b32 vcc_lo, exec_lo, s4
	s_cbranch_vccz .LBB24_13
	s_branch .LBB24_18
.LBB24_12:
                                        ; implicit-def: $vgpr9
                                        ; implicit-def: $vgpr10
.LBB24_13:
	v_dual_mov_b32 v9, 0 :: v_dual_mov_b32 v10, 0
	s_delay_alu instid0(VALU_DEP_2)
	s_and_saveexec_b32 s3, s2
	s_cbranch_execz .LBB24_17
; %bb.14:
	v_mad_u64_u32 v[4:5], null, v2, 12, 11
	v_dual_mov_b32 v7, 0 :: v_dual_mov_b32 v10, 0
	v_mov_b32_e32 v9, 0
	s_mov_b32 s2, 0
.LBB24_15:                              ; =>This Inner Loop Header: Depth=1
	v_ashrrev_i32_e32 v3, 31, v2
	s_delay_alu instid0(VALU_DEP_3) | instskip(SKIP_1) | instid1(VALU_DEP_3)
	v_dual_mov_b32 v13, v7 :: v_dual_add_nc_u32 v12, -5, v4
	v_mov_b32_e32 v17, v7
	v_lshlrev_b64 v[5:6], 2, v[2:3]
	v_add_nc_u32_e32 v2, 64, v2
	s_delay_alu instid0(VALU_DEP_4) | instskip(NEXT) | instid1(VALU_DEP_3)
	v_lshlrev_b64 v[12:13], 2, v[12:13]
	v_add_co_u32 v5, vcc_lo, s6, v5
	s_delay_alu instid0(VALU_DEP_4) | instskip(SKIP_2) | instid1(VALU_DEP_1)
	v_add_co_ci_u32_e32 v6, vcc_lo, s7, v6, vcc_lo
	global_load_b32 v3, v[5:6], off
	v_dual_mov_b32 v5, v7 :: v_dual_add_nc_u32 v6, -11, v4
	v_lshlrev_b64 v[14:15], 2, v[6:7]
	v_add_nc_u32_e32 v6, -4, v4
	s_delay_alu instid0(VALU_DEP_3) | instskip(NEXT) | instid1(VALU_DEP_2)
	v_lshlrev_b64 v[18:19], 2, v[4:5]
	v_lshlrev_b64 v[5:6], 2, v[6:7]
	s_delay_alu instid0(VALU_DEP_4)
	v_add_co_u32 v14, vcc_lo, s8, v14
	v_add_co_ci_u32_e32 v15, vcc_lo, s9, v15, vcc_lo
	v_add_co_u32 v20, vcc_lo, s8, v12
	v_add_co_ci_u32_e32 v21, vcc_lo, s9, v13, vcc_lo
	v_add_co_u32 v18, vcc_lo, s8, v18
	v_add_co_ci_u32_e32 v19, vcc_lo, s9, v19, vcc_lo
	v_add_co_u32 v5, vcc_lo, s8, v5
	v_add_co_ci_u32_e32 v6, vcc_lo, s9, v6, vcc_lo
	s_clause 0x2
	global_load_b128 v[12:15], v[14:15], off
	global_load_b32 v8, v[20:21], off
	global_load_b32 v30, v[5:6], off
	s_waitcnt vmcnt(3)
	v_subrev_nc_u32_e32 v3, s18, v3
	s_delay_alu instid0(VALU_DEP_1) | instskip(NEXT) | instid1(VALU_DEP_1)
	v_mul_lo_u32 v16, v3, 6
	v_lshlrev_b64 v[20:21], 2, v[16:17]
	s_delay_alu instid0(VALU_DEP_1) | instskip(NEXT) | instid1(VALU_DEP_2)
	v_add_co_u32 v20, vcc_lo, s10, v20
	v_add_co_ci_u32_e32 v21, vcc_lo, s11, v21, vcc_lo
	global_load_b64 v[20:21], v[20:21], off
	v_add_nc_u32_e32 v6, 2, v16
	s_delay_alu instid0(VALU_DEP_1) | instskip(NEXT) | instid1(VALU_DEP_1)
	v_lshlrev_b64 v[22:23], 2, v[6:7]
	v_add_co_u32 v22, vcc_lo, s10, v22
	s_delay_alu instid0(VALU_DEP_2) | instskip(SKIP_3) | instid1(VALU_DEP_1)
	v_add_co_ci_u32_e32 v23, vcc_lo, s11, v23, vcc_lo
	global_load_b64 v[22:23], v[22:23], off
	s_waitcnt vmcnt(1)
	v_fmac_f32_e32 v10, v8, v20
	v_dual_fmac_f32 v9, v12, v20 :: v_dual_fmac_f32 v10, v30, v21
	s_delay_alu instid0(VALU_DEP_1) | instskip(SKIP_1) | instid1(VALU_DEP_1)
	v_dual_fmac_f32 v9, v13, v21 :: v_dual_add_nc_u32 v6, -3, v4
	s_waitcnt vmcnt(0)
	v_fmac_f32_e32 v9, v14, v22
	s_delay_alu instid0(VALU_DEP_2) | instskip(NEXT) | instid1(VALU_DEP_2)
	v_lshlrev_b64 v[24:25], 2, v[6:7]
	v_dual_fmac_f32 v9, v15, v23 :: v_dual_add_nc_u32 v6, -2, v4
	s_delay_alu instid0(VALU_DEP_1) | instskip(SKIP_1) | instid1(VALU_DEP_4)
	v_lshlrev_b64 v[26:27], 2, v[6:7]
	v_add_nc_u32_e32 v6, -7, v4
	v_add_co_u32 v24, vcc_lo, s8, v24
	v_add_co_ci_u32_e32 v25, vcc_lo, s9, v25, vcc_lo
	s_delay_alu instid0(VALU_DEP_3)
	v_lshlrev_b64 v[28:29], 2, v[6:7]
	v_add_nc_u32_e32 v6, 4, v16
	v_add_co_u32 v16, vcc_lo, s8, v26
	v_add_co_ci_u32_e32 v17, vcc_lo, s9, v27, vcc_lo
	global_load_b32 v3, v[24:25], off
	v_lshlrev_b64 v[24:25], 2, v[6:7]
	v_add_nc_u32_e32 v6, -1, v4
	global_load_b32 v31, v[16:17], off
	v_add_co_u32 v16, vcc_lo, s8, v28
	v_add_co_ci_u32_e32 v17, vcc_lo, s9, v29, vcc_lo
	v_lshlrev_b64 v[26:27], 2, v[6:7]
	v_add_nc_u32_e32 v6, -6, v4
	v_add_co_u32 v24, vcc_lo, s10, v24
	v_add_co_ci_u32_e32 v25, vcc_lo, s11, v25, vcc_lo
	s_delay_alu instid0(VALU_DEP_3)
	v_lshlrev_b64 v[5:6], 2, v[6:7]
	global_load_b32 v28, v[16:17], off
	v_add_nc_u32_e32 v4, 0x300, v4
	global_load_b64 v[16:17], v[24:25], off
	v_add_co_u32 v24, vcc_lo, s8, v26
	v_add_co_ci_u32_e32 v25, vcc_lo, s9, v27, vcc_lo
	v_add_co_u32 v5, vcc_lo, s8, v5
	v_add_co_ci_u32_e32 v6, vcc_lo, s9, v6, vcc_lo
	s_clause 0x2
	global_load_b32 v24, v[24:25], off
	global_load_b32 v5, v[5:6], off
	;; [unrolled: 1-line block ×3, first 2 shown]
	v_cmp_ge_i32_e32 vcc_lo, v2, v11
	s_or_b32 s2, vcc_lo, s2
	s_waitcnt vmcnt(3)
	v_dual_fmac_f32 v10, v3, v22 :: v_dual_fmac_f32 v9, v28, v16
	s_delay_alu instid0(VALU_DEP_1) | instskip(SKIP_1) | instid1(VALU_DEP_1)
	v_fmac_f32_e32 v10, v31, v23
	s_waitcnt vmcnt(1)
	v_dual_fmac_f32 v10, v24, v16 :: v_dual_fmac_f32 v9, v5, v17
	s_waitcnt vmcnt(0)
	s_delay_alu instid0(VALU_DEP_1)
	v_fmac_f32_e32 v10, v6, v17
	s_and_not1_b32 exec_lo, exec_lo, s2
	s_cbranch_execnz .LBB24_15
; %bb.16:
	s_or_b32 exec_lo, exec_lo, s2
.LBB24_17:
	s_delay_alu instid0(SALU_CYCLE_1)
	s_or_b32 exec_lo, exec_lo, s3
.LBB24_18:
	v_mbcnt_lo_u32_b32 v2, -1, 0
	s_mov_b32 s2, -1
	s_delay_alu instid0(VALU_DEP_1) | instskip(SKIP_2) | instid1(VALU_DEP_3)
	v_or_b32_e32 v3, 32, v2
	v_xor_b32_e32 v5, 16, v2
	v_xor_b32_e32 v7, 8, v2
	v_cmp_gt_i32_e32 vcc_lo, 32, v3
	v_cndmask_b32_e32 v3, v2, v3, vcc_lo
	s_delay_alu instid0(VALU_DEP_4) | instskip(NEXT) | instid1(VALU_DEP_2)
	v_cmp_gt_i32_e32 vcc_lo, 32, v5
	v_lshlrev_b32_e32 v3, 2, v3
	v_cndmask_b32_e32 v5, v2, v5, vcc_lo
	v_cmp_gt_i32_e32 vcc_lo, 32, v7
	ds_bpermute_b32 v4, v3, v9
	v_lshlrev_b32_e32 v5, 2, v5
	v_cndmask_b32_e32 v7, v2, v7, vcc_lo
	s_waitcnt lgkmcnt(0)
	s_delay_alu instid0(VALU_DEP_1)
	v_dual_add_f32 v4, v9, v4 :: v_dual_lshlrev_b32 v7, 2, v7
	ds_bpermute_b32 v6, v5, v4
	s_waitcnt lgkmcnt(0)
	v_add_f32_e32 v4, v4, v6
	ds_bpermute_b32 v3, v3, v10
	s_waitcnt lgkmcnt(0)
	v_add_f32_e32 v3, v10, v3
	;; [unrolled: 3-line block ×3, first 2 shown]
	ds_bpermute_b32 v5, v7, v4
	ds_bpermute_b32 v6, v7, v3
	v_xor_b32_e32 v7, 4, v2
	s_delay_alu instid0(VALU_DEP_1) | instskip(SKIP_2) | instid1(VALU_DEP_1)
	v_cmp_gt_i32_e32 vcc_lo, 32, v7
	s_waitcnt lgkmcnt(1)
	v_dual_cndmask_b32 v7, v2, v7 :: v_dual_add_f32 v4, v4, v5
	v_lshlrev_b32_e32 v7, 2, v7
	s_waitcnt lgkmcnt(0)
	v_add_f32_e32 v3, v3, v6
	ds_bpermute_b32 v5, v7, v4
	ds_bpermute_b32 v6, v7, v3
	v_xor_b32_e32 v7, 2, v2
	s_delay_alu instid0(VALU_DEP_1) | instskip(SKIP_2) | instid1(VALU_DEP_1)
	v_cmp_gt_i32_e32 vcc_lo, 32, v7
	v_cndmask_b32_e32 v7, v2, v7, vcc_lo
	s_waitcnt lgkmcnt(1)
	v_dual_add_f32 v4, v4, v5 :: v_dual_lshlrev_b32 v7, 2, v7
	s_waitcnt lgkmcnt(0)
	v_add_f32_e32 v3, v3, v6
	ds_bpermute_b32 v5, v7, v4
	ds_bpermute_b32 v6, v7, v3
	v_xor_b32_e32 v7, 1, v2
	s_delay_alu instid0(VALU_DEP_1) | instskip(SKIP_3) | instid1(VALU_DEP_2)
	v_cmp_gt_i32_e32 vcc_lo, 32, v7
	v_cndmask_b32_e32 v2, v2, v7, vcc_lo
	v_cmp_eq_u32_e32 vcc_lo, 63, v0
	s_waitcnt lgkmcnt(1)
	v_dual_add_f32 v2, v4, v5 :: v_dual_lshlrev_b32 v7, 2, v2
	s_waitcnt lgkmcnt(0)
	v_add_f32_e32 v3, v3, v6
	ds_bpermute_b32 v4, v7, v2
	ds_bpermute_b32 v5, v7, v3
	s_and_b32 exec_lo, exec_lo, vcc_lo
	s_cbranch_execz .LBB24_23
; %bb.19:
	s_load_b64 s[0:1], s[0:1], 0x38
	s_waitcnt lgkmcnt(0)
	v_dual_add_f32 v0, v2, v4 :: v_dual_add_f32 v3, v3, v5
	v_cmp_eq_f32_e64 s3, s12, 0
	s_delay_alu instid0(VALU_DEP_2) | instskip(SKIP_1) | instid1(VALU_DEP_3)
	v_dual_mul_f32 v2, s16, v0 :: v_dual_mul_f32 v3, s16, v3
	v_lshlrev_b32_e32 v0, 1, v1
	s_and_b32 vcc_lo, exec_lo, s3
	s_cbranch_vccz .LBB24_21
; %bb.20:
	s_delay_alu instid0(VALU_DEP_1) | instskip(SKIP_1) | instid1(VALU_DEP_1)
	v_ashrrev_i32_e32 v1, 31, v0
	s_mov_b32 s2, 0
	v_lshlrev_b64 v[4:5], 2, v[0:1]
	s_delay_alu instid0(VALU_DEP_1) | instskip(NEXT) | instid1(VALU_DEP_2)
	v_add_co_u32 v4, vcc_lo, s0, v4
	v_add_co_ci_u32_e32 v5, vcc_lo, s1, v5, vcc_lo
	global_store_b64 v[4:5], v[2:3], off
.LBB24_21:
	s_and_not1_b32 vcc_lo, exec_lo, s2
	s_cbranch_vccnz .LBB24_23
; %bb.22:
	v_ashrrev_i32_e32 v1, 31, v0
	s_delay_alu instid0(VALU_DEP_1) | instskip(NEXT) | instid1(VALU_DEP_1)
	v_lshlrev_b64 v[0:1], 2, v[0:1]
	v_add_co_u32 v0, vcc_lo, s0, v0
	s_delay_alu instid0(VALU_DEP_2)
	v_add_co_ci_u32_e32 v1, vcc_lo, s1, v1, vcc_lo
	global_load_b64 v[4:5], v[0:1], off
	s_waitcnt vmcnt(0)
	v_dual_fmac_f32 v2, s12, v4 :: v_dual_fmac_f32 v3, s12, v5
	global_store_b64 v[0:1], v[2:3], off
.LBB24_23:
	s_nop 0
	s_sendmsg sendmsg(MSG_DEALLOC_VGPRS)
	s_endpgm
	.section	.rodata,"a",@progbits
	.p2align	6, 0x0
	.amdhsa_kernel _ZN9rocsparseL19gebsrmvn_2xn_kernelILj128ELj6ELj64EfEEvi20rocsparse_direction_NS_24const_host_device_scalarIT2_EEPKiS6_PKS3_S8_S4_PS3_21rocsparse_index_base_b
		.amdhsa_group_segment_fixed_size 0
		.amdhsa_private_segment_fixed_size 0
		.amdhsa_kernarg_size 72
		.amdhsa_user_sgpr_count 15
		.amdhsa_user_sgpr_dispatch_ptr 0
		.amdhsa_user_sgpr_queue_ptr 0
		.amdhsa_user_sgpr_kernarg_segment_ptr 1
		.amdhsa_user_sgpr_dispatch_id 0
		.amdhsa_user_sgpr_private_segment_size 0
		.amdhsa_wavefront_size32 1
		.amdhsa_uses_dynamic_stack 0
		.amdhsa_enable_private_segment 0
		.amdhsa_system_sgpr_workgroup_id_x 1
		.amdhsa_system_sgpr_workgroup_id_y 0
		.amdhsa_system_sgpr_workgroup_id_z 0
		.amdhsa_system_sgpr_workgroup_info 0
		.amdhsa_system_vgpr_workitem_id 0
		.amdhsa_next_free_vgpr 32
		.amdhsa_next_free_sgpr 20
		.amdhsa_reserve_vcc 1
		.amdhsa_float_round_mode_32 0
		.amdhsa_float_round_mode_16_64 0
		.amdhsa_float_denorm_mode_32 3
		.amdhsa_float_denorm_mode_16_64 3
		.amdhsa_dx10_clamp 1
		.amdhsa_ieee_mode 1
		.amdhsa_fp16_overflow 0
		.amdhsa_workgroup_processor_mode 1
		.amdhsa_memory_ordered 1
		.amdhsa_forward_progress 0
		.amdhsa_shared_vgpr_count 0
		.amdhsa_exception_fp_ieee_invalid_op 0
		.amdhsa_exception_fp_denorm_src 0
		.amdhsa_exception_fp_ieee_div_zero 0
		.amdhsa_exception_fp_ieee_overflow 0
		.amdhsa_exception_fp_ieee_underflow 0
		.amdhsa_exception_fp_ieee_inexact 0
		.amdhsa_exception_int_div_zero 0
	.end_amdhsa_kernel
	.section	.text._ZN9rocsparseL19gebsrmvn_2xn_kernelILj128ELj6ELj64EfEEvi20rocsparse_direction_NS_24const_host_device_scalarIT2_EEPKiS6_PKS3_S8_S4_PS3_21rocsparse_index_base_b,"axG",@progbits,_ZN9rocsparseL19gebsrmvn_2xn_kernelILj128ELj6ELj64EfEEvi20rocsparse_direction_NS_24const_host_device_scalarIT2_EEPKiS6_PKS3_S8_S4_PS3_21rocsparse_index_base_b,comdat
.Lfunc_end24:
	.size	_ZN9rocsparseL19gebsrmvn_2xn_kernelILj128ELj6ELj64EfEEvi20rocsparse_direction_NS_24const_host_device_scalarIT2_EEPKiS6_PKS3_S8_S4_PS3_21rocsparse_index_base_b, .Lfunc_end24-_ZN9rocsparseL19gebsrmvn_2xn_kernelILj128ELj6ELj64EfEEvi20rocsparse_direction_NS_24const_host_device_scalarIT2_EEPKiS6_PKS3_S8_S4_PS3_21rocsparse_index_base_b
                                        ; -- End function
	.section	.AMDGPU.csdata,"",@progbits
; Kernel info:
; codeLenInByte = 1976
; NumSgprs: 22
; NumVgprs: 32
; ScratchSize: 0
; MemoryBound: 0
; FloatMode: 240
; IeeeMode: 1
; LDSByteSize: 0 bytes/workgroup (compile time only)
; SGPRBlocks: 2
; VGPRBlocks: 3
; NumSGPRsForWavesPerEU: 22
; NumVGPRsForWavesPerEU: 32
; Occupancy: 16
; WaveLimiterHint : 1
; COMPUTE_PGM_RSRC2:SCRATCH_EN: 0
; COMPUTE_PGM_RSRC2:USER_SGPR: 15
; COMPUTE_PGM_RSRC2:TRAP_HANDLER: 0
; COMPUTE_PGM_RSRC2:TGID_X_EN: 1
; COMPUTE_PGM_RSRC2:TGID_Y_EN: 0
; COMPUTE_PGM_RSRC2:TGID_Z_EN: 0
; COMPUTE_PGM_RSRC2:TIDIG_COMP_CNT: 0
	.section	.text._ZN9rocsparseL19gebsrmvn_2xn_kernelILj128ELj7ELj4EfEEvi20rocsparse_direction_NS_24const_host_device_scalarIT2_EEPKiS6_PKS3_S8_S4_PS3_21rocsparse_index_base_b,"axG",@progbits,_ZN9rocsparseL19gebsrmvn_2xn_kernelILj128ELj7ELj4EfEEvi20rocsparse_direction_NS_24const_host_device_scalarIT2_EEPKiS6_PKS3_S8_S4_PS3_21rocsparse_index_base_b,comdat
	.globl	_ZN9rocsparseL19gebsrmvn_2xn_kernelILj128ELj7ELj4EfEEvi20rocsparse_direction_NS_24const_host_device_scalarIT2_EEPKiS6_PKS3_S8_S4_PS3_21rocsparse_index_base_b ; -- Begin function _ZN9rocsparseL19gebsrmvn_2xn_kernelILj128ELj7ELj4EfEEvi20rocsparse_direction_NS_24const_host_device_scalarIT2_EEPKiS6_PKS3_S8_S4_PS3_21rocsparse_index_base_b
	.p2align	8
	.type	_ZN9rocsparseL19gebsrmvn_2xn_kernelILj128ELj7ELj4EfEEvi20rocsparse_direction_NS_24const_host_device_scalarIT2_EEPKiS6_PKS3_S8_S4_PS3_21rocsparse_index_base_b,@function
_ZN9rocsparseL19gebsrmvn_2xn_kernelILj128ELj7ELj4EfEEvi20rocsparse_direction_NS_24const_host_device_scalarIT2_EEPKiS6_PKS3_S8_S4_PS3_21rocsparse_index_base_b: ; @_ZN9rocsparseL19gebsrmvn_2xn_kernelILj128ELj7ELj4EfEEvi20rocsparse_direction_NS_24const_host_device_scalarIT2_EEPKiS6_PKS3_S8_S4_PS3_21rocsparse_index_base_b
; %bb.0:
	s_clause 0x2
	s_load_b64 s[18:19], s[0:1], 0x40
	s_load_b64 s[16:17], s[0:1], 0x8
	s_load_b64 s[12:13], s[0:1], 0x30
	s_waitcnt lgkmcnt(0)
	s_bitcmp1_b32 s19, 0
	s_cselect_b32 s2, -1, 0
	s_delay_alu instid0(SALU_CYCLE_1)
	s_and_b32 vcc_lo, exec_lo, s2
	s_xor_b32 s2, s2, -1
	s_cbranch_vccnz .LBB25_2
; %bb.1:
	s_load_b32 s16, s[16:17], 0x0
.LBB25_2:
	s_and_not1_b32 vcc_lo, exec_lo, s2
	s_cbranch_vccnz .LBB25_4
; %bb.3:
	s_load_b32 s12, s[12:13], 0x0
.LBB25_4:
	s_waitcnt lgkmcnt(0)
	v_cmp_eq_f32_e64 s2, s16, 0
	v_cmp_eq_f32_e64 s3, s12, 1.0
	s_delay_alu instid0(VALU_DEP_1) | instskip(NEXT) | instid1(SALU_CYCLE_1)
	s_and_b32 s2, s2, s3
	s_and_b32 vcc_lo, exec_lo, s2
	s_cbranch_vccnz .LBB25_23
; %bb.5:
	s_load_b64 s[2:3], s[0:1], 0x0
	v_lshrrev_b32_e32 v1, 2, v0
	s_delay_alu instid0(VALU_DEP_1) | instskip(SKIP_1) | instid1(VALU_DEP_1)
	v_lshl_or_b32 v1, s15, 5, v1
	s_waitcnt lgkmcnt(0)
	v_cmp_gt_i32_e32 vcc_lo, s2, v1
	s_and_saveexec_b32 s2, vcc_lo
	s_cbranch_execz .LBB25_23
; %bb.6:
	s_load_b256 s[4:11], s[0:1], 0x10
	v_ashrrev_i32_e32 v2, 31, v1
	v_and_b32_e32 v0, 3, v0
	s_cmp_lg_u32 s3, 0
	s_delay_alu instid0(VALU_DEP_2) | instskip(SKIP_1) | instid1(VALU_DEP_1)
	v_lshlrev_b64 v[2:3], 2, v[1:2]
	s_waitcnt lgkmcnt(0)
	v_add_co_u32 v2, vcc_lo, s4, v2
	s_delay_alu instid0(VALU_DEP_2) | instskip(SKIP_4) | instid1(VALU_DEP_2)
	v_add_co_ci_u32_e32 v3, vcc_lo, s5, v3, vcc_lo
	global_load_b64 v[2:3], v[2:3], off
	s_waitcnt vmcnt(0)
	v_subrev_nc_u32_e32 v2, s18, v2
	v_subrev_nc_u32_e32 v10, s18, v3
	v_add_nc_u32_e32 v2, v2, v0
	s_delay_alu instid0(VALU_DEP_1)
	v_cmp_lt_i32_e64 s2, v2, v10
	s_cbranch_scc0 .LBB25_12
; %bb.7:
	v_mov_b32_e32 v9, 0
	v_mov_b32_e32 v11, 0
	s_mov_b32 s3, 0
	s_and_saveexec_b32 s4, s2
	s_cbranch_execz .LBB25_11
; %bb.8:
	v_mad_u64_u32 v[3:4], null, v2, 14, 12
	v_dual_mov_b32 v6, 0 :: v_dual_mov_b32 v7, v2
	v_mov_b32_e32 v9, 0
	v_mov_b32_e32 v11, 0
	s_mov_b32 s5, 0
.LBB25_9:                               ; =>This Inner Loop Header: Depth=1
	s_delay_alu instid0(VALU_DEP_3) | instskip(SKIP_1) | instid1(VALU_DEP_2)
	v_ashrrev_i32_e32 v8, 31, v7
	v_mov_b32_e32 v13, v6
	v_lshlrev_b64 v[4:5], 2, v[7:8]
	v_add_nc_u32_e32 v7, 4, v7
	s_delay_alu instid0(VALU_DEP_2) | instskip(NEXT) | instid1(VALU_DEP_3)
	v_add_co_u32 v4, vcc_lo, s6, v4
	v_add_co_ci_u32_e32 v5, vcc_lo, s7, v5, vcc_lo
	global_load_b32 v8, v[4:5], off
	v_dual_mov_b32 v4, v6 :: v_dual_add_nc_u32 v5, -12, v3
	s_delay_alu instid0(VALU_DEP_1) | instskip(SKIP_1) | instid1(VALU_DEP_3)
	v_lshlrev_b64 v[14:15], 2, v[5:6]
	v_add_nc_u32_e32 v5, -10, v3
	v_lshlrev_b64 v[16:17], 2, v[3:4]
	s_delay_alu instid0(VALU_DEP_2) | instskip(NEXT) | instid1(VALU_DEP_4)
	v_lshlrev_b64 v[4:5], 2, v[5:6]
	v_add_co_u32 v14, vcc_lo, s8, v14
	v_add_co_ci_u32_e32 v15, vcc_lo, s9, v15, vcc_lo
	s_delay_alu instid0(VALU_DEP_4)
	v_add_co_u32 v16, vcc_lo, s8, v16
	v_add_co_ci_u32_e32 v17, vcc_lo, s9, v17, vcc_lo
	v_add_co_u32 v4, vcc_lo, s8, v4
	v_add_co_ci_u32_e32 v5, vcc_lo, s9, v5, vcc_lo
	s_clause 0x1
	global_load_b64 v[14:15], v[14:15], off
	global_load_b64 v[18:19], v[4:5], off
	s_waitcnt vmcnt(2)
	v_subrev_nc_u32_e32 v4, s18, v8
	s_delay_alu instid0(VALU_DEP_1) | instskip(NEXT) | instid1(VALU_DEP_1)
	v_mul_lo_u32 v12, v4, 7
	v_add_nc_u32_e32 v5, 1, v12
	v_lshlrev_b64 v[20:21], 2, v[12:13]
	s_delay_alu instid0(VALU_DEP_2) | instskip(SKIP_1) | instid1(VALU_DEP_3)
	v_lshlrev_b64 v[22:23], 2, v[5:6]
	v_add_nc_u32_e32 v5, -8, v3
	v_add_co_u32 v20, vcc_lo, s10, v20
	s_delay_alu instid0(VALU_DEP_4) | instskip(NEXT) | instid1(VALU_DEP_4)
	v_add_co_ci_u32_e32 v21, vcc_lo, s11, v21, vcc_lo
	v_add_co_u32 v22, vcc_lo, s10, v22
	s_delay_alu instid0(VALU_DEP_4)
	v_lshlrev_b64 v[24:25], 2, v[5:6]
	v_add_nc_u32_e32 v5, 2, v12
	v_add_co_ci_u32_e32 v23, vcc_lo, s11, v23, vcc_lo
	s_clause 0x1
	global_load_b32 v8, v[20:21], off
	global_load_b32 v32, v[22:23], off
	v_lshlrev_b64 v[20:21], 2, v[5:6]
	v_add_nc_u32_e32 v5, -6, v3
	v_add_co_u32 v22, vcc_lo, s8, v24
	v_add_co_ci_u32_e32 v23, vcc_lo, s9, v25, vcc_lo
	s_delay_alu instid0(VALU_DEP_3) | instskip(SKIP_3) | instid1(VALU_DEP_3)
	v_lshlrev_b64 v[24:25], 2, v[5:6]
	v_add_nc_u32_e32 v5, 3, v12
	v_add_co_u32 v20, vcc_lo, s10, v20
	v_add_co_ci_u32_e32 v21, vcc_lo, s11, v21, vcc_lo
	v_lshlrev_b64 v[26:27], 2, v[5:6]
	v_add_nc_u32_e32 v5, -4, v3
	global_load_b64 v[22:23], v[22:23], off
	global_load_b32 v33, v[20:21], off
	v_add_co_u32 v20, vcc_lo, s8, v24
	v_add_co_ci_u32_e32 v21, vcc_lo, s9, v25, vcc_lo
	v_lshlrev_b64 v[24:25], 2, v[5:6]
	v_add_nc_u32_e32 v5, 4, v12
	v_add_co_u32 v26, vcc_lo, s10, v26
	v_add_co_ci_u32_e32 v27, vcc_lo, s11, v27, vcc_lo
	s_delay_alu instid0(VALU_DEP_3) | instskip(SKIP_3) | instid1(VALU_DEP_4)
	v_lshlrev_b64 v[28:29], 2, v[5:6]
	v_add_co_u32 v24, vcc_lo, s8, v24
	v_add_co_ci_u32_e32 v25, vcc_lo, s9, v25, vcc_lo
	v_add_nc_u32_e32 v5, -2, v3
	v_add_co_u32 v28, vcc_lo, s10, v28
	global_load_b64 v[24:25], v[24:25], off
	v_add_co_ci_u32_e32 v29, vcc_lo, s11, v29, vcc_lo
	global_load_b32 v34, v[26:27], off
	global_load_b64 v[20:21], v[20:21], off
	v_add_nc_u32_e32 v3, 56, v3
	global_load_b32 v28, v[28:29], off
	v_lshlrev_b64 v[26:27], 2, v[5:6]
	v_add_nc_u32_e32 v5, 5, v12
	s_delay_alu instid0(VALU_DEP_1) | instskip(SKIP_1) | instid1(VALU_DEP_4)
	v_lshlrev_b64 v[30:31], 2, v[5:6]
	v_add_nc_u32_e32 v5, 6, v12
	v_add_co_u32 v12, vcc_lo, s8, v26
	v_add_co_ci_u32_e32 v13, vcc_lo, s9, v27, vcc_lo
	s_delay_alu instid0(VALU_DEP_3)
	v_lshlrev_b64 v[4:5], 2, v[5:6]
	v_add_co_u32 v26, vcc_lo, s10, v30
	v_add_co_ci_u32_e32 v27, vcc_lo, s11, v31, vcc_lo
	global_load_b64 v[12:13], v[12:13], off
	global_load_b32 v26, v[26:27], off
	v_add_co_u32 v4, vcc_lo, s10, v4
	v_add_co_ci_u32_e32 v5, vcc_lo, s11, v5, vcc_lo
	global_load_b64 v[16:17], v[16:17], off
	global_load_b32 v4, v[4:5], off
	v_cmp_ge_i32_e32 vcc_lo, v7, v10
	s_or_b32 s5, vcc_lo, s5
	s_waitcnt vmcnt(11)
	v_fmac_f32_e32 v9, v14, v8
	v_fmac_f32_e32 v11, v15, v8
	s_waitcnt vmcnt(10)
	s_delay_alu instid0(VALU_DEP_2) | instskip(NEXT) | instid1(VALU_DEP_2)
	v_fmac_f32_e32 v9, v18, v32
	v_fmac_f32_e32 v11, v19, v32
	s_waitcnt vmcnt(8)
	s_delay_alu instid0(VALU_DEP_2) | instskip(NEXT) | instid1(VALU_DEP_2)
	;; [unrolled: 4-line block ×6, first 2 shown]
	v_fmac_f32_e32 v9, v16, v4
	v_fmac_f32_e32 v11, v17, v4
	s_and_not1_b32 exec_lo, exec_lo, s5
	s_cbranch_execnz .LBB25_9
; %bb.10:
	s_or_b32 exec_lo, exec_lo, s5
.LBB25_11:
	s_delay_alu instid0(SALU_CYCLE_1) | instskip(NEXT) | instid1(SALU_CYCLE_1)
	s_or_b32 exec_lo, exec_lo, s4
	s_and_not1_b32 vcc_lo, exec_lo, s3
	s_cbranch_vccz .LBB25_13
	s_branch .LBB25_18
.LBB25_12:
                                        ; implicit-def: $vgpr9
                                        ; implicit-def: $vgpr11
.LBB25_13:
	v_mov_b32_e32 v9, 0
	v_mov_b32_e32 v11, 0
	s_delay_alu instid0(VALU_DEP_3)
	s_and_saveexec_b32 s3, s2
	s_cbranch_execz .LBB25_17
; %bb.14:
	v_mad_u64_u32 v[4:5], null, v2, 14, 13
	v_mov_b32_e32 v7, 0
	v_mov_b32_e32 v9, 0
	;; [unrolled: 1-line block ×3, first 2 shown]
	s_mov_b32 s2, 0
.LBB25_15:                              ; =>This Inner Loop Header: Depth=1
	v_ashrrev_i32_e32 v3, 31, v2
	v_dual_mov_b32 v13, v7 :: v_dual_add_nc_u32 v12, -6, v4
	s_delay_alu instid0(VALU_DEP_2) | instskip(SKIP_1) | instid1(VALU_DEP_2)
	v_lshlrev_b64 v[5:6], 2, v[2:3]
	v_add_nc_u32_e32 v2, 4, v2
	v_add_co_u32 v5, vcc_lo, s6, v5
	s_delay_alu instid0(VALU_DEP_3) | instskip(SKIP_3) | instid1(VALU_DEP_2)
	v_add_co_ci_u32_e32 v6, vcc_lo, s7, v6, vcc_lo
	global_load_b32 v3, v[5:6], off
	v_dual_mov_b32 v5, v7 :: v_dual_add_nc_u32 v6, -13, v4
	v_lshlrev_b64 v[12:13], 2, v[12:13]
	v_lshlrev_b64 v[15:16], 2, v[6:7]
	s_delay_alu instid0(VALU_DEP_3) | instskip(NEXT) | instid1(VALU_DEP_2)
	v_lshlrev_b64 v[5:6], 2, v[4:5]
	v_add_co_u32 v15, vcc_lo, s8, v15
	s_delay_alu instid0(VALU_DEP_3)
	v_add_co_ci_u32_e32 v16, vcc_lo, s9, v16, vcc_lo
	v_add_co_u32 v12, vcc_lo, s8, v12
	v_add_co_ci_u32_e32 v13, vcc_lo, s9, v13, vcc_lo
	s_clause 0x1
	global_load_b64 v[15:16], v[15:16], off
	global_load_b32 v8, v[12:13], off
	v_mov_b32_e32 v14, v7
	v_add_co_u32 v17, vcc_lo, s8, v5
	v_add_co_ci_u32_e32 v18, vcc_lo, s9, v6, vcc_lo
	s_waitcnt vmcnt(2)
	v_subrev_nc_u32_e32 v3, s18, v3
	s_delay_alu instid0(VALU_DEP_1) | instskip(NEXT) | instid1(VALU_DEP_1)
	v_mul_lo_u32 v13, v3, 7
	v_lshlrev_b64 v[19:20], 2, v[13:14]
	s_delay_alu instid0(VALU_DEP_1) | instskip(NEXT) | instid1(VALU_DEP_2)
	v_add_co_u32 v19, vcc_lo, s10, v19
	v_add_co_ci_u32_e32 v20, vcc_lo, s11, v20, vcc_lo
	global_load_b32 v3, v[19:20], off
	s_waitcnt vmcnt(0)
	v_dual_fmac_f32 v9, v15, v3 :: v_dual_add_nc_u32 v6, 1, v13
	s_delay_alu instid0(VALU_DEP_1) | instskip(SKIP_1) | instid1(VALU_DEP_2)
	v_lshlrev_b64 v[21:22], 2, v[6:7]
	v_fmac_f32_e32 v11, v8, v3
	v_add_co_u32 v19, vcc_lo, s10, v21
	s_delay_alu instid0(VALU_DEP_3) | instskip(SKIP_3) | instid1(VALU_DEP_1)
	v_add_co_ci_u32_e32 v20, vcc_lo, s11, v22, vcc_lo
	global_load_b32 v14, v[19:20], off
	s_waitcnt vmcnt(0)
	v_dual_fmac_f32 v9, v16, v14 :: v_dual_add_nc_u32 v6, -5, v4
	v_lshlrev_b64 v[23:24], 2, v[6:7]
	s_delay_alu instid0(VALU_DEP_1) | instskip(NEXT) | instid1(VALU_DEP_2)
	v_add_co_u32 v23, vcc_lo, s8, v23
	v_add_co_ci_u32_e32 v24, vcc_lo, s9, v24, vcc_lo
	global_load_b32 v25, v[23:24], off
	v_add_nc_u32_e32 v6, -11, v4
	s_delay_alu instid0(VALU_DEP_1) | instskip(NEXT) | instid1(VALU_DEP_1)
	v_lshlrev_b64 v[21:22], 2, v[6:7]
	v_add_co_u32 v21, vcc_lo, s8, v21
	s_delay_alu instid0(VALU_DEP_2) | instskip(SKIP_2) | instid1(VALU_DEP_1)
	v_add_co_ci_u32_e32 v22, vcc_lo, s9, v22, vcc_lo
	global_load_b32 v26, v[21:22], off
	v_add_nc_u32_e32 v6, 2, v13
	v_lshlrev_b64 v[19:20], 2, v[6:7]
	s_delay_alu instid0(VALU_DEP_1) | instskip(NEXT) | instid1(VALU_DEP_2)
	v_add_co_u32 v19, vcc_lo, s10, v19
	v_add_co_ci_u32_e32 v20, vcc_lo, s11, v20, vcc_lo
	global_load_b32 v27, v[19:20], off
	s_waitcnt vmcnt(2)
	v_dual_fmac_f32 v11, v25, v14 :: v_dual_add_nc_u32 v6, -4, v4
	s_delay_alu instid0(VALU_DEP_1) | instskip(NEXT) | instid1(VALU_DEP_1)
	v_lshlrev_b64 v[23:24], 2, v[6:7]
	v_add_co_u32 v19, vcc_lo, s8, v23
	s_delay_alu instid0(VALU_DEP_2) | instskip(SKIP_3) | instid1(VALU_DEP_1)
	v_add_co_ci_u32_e32 v20, vcc_lo, s9, v24, vcc_lo
	global_load_b32 v28, v[19:20], off
	s_waitcnt vmcnt(1)
	v_dual_fmac_f32 v9, v26, v27 :: v_dual_add_nc_u32 v6, -10, v4
	v_lshlrev_b64 v[21:22], 2, v[6:7]
	s_delay_alu instid0(VALU_DEP_1) | instskip(NEXT) | instid1(VALU_DEP_2)
	v_add_co_u32 v21, vcc_lo, s8, v21
	v_add_co_ci_u32_e32 v22, vcc_lo, s9, v22, vcc_lo
	global_load_b32 v29, v[21:22], off
	s_waitcnt vmcnt(1)
	v_dual_fmac_f32 v11, v28, v27 :: v_dual_add_nc_u32 v6, 3, v13
	s_delay_alu instid0(VALU_DEP_1) | instskip(NEXT) | instid1(VALU_DEP_1)
	v_lshlrev_b64 v[23:24], 2, v[6:7]
	v_add_co_u32 v21, vcc_lo, s10, v23
	s_delay_alu instid0(VALU_DEP_2) | instskip(SKIP_3) | instid1(VALU_DEP_1)
	v_add_co_ci_u32_e32 v22, vcc_lo, s11, v24, vcc_lo
	global_load_b32 v30, v[21:22], off
	s_waitcnt vmcnt(0)
	v_dual_fmac_f32 v9, v29, v30 :: v_dual_add_nc_u32 v6, -3, v4
	v_lshlrev_b64 v[19:20], 2, v[6:7]
	s_delay_alu instid0(VALU_DEP_1) | instskip(NEXT) | instid1(VALU_DEP_2)
	v_add_co_u32 v19, vcc_lo, s8, v19
	v_add_co_ci_u32_e32 v20, vcc_lo, s9, v20, vcc_lo
	global_load_b32 v31, v[19:20], off
	s_waitcnt vmcnt(0)
	v_dual_fmac_f32 v11, v31, v30 :: v_dual_add_nc_u32 v6, -9, v4
	s_delay_alu instid0(VALU_DEP_1) | instskip(SKIP_1) | instid1(VALU_DEP_1)
	v_lshlrev_b64 v[23:24], 2, v[6:7]
	v_add_nc_u32_e32 v6, 4, v13
	v_lshlrev_b64 v[21:22], 2, v[6:7]
	v_add_nc_u32_e32 v6, -2, v4
	s_delay_alu instid0(VALU_DEP_4) | instskip(SKIP_1) | instid1(VALU_DEP_3)
	v_add_co_u32 v19, vcc_lo, s8, v23
	v_add_co_ci_u32_e32 v20, vcc_lo, s9, v24, vcc_lo
	v_lshlrev_b64 v[23:24], 2, v[6:7]
	v_add_nc_u32_e32 v6, -8, v4
	v_add_co_u32 v21, vcc_lo, s10, v21
	v_add_co_ci_u32_e32 v22, vcc_lo, s11, v22, vcc_lo
	global_load_b32 v32, v[19:20], off
	v_lshlrev_b64 v[19:20], 2, v[6:7]
	v_add_nc_u32_e32 v6, 5, v13
	global_load_b32 v33, v[21:22], off
	v_add_co_u32 v21, vcc_lo, s8, v23
	v_add_co_ci_u32_e32 v22, vcc_lo, s9, v24, vcc_lo
	v_add_co_u32 v19, vcc_lo, s8, v19
	v_lshlrev_b64 v[23:24], 2, v[6:7]
	v_add_nc_u32_e32 v6, -1, v4
	v_add_co_ci_u32_e32 v20, vcc_lo, s9, v20, vcc_lo
	s_clause 0x1
	global_load_b32 v34, v[21:22], off
	global_load_b32 v35, v[19:20], off
	v_lshlrev_b64 v[21:22], 2, v[6:7]
	v_add_nc_u32_e32 v6, -7, v4
	v_add_co_u32 v19, vcc_lo, s10, v23
	v_add_co_ci_u32_e32 v20, vcc_lo, s11, v24, vcc_lo
	s_delay_alu instid0(VALU_DEP_3) | instskip(SKIP_3) | instid1(VALU_DEP_3)
	v_lshlrev_b64 v[23:24], 2, v[6:7]
	v_add_nc_u32_e32 v6, 6, v13
	v_add_co_u32 v12, vcc_lo, s8, v21
	v_add_co_ci_u32_e32 v13, vcc_lo, s9, v22, vcc_lo
	v_lshlrev_b64 v[5:6], 2, v[6:7]
	global_load_b32 v19, v[19:20], off
	v_add_nc_u32_e32 v4, 56, v4
	global_load_b32 v20, v[12:13], off
	v_add_co_u32 v12, vcc_lo, s8, v23
	v_add_co_ci_u32_e32 v13, vcc_lo, s9, v24, vcc_lo
	v_add_co_u32 v5, vcc_lo, s10, v5
	v_add_co_ci_u32_e32 v6, vcc_lo, s11, v6, vcc_lo
	s_clause 0x1
	global_load_b32 v17, v[17:18], off
	global_load_b32 v12, v[12:13], off
	;; [unrolled: 1-line block ×3, first 2 shown]
	v_cmp_ge_i32_e32 vcc_lo, v2, v10
	s_or_b32 s2, vcc_lo, s2
	s_waitcnt vmcnt(7)
	v_fmac_f32_e32 v9, v32, v33
	s_waitcnt vmcnt(6)
	v_fmac_f32_e32 v11, v34, v33
	s_waitcnt vmcnt(4)
	s_delay_alu instid0(VALU_DEP_2) | instskip(SKIP_1) | instid1(VALU_DEP_2)
	v_fmac_f32_e32 v9, v35, v19
	s_waitcnt vmcnt(3)
	v_fmac_f32_e32 v11, v20, v19
	s_waitcnt vmcnt(0)
	s_delay_alu instid0(VALU_DEP_2) | instskip(NEXT) | instid1(VALU_DEP_2)
	v_fmac_f32_e32 v9, v12, v5
	v_fmac_f32_e32 v11, v17, v5
	s_and_not1_b32 exec_lo, exec_lo, s2
	s_cbranch_execnz .LBB25_15
; %bb.16:
	s_or_b32 exec_lo, exec_lo, s2
.LBB25_17:
	s_delay_alu instid0(SALU_CYCLE_1)
	s_or_b32 exec_lo, exec_lo, s3
.LBB25_18:
	v_mbcnt_lo_u32_b32 v2, -1, 0
	s_mov_b32 s2, -1
	s_delay_alu instid0(VALU_DEP_1) | instskip(SKIP_1) | instid1(VALU_DEP_2)
	v_xor_b32_e32 v3, 2, v2
	v_xor_b32_e32 v5, 1, v2
	v_cmp_gt_i32_e32 vcc_lo, 32, v3
	v_cndmask_b32_e32 v3, v2, v3, vcc_lo
	s_delay_alu instid0(VALU_DEP_3) | instskip(NEXT) | instid1(VALU_DEP_2)
	v_cmp_gt_i32_e32 vcc_lo, 32, v5
	v_dual_cndmask_b32 v2, v2, v5 :: v_dual_lshlrev_b32 v3, 2, v3
	v_cmp_eq_u32_e32 vcc_lo, 3, v0
	ds_bpermute_b32 v4, v3, v9
	ds_bpermute_b32 v3, v3, v11
	s_waitcnt lgkmcnt(1)
	v_dual_add_f32 v2, v9, v4 :: v_dual_lshlrev_b32 v5, 2, v2
	s_waitcnt lgkmcnt(0)
	v_add_f32_e32 v3, v11, v3
	ds_bpermute_b32 v4, v5, v2
	ds_bpermute_b32 v5, v5, v3
	s_and_b32 exec_lo, exec_lo, vcc_lo
	s_cbranch_execz .LBB25_23
; %bb.19:
	s_load_b64 s[0:1], s[0:1], 0x38
	s_waitcnt lgkmcnt(0)
	v_dual_add_f32 v0, v2, v4 :: v_dual_add_f32 v3, v3, v5
	v_cmp_eq_f32_e64 s3, s12, 0
	s_delay_alu instid0(VALU_DEP_2) | instskip(SKIP_1) | instid1(VALU_DEP_3)
	v_dual_mul_f32 v2, s16, v0 :: v_dual_mul_f32 v3, s16, v3
	v_lshlrev_b32_e32 v0, 1, v1
	s_and_b32 vcc_lo, exec_lo, s3
	s_cbranch_vccz .LBB25_21
; %bb.20:
	s_delay_alu instid0(VALU_DEP_1) | instskip(SKIP_1) | instid1(VALU_DEP_1)
	v_ashrrev_i32_e32 v1, 31, v0
	s_mov_b32 s2, 0
	v_lshlrev_b64 v[4:5], 2, v[0:1]
	s_delay_alu instid0(VALU_DEP_1) | instskip(NEXT) | instid1(VALU_DEP_2)
	v_add_co_u32 v4, vcc_lo, s0, v4
	v_add_co_ci_u32_e32 v5, vcc_lo, s1, v5, vcc_lo
	global_store_b64 v[4:5], v[2:3], off
.LBB25_21:
	s_and_not1_b32 vcc_lo, exec_lo, s2
	s_cbranch_vccnz .LBB25_23
; %bb.22:
	v_ashrrev_i32_e32 v1, 31, v0
	s_delay_alu instid0(VALU_DEP_1) | instskip(NEXT) | instid1(VALU_DEP_1)
	v_lshlrev_b64 v[0:1], 2, v[0:1]
	v_add_co_u32 v0, vcc_lo, s0, v0
	s_delay_alu instid0(VALU_DEP_2)
	v_add_co_ci_u32_e32 v1, vcc_lo, s1, v1, vcc_lo
	global_load_b64 v[4:5], v[0:1], off
	s_waitcnt vmcnt(0)
	v_dual_fmac_f32 v2, s12, v4 :: v_dual_fmac_f32 v3, s12, v5
	global_store_b64 v[0:1], v[2:3], off
.LBB25_23:
	s_nop 0
	s_sendmsg sendmsg(MSG_DEALLOC_VGPRS)
	s_endpgm
	.section	.rodata,"a",@progbits
	.p2align	6, 0x0
	.amdhsa_kernel _ZN9rocsparseL19gebsrmvn_2xn_kernelILj128ELj7ELj4EfEEvi20rocsparse_direction_NS_24const_host_device_scalarIT2_EEPKiS6_PKS3_S8_S4_PS3_21rocsparse_index_base_b
		.amdhsa_group_segment_fixed_size 0
		.amdhsa_private_segment_fixed_size 0
		.amdhsa_kernarg_size 72
		.amdhsa_user_sgpr_count 15
		.amdhsa_user_sgpr_dispatch_ptr 0
		.amdhsa_user_sgpr_queue_ptr 0
		.amdhsa_user_sgpr_kernarg_segment_ptr 1
		.amdhsa_user_sgpr_dispatch_id 0
		.amdhsa_user_sgpr_private_segment_size 0
		.amdhsa_wavefront_size32 1
		.amdhsa_uses_dynamic_stack 0
		.amdhsa_enable_private_segment 0
		.amdhsa_system_sgpr_workgroup_id_x 1
		.amdhsa_system_sgpr_workgroup_id_y 0
		.amdhsa_system_sgpr_workgroup_id_z 0
		.amdhsa_system_sgpr_workgroup_info 0
		.amdhsa_system_vgpr_workitem_id 0
		.amdhsa_next_free_vgpr 36
		.amdhsa_next_free_sgpr 20
		.amdhsa_reserve_vcc 1
		.amdhsa_float_round_mode_32 0
		.amdhsa_float_round_mode_16_64 0
		.amdhsa_float_denorm_mode_32 3
		.amdhsa_float_denorm_mode_16_64 3
		.amdhsa_dx10_clamp 1
		.amdhsa_ieee_mode 1
		.amdhsa_fp16_overflow 0
		.amdhsa_workgroup_processor_mode 1
		.amdhsa_memory_ordered 1
		.amdhsa_forward_progress 0
		.amdhsa_shared_vgpr_count 0
		.amdhsa_exception_fp_ieee_invalid_op 0
		.amdhsa_exception_fp_denorm_src 0
		.amdhsa_exception_fp_ieee_div_zero 0
		.amdhsa_exception_fp_ieee_overflow 0
		.amdhsa_exception_fp_ieee_underflow 0
		.amdhsa_exception_fp_ieee_inexact 0
		.amdhsa_exception_int_div_zero 0
	.end_amdhsa_kernel
	.section	.text._ZN9rocsparseL19gebsrmvn_2xn_kernelILj128ELj7ELj4EfEEvi20rocsparse_direction_NS_24const_host_device_scalarIT2_EEPKiS6_PKS3_S8_S4_PS3_21rocsparse_index_base_b,"axG",@progbits,_ZN9rocsparseL19gebsrmvn_2xn_kernelILj128ELj7ELj4EfEEvi20rocsparse_direction_NS_24const_host_device_scalarIT2_EEPKiS6_PKS3_S8_S4_PS3_21rocsparse_index_base_b,comdat
.Lfunc_end25:
	.size	_ZN9rocsparseL19gebsrmvn_2xn_kernelILj128ELj7ELj4EfEEvi20rocsparse_direction_NS_24const_host_device_scalarIT2_EEPKiS6_PKS3_S8_S4_PS3_21rocsparse_index_base_b, .Lfunc_end25-_ZN9rocsparseL19gebsrmvn_2xn_kernelILj128ELj7ELj4EfEEvi20rocsparse_direction_NS_24const_host_device_scalarIT2_EEPKiS6_PKS3_S8_S4_PS3_21rocsparse_index_base_b
                                        ; -- End function
	.section	.AMDGPU.csdata,"",@progbits
; Kernel info:
; codeLenInByte = 2276
; NumSgprs: 22
; NumVgprs: 36
; ScratchSize: 0
; MemoryBound: 0
; FloatMode: 240
; IeeeMode: 1
; LDSByteSize: 0 bytes/workgroup (compile time only)
; SGPRBlocks: 2
; VGPRBlocks: 4
; NumSGPRsForWavesPerEU: 22
; NumVGPRsForWavesPerEU: 36
; Occupancy: 16
; WaveLimiterHint : 1
; COMPUTE_PGM_RSRC2:SCRATCH_EN: 0
; COMPUTE_PGM_RSRC2:USER_SGPR: 15
; COMPUTE_PGM_RSRC2:TRAP_HANDLER: 0
; COMPUTE_PGM_RSRC2:TGID_X_EN: 1
; COMPUTE_PGM_RSRC2:TGID_Y_EN: 0
; COMPUTE_PGM_RSRC2:TGID_Z_EN: 0
; COMPUTE_PGM_RSRC2:TIDIG_COMP_CNT: 0
	.section	.text._ZN9rocsparseL19gebsrmvn_2xn_kernelILj128ELj7ELj8EfEEvi20rocsparse_direction_NS_24const_host_device_scalarIT2_EEPKiS6_PKS3_S8_S4_PS3_21rocsparse_index_base_b,"axG",@progbits,_ZN9rocsparseL19gebsrmvn_2xn_kernelILj128ELj7ELj8EfEEvi20rocsparse_direction_NS_24const_host_device_scalarIT2_EEPKiS6_PKS3_S8_S4_PS3_21rocsparse_index_base_b,comdat
	.globl	_ZN9rocsparseL19gebsrmvn_2xn_kernelILj128ELj7ELj8EfEEvi20rocsparse_direction_NS_24const_host_device_scalarIT2_EEPKiS6_PKS3_S8_S4_PS3_21rocsparse_index_base_b ; -- Begin function _ZN9rocsparseL19gebsrmvn_2xn_kernelILj128ELj7ELj8EfEEvi20rocsparse_direction_NS_24const_host_device_scalarIT2_EEPKiS6_PKS3_S8_S4_PS3_21rocsparse_index_base_b
	.p2align	8
	.type	_ZN9rocsparseL19gebsrmvn_2xn_kernelILj128ELj7ELj8EfEEvi20rocsparse_direction_NS_24const_host_device_scalarIT2_EEPKiS6_PKS3_S8_S4_PS3_21rocsparse_index_base_b,@function
_ZN9rocsparseL19gebsrmvn_2xn_kernelILj128ELj7ELj8EfEEvi20rocsparse_direction_NS_24const_host_device_scalarIT2_EEPKiS6_PKS3_S8_S4_PS3_21rocsparse_index_base_b: ; @_ZN9rocsparseL19gebsrmvn_2xn_kernelILj128ELj7ELj8EfEEvi20rocsparse_direction_NS_24const_host_device_scalarIT2_EEPKiS6_PKS3_S8_S4_PS3_21rocsparse_index_base_b
; %bb.0:
	s_clause 0x2
	s_load_b64 s[18:19], s[0:1], 0x40
	s_load_b64 s[16:17], s[0:1], 0x8
	;; [unrolled: 1-line block ×3, first 2 shown]
	s_waitcnt lgkmcnt(0)
	s_bitcmp1_b32 s19, 0
	s_cselect_b32 s2, -1, 0
	s_delay_alu instid0(SALU_CYCLE_1)
	s_and_b32 vcc_lo, exec_lo, s2
	s_xor_b32 s2, s2, -1
	s_cbranch_vccnz .LBB26_2
; %bb.1:
	s_load_b32 s16, s[16:17], 0x0
.LBB26_2:
	s_and_not1_b32 vcc_lo, exec_lo, s2
	s_cbranch_vccnz .LBB26_4
; %bb.3:
	s_load_b32 s12, s[12:13], 0x0
.LBB26_4:
	s_waitcnt lgkmcnt(0)
	v_cmp_eq_f32_e64 s2, s16, 0
	v_cmp_eq_f32_e64 s3, s12, 1.0
	s_delay_alu instid0(VALU_DEP_1) | instskip(NEXT) | instid1(SALU_CYCLE_1)
	s_and_b32 s2, s2, s3
	s_and_b32 vcc_lo, exec_lo, s2
	s_cbranch_vccnz .LBB26_23
; %bb.5:
	s_load_b64 s[2:3], s[0:1], 0x0
	v_lshrrev_b32_e32 v1, 3, v0
	s_delay_alu instid0(VALU_DEP_1) | instskip(SKIP_1) | instid1(VALU_DEP_1)
	v_lshl_or_b32 v1, s15, 4, v1
	s_waitcnt lgkmcnt(0)
	v_cmp_gt_i32_e32 vcc_lo, s2, v1
	s_and_saveexec_b32 s2, vcc_lo
	s_cbranch_execz .LBB26_23
; %bb.6:
	s_load_b256 s[4:11], s[0:1], 0x10
	v_ashrrev_i32_e32 v2, 31, v1
	v_and_b32_e32 v0, 7, v0
	s_cmp_lg_u32 s3, 0
	s_delay_alu instid0(VALU_DEP_2) | instskip(SKIP_1) | instid1(VALU_DEP_1)
	v_lshlrev_b64 v[2:3], 2, v[1:2]
	s_waitcnt lgkmcnt(0)
	v_add_co_u32 v2, vcc_lo, s4, v2
	s_delay_alu instid0(VALU_DEP_2) | instskip(SKIP_4) | instid1(VALU_DEP_2)
	v_add_co_ci_u32_e32 v3, vcc_lo, s5, v3, vcc_lo
	global_load_b64 v[2:3], v[2:3], off
	s_waitcnt vmcnt(0)
	v_subrev_nc_u32_e32 v2, s18, v2
	v_subrev_nc_u32_e32 v11, s18, v3
	v_add_nc_u32_e32 v2, v2, v0
	s_delay_alu instid0(VALU_DEP_1)
	v_cmp_lt_i32_e64 s2, v2, v11
	s_cbranch_scc0 .LBB26_12
; %bb.7:
	v_dual_mov_b32 v9, 0 :: v_dual_mov_b32 v10, 0
	s_mov_b32 s3, 0
	s_delay_alu instid0(VALU_DEP_2)
	s_and_saveexec_b32 s4, s2
	s_cbranch_execz .LBB26_11
; %bb.8:
	v_mad_u64_u32 v[3:4], null, v2, 14, 12
	v_dual_mov_b32 v6, 0 :: v_dual_mov_b32 v7, v2
	v_dual_mov_b32 v9, 0 :: v_dual_mov_b32 v10, 0
	s_mov_b32 s5, 0
.LBB26_9:                               ; =>This Inner Loop Header: Depth=1
	s_delay_alu instid0(VALU_DEP_2) | instskip(NEXT) | instid1(VALU_DEP_1)
	v_ashrrev_i32_e32 v8, 31, v7
	v_lshlrev_b64 v[4:5], 2, v[7:8]
	v_add_nc_u32_e32 v7, 8, v7
	s_delay_alu instid0(VALU_DEP_2) | instskip(NEXT) | instid1(VALU_DEP_3)
	v_add_co_u32 v4, vcc_lo, s6, v4
	v_add_co_ci_u32_e32 v5, vcc_lo, s7, v5, vcc_lo
	global_load_b32 v8, v[4:5], off
	v_dual_mov_b32 v4, v6 :: v_dual_add_nc_u32 v5, -12, v3
	s_delay_alu instid0(VALU_DEP_1) | instskip(SKIP_1) | instid1(VALU_DEP_3)
	v_lshlrev_b64 v[14:15], 2, v[5:6]
	v_add_nc_u32_e32 v5, -10, v3
	v_lshlrev_b64 v[16:17], 2, v[3:4]
	s_delay_alu instid0(VALU_DEP_2) | instskip(NEXT) | instid1(VALU_DEP_4)
	v_lshlrev_b64 v[4:5], 2, v[5:6]
	v_add_co_u32 v14, vcc_lo, s8, v14
	v_add_co_ci_u32_e32 v15, vcc_lo, s9, v15, vcc_lo
	s_delay_alu instid0(VALU_DEP_4)
	v_add_co_u32 v16, vcc_lo, s8, v16
	v_add_co_ci_u32_e32 v17, vcc_lo, s9, v17, vcc_lo
	v_add_co_u32 v4, vcc_lo, s8, v4
	v_add_co_ci_u32_e32 v5, vcc_lo, s9, v5, vcc_lo
	s_clause 0x1
	global_load_b64 v[14:15], v[14:15], off
	global_load_b64 v[18:19], v[4:5], off
	v_mov_b32_e32 v13, v6
	s_waitcnt vmcnt(2)
	v_subrev_nc_u32_e32 v4, s18, v8
	s_delay_alu instid0(VALU_DEP_1) | instskip(NEXT) | instid1(VALU_DEP_1)
	v_mul_lo_u32 v12, v4, 7
	v_add_nc_u32_e32 v5, 1, v12
	v_lshlrev_b64 v[20:21], 2, v[12:13]
	s_delay_alu instid0(VALU_DEP_2) | instskip(SKIP_1) | instid1(VALU_DEP_3)
	v_lshlrev_b64 v[22:23], 2, v[5:6]
	v_add_nc_u32_e32 v5, -8, v3
	v_add_co_u32 v20, vcc_lo, s10, v20
	s_delay_alu instid0(VALU_DEP_4) | instskip(NEXT) | instid1(VALU_DEP_4)
	v_add_co_ci_u32_e32 v21, vcc_lo, s11, v21, vcc_lo
	v_add_co_u32 v22, vcc_lo, s10, v22
	s_delay_alu instid0(VALU_DEP_4)
	v_lshlrev_b64 v[24:25], 2, v[5:6]
	v_add_nc_u32_e32 v5, 2, v12
	v_add_co_ci_u32_e32 v23, vcc_lo, s11, v23, vcc_lo
	s_clause 0x1
	global_load_b32 v8, v[20:21], off
	global_load_b32 v32, v[22:23], off
	v_lshlrev_b64 v[20:21], 2, v[5:6]
	v_add_nc_u32_e32 v5, -6, v3
	v_add_co_u32 v22, vcc_lo, s8, v24
	v_add_co_ci_u32_e32 v23, vcc_lo, s9, v25, vcc_lo
	s_delay_alu instid0(VALU_DEP_3) | instskip(SKIP_3) | instid1(VALU_DEP_3)
	v_lshlrev_b64 v[24:25], 2, v[5:6]
	v_add_nc_u32_e32 v5, 3, v12
	v_add_co_u32 v20, vcc_lo, s10, v20
	v_add_co_ci_u32_e32 v21, vcc_lo, s11, v21, vcc_lo
	v_lshlrev_b64 v[26:27], 2, v[5:6]
	v_add_nc_u32_e32 v5, -4, v3
	global_load_b64 v[22:23], v[22:23], off
	global_load_b32 v33, v[20:21], off
	v_add_co_u32 v20, vcc_lo, s8, v24
	v_add_co_ci_u32_e32 v21, vcc_lo, s9, v25, vcc_lo
	v_lshlrev_b64 v[24:25], 2, v[5:6]
	v_add_nc_u32_e32 v5, 4, v12
	v_add_co_u32 v26, vcc_lo, s10, v26
	v_add_co_ci_u32_e32 v27, vcc_lo, s11, v27, vcc_lo
	s_delay_alu instid0(VALU_DEP_3) | instskip(SKIP_3) | instid1(VALU_DEP_4)
	v_lshlrev_b64 v[28:29], 2, v[5:6]
	v_add_co_u32 v24, vcc_lo, s8, v24
	v_add_co_ci_u32_e32 v25, vcc_lo, s9, v25, vcc_lo
	v_add_nc_u32_e32 v5, -2, v3
	v_add_co_u32 v28, vcc_lo, s10, v28
	global_load_b64 v[24:25], v[24:25], off
	v_add_co_ci_u32_e32 v29, vcc_lo, s11, v29, vcc_lo
	global_load_b32 v34, v[26:27], off
	global_load_b64 v[20:21], v[20:21], off
	v_add_nc_u32_e32 v3, 0x70, v3
	global_load_b32 v28, v[28:29], off
	v_lshlrev_b64 v[26:27], 2, v[5:6]
	v_add_nc_u32_e32 v5, 5, v12
	s_delay_alu instid0(VALU_DEP_1) | instskip(SKIP_1) | instid1(VALU_DEP_4)
	v_lshlrev_b64 v[30:31], 2, v[5:6]
	v_add_nc_u32_e32 v5, 6, v12
	v_add_co_u32 v12, vcc_lo, s8, v26
	v_add_co_ci_u32_e32 v13, vcc_lo, s9, v27, vcc_lo
	s_delay_alu instid0(VALU_DEP_3)
	v_lshlrev_b64 v[4:5], 2, v[5:6]
	v_add_co_u32 v26, vcc_lo, s10, v30
	v_add_co_ci_u32_e32 v27, vcc_lo, s11, v31, vcc_lo
	global_load_b64 v[12:13], v[12:13], off
	global_load_b32 v26, v[26:27], off
	v_add_co_u32 v4, vcc_lo, s10, v4
	v_add_co_ci_u32_e32 v5, vcc_lo, s11, v5, vcc_lo
	global_load_b64 v[16:17], v[16:17], off
	global_load_b32 v4, v[4:5], off
	v_cmp_ge_i32_e32 vcc_lo, v7, v11
	s_or_b32 s5, vcc_lo, s5
	s_waitcnt vmcnt(11)
	v_fmac_f32_e32 v9, v14, v8
	v_fmac_f32_e32 v10, v15, v8
	s_waitcnt vmcnt(10)
	s_delay_alu instid0(VALU_DEP_2) | instskip(SKIP_1) | instid1(VALU_DEP_1)
	v_fmac_f32_e32 v9, v18, v32
	s_waitcnt vmcnt(8)
	v_dual_fmac_f32 v10, v19, v32 :: v_dual_fmac_f32 v9, v22, v33
	s_waitcnt vmcnt(5)
	s_delay_alu instid0(VALU_DEP_1) | instskip(SKIP_1) | instid1(VALU_DEP_1)
	v_dual_fmac_f32 v10, v23, v33 :: v_dual_fmac_f32 v9, v20, v34
	s_waitcnt vmcnt(4)
	v_dual_fmac_f32 v10, v21, v34 :: v_dual_fmac_f32 v9, v24, v28
	s_waitcnt vmcnt(2)
	s_delay_alu instid0(VALU_DEP_1) | instskip(SKIP_1) | instid1(VALU_DEP_1)
	v_dual_fmac_f32 v10, v25, v28 :: v_dual_fmac_f32 v9, v12, v26
	s_waitcnt vmcnt(0)
	v_dual_fmac_f32 v10, v13, v26 :: v_dual_fmac_f32 v9, v16, v4
	s_delay_alu instid0(VALU_DEP_1)
	v_fmac_f32_e32 v10, v17, v4
	s_and_not1_b32 exec_lo, exec_lo, s5
	s_cbranch_execnz .LBB26_9
; %bb.10:
	s_or_b32 exec_lo, exec_lo, s5
.LBB26_11:
	s_delay_alu instid0(SALU_CYCLE_1) | instskip(NEXT) | instid1(SALU_CYCLE_1)
	s_or_b32 exec_lo, exec_lo, s4
	s_and_not1_b32 vcc_lo, exec_lo, s3
	s_cbranch_vccz .LBB26_13
	s_branch .LBB26_18
.LBB26_12:
                                        ; implicit-def: $vgpr9
                                        ; implicit-def: $vgpr10
.LBB26_13:
	v_dual_mov_b32 v9, 0 :: v_dual_mov_b32 v10, 0
	s_delay_alu instid0(VALU_DEP_2)
	s_and_saveexec_b32 s3, s2
	s_cbranch_execz .LBB26_17
; %bb.14:
	v_mad_u64_u32 v[4:5], null, v2, 14, 13
	v_dual_mov_b32 v7, 0 :: v_dual_mov_b32 v10, 0
	v_mov_b32_e32 v9, 0
	s_mov_b32 s2, 0
.LBB26_15:                              ; =>This Inner Loop Header: Depth=1
	v_ashrrev_i32_e32 v3, 31, v2
	s_delay_alu instid0(VALU_DEP_4) | instskip(SKIP_2) | instid1(VALU_DEP_4)
	v_add_nc_u32_e32 v12, -6, v4
	v_mov_b32_e32 v14, v7
	v_mov_b32_e32 v13, v7
	v_lshlrev_b64 v[5:6], 2, v[2:3]
	v_add_nc_u32_e32 v2, 8, v2
	s_delay_alu instid0(VALU_DEP_2) | instskip(NEXT) | instid1(VALU_DEP_3)
	v_add_co_u32 v5, vcc_lo, s6, v5
	v_add_co_ci_u32_e32 v6, vcc_lo, s7, v6, vcc_lo
	global_load_b32 v3, v[5:6], off
	v_dual_mov_b32 v5, v7 :: v_dual_add_nc_u32 v6, -13, v4
	v_lshlrev_b64 v[12:13], 2, v[12:13]
	s_delay_alu instid0(VALU_DEP_2) | instskip(NEXT) | instid1(VALU_DEP_3)
	v_lshlrev_b64 v[15:16], 2, v[6:7]
	v_lshlrev_b64 v[5:6], 2, v[4:5]
	s_delay_alu instid0(VALU_DEP_2) | instskip(NEXT) | instid1(VALU_DEP_3)
	v_add_co_u32 v15, vcc_lo, s8, v15
	v_add_co_ci_u32_e32 v16, vcc_lo, s9, v16, vcc_lo
	v_add_co_u32 v12, vcc_lo, s8, v12
	v_add_co_ci_u32_e32 v13, vcc_lo, s9, v13, vcc_lo
	s_clause 0x1
	global_load_b64 v[15:16], v[15:16], off
	global_load_b32 v8, v[12:13], off
	v_add_co_u32 v17, vcc_lo, s8, v5
	v_add_co_ci_u32_e32 v18, vcc_lo, s9, v6, vcc_lo
	s_waitcnt vmcnt(2)
	v_subrev_nc_u32_e32 v3, s18, v3
	s_delay_alu instid0(VALU_DEP_1) | instskip(NEXT) | instid1(VALU_DEP_1)
	v_mul_lo_u32 v13, v3, 7
	v_lshlrev_b64 v[19:20], 2, v[13:14]
	s_delay_alu instid0(VALU_DEP_1) | instskip(NEXT) | instid1(VALU_DEP_2)
	v_add_co_u32 v19, vcc_lo, s10, v19
	v_add_co_ci_u32_e32 v20, vcc_lo, s11, v20, vcc_lo
	global_load_b32 v3, v[19:20], off
	s_waitcnt vmcnt(0)
	v_dual_fmac_f32 v9, v15, v3 :: v_dual_add_nc_u32 v6, 1, v13
	s_delay_alu instid0(VALU_DEP_1) | instskip(SKIP_1) | instid1(VALU_DEP_2)
	v_lshlrev_b64 v[21:22], 2, v[6:7]
	v_fmac_f32_e32 v10, v8, v3
	v_add_co_u32 v19, vcc_lo, s10, v21
	s_delay_alu instid0(VALU_DEP_3) | instskip(SKIP_3) | instid1(VALU_DEP_1)
	v_add_co_ci_u32_e32 v20, vcc_lo, s11, v22, vcc_lo
	global_load_b32 v14, v[19:20], off
	s_waitcnt vmcnt(0)
	v_dual_fmac_f32 v9, v16, v14 :: v_dual_add_nc_u32 v6, -5, v4
	v_lshlrev_b64 v[23:24], 2, v[6:7]
	v_add_nc_u32_e32 v6, -11, v4
	s_delay_alu instid0(VALU_DEP_1) | instskip(SKIP_1) | instid1(VALU_DEP_4)
	v_lshlrev_b64 v[21:22], 2, v[6:7]
	v_add_nc_u32_e32 v6, 2, v13
	v_add_co_u32 v23, vcc_lo, s8, v23
	v_add_co_ci_u32_e32 v24, vcc_lo, s9, v24, vcc_lo
	s_delay_alu instid0(VALU_DEP_3) | instskip(SKIP_3) | instid1(VALU_DEP_4)
	v_lshlrev_b64 v[19:20], 2, v[6:7]
	v_add_co_u32 v21, vcc_lo, s8, v21
	v_add_nc_u32_e32 v6, -4, v4
	v_add_co_ci_u32_e32 v22, vcc_lo, s9, v22, vcc_lo
	v_add_co_u32 v19, vcc_lo, s10, v19
	s_clause 0x1
	global_load_b32 v25, v[23:24], off
	global_load_b32 v26, v[21:22], off
	v_lshlrev_b64 v[23:24], 2, v[6:7]
	v_add_co_ci_u32_e32 v20, vcc_lo, s11, v20, vcc_lo
	v_add_nc_u32_e32 v6, -10, v4
	global_load_b32 v27, v[19:20], off
	v_add_co_u32 v19, vcc_lo, s8, v23
	v_add_co_ci_u32_e32 v20, vcc_lo, s9, v24, vcc_lo
	global_load_b32 v28, v[19:20], off
	v_lshlrev_b64 v[21:22], 2, v[6:7]
	v_add_nc_u32_e32 v6, 3, v13
	s_delay_alu instid0(VALU_DEP_1) | instskip(SKIP_1) | instid1(VALU_DEP_4)
	v_lshlrev_b64 v[23:24], 2, v[6:7]
	v_add_nc_u32_e32 v6, -3, v4
	v_add_co_u32 v21, vcc_lo, s8, v21
	v_add_co_ci_u32_e32 v22, vcc_lo, s9, v22, vcc_lo
	s_delay_alu instid0(VALU_DEP_3)
	v_lshlrev_b64 v[19:20], 2, v[6:7]
	v_add_nc_u32_e32 v6, -9, v4
	global_load_b32 v29, v[21:22], off
	v_add_co_u32 v21, vcc_lo, s10, v23
	v_add_co_ci_u32_e32 v22, vcc_lo, s11, v24, vcc_lo
	v_lshlrev_b64 v[23:24], 2, v[6:7]
	v_add_nc_u32_e32 v6, 4, v13
	v_add_co_u32 v19, vcc_lo, s8, v19
	v_add_co_ci_u32_e32 v20, vcc_lo, s9, v20, vcc_lo
	global_load_b32 v30, v[21:22], off
	v_lshlrev_b64 v[21:22], 2, v[6:7]
	v_add_nc_u32_e32 v6, -2, v4
	global_load_b32 v31, v[19:20], off
	v_add_co_u32 v19, vcc_lo, s8, v23
	v_add_co_ci_u32_e32 v20, vcc_lo, s9, v24, vcc_lo
	v_lshlrev_b64 v[23:24], 2, v[6:7]
	v_add_nc_u32_e32 v6, -8, v4
	v_add_co_u32 v21, vcc_lo, s10, v21
	v_add_co_ci_u32_e32 v22, vcc_lo, s11, v22, vcc_lo
	global_load_b32 v32, v[19:20], off
	v_lshlrev_b64 v[19:20], 2, v[6:7]
	v_add_nc_u32_e32 v6, 5, v13
	global_load_b32 v33, v[21:22], off
	v_add_co_u32 v21, vcc_lo, s8, v23
	v_add_co_ci_u32_e32 v22, vcc_lo, s9, v24, vcc_lo
	v_add_co_u32 v19, vcc_lo, s8, v19
	v_lshlrev_b64 v[23:24], 2, v[6:7]
	v_add_nc_u32_e32 v6, -1, v4
	v_add_co_ci_u32_e32 v20, vcc_lo, s9, v20, vcc_lo
	s_clause 0x1
	global_load_b32 v34, v[21:22], off
	global_load_b32 v35, v[19:20], off
	v_lshlrev_b64 v[21:22], 2, v[6:7]
	v_add_nc_u32_e32 v6, -7, v4
	v_add_co_u32 v19, vcc_lo, s10, v23
	v_add_co_ci_u32_e32 v20, vcc_lo, s11, v24, vcc_lo
	s_delay_alu instid0(VALU_DEP_3) | instskip(SKIP_3) | instid1(VALU_DEP_3)
	v_lshlrev_b64 v[23:24], 2, v[6:7]
	v_add_nc_u32_e32 v6, 6, v13
	v_add_co_u32 v12, vcc_lo, s8, v21
	v_add_co_ci_u32_e32 v13, vcc_lo, s9, v22, vcc_lo
	v_lshlrev_b64 v[5:6], 2, v[6:7]
	global_load_b32 v19, v[19:20], off
	v_add_nc_u32_e32 v4, 0x70, v4
	global_load_b32 v20, v[12:13], off
	v_add_co_u32 v12, vcc_lo, s8, v23
	v_add_co_ci_u32_e32 v13, vcc_lo, s9, v24, vcc_lo
	v_add_co_u32 v5, vcc_lo, s10, v5
	v_add_co_ci_u32_e32 v6, vcc_lo, s11, v6, vcc_lo
	s_clause 0x1
	global_load_b32 v17, v[17:18], off
	global_load_b32 v12, v[12:13], off
	;; [unrolled: 1-line block ×3, first 2 shown]
	v_cmp_ge_i32_e32 vcc_lo, v2, v11
	s_or_b32 s2, vcc_lo, s2
	s_waitcnt vmcnt(13)
	v_dual_fmac_f32 v10, v25, v14 :: v_dual_fmac_f32 v9, v26, v27
	s_waitcnt vmcnt(10)
	s_delay_alu instid0(VALU_DEP_1) | instskip(SKIP_1) | instid1(VALU_DEP_1)
	v_dual_fmac_f32 v10, v28, v27 :: v_dual_fmac_f32 v9, v29, v30
	s_waitcnt vmcnt(7)
	v_dual_fmac_f32 v10, v31, v30 :: v_dual_fmac_f32 v9, v32, v33
	s_waitcnt vmcnt(4)
	s_delay_alu instid0(VALU_DEP_1) | instskip(SKIP_1) | instid1(VALU_DEP_1)
	v_dual_fmac_f32 v10, v34, v33 :: v_dual_fmac_f32 v9, v35, v19
	s_waitcnt vmcnt(3)
	v_fmac_f32_e32 v10, v20, v19
	s_waitcnt vmcnt(0)
	s_delay_alu instid0(VALU_DEP_2) | instskip(NEXT) | instid1(VALU_DEP_2)
	v_fmac_f32_e32 v9, v12, v5
	v_fmac_f32_e32 v10, v17, v5
	s_and_not1_b32 exec_lo, exec_lo, s2
	s_cbranch_execnz .LBB26_15
; %bb.16:
	s_or_b32 exec_lo, exec_lo, s2
.LBB26_17:
	s_delay_alu instid0(SALU_CYCLE_1)
	s_or_b32 exec_lo, exec_lo, s3
.LBB26_18:
	v_mbcnt_lo_u32_b32 v2, -1, 0
	s_mov_b32 s2, -1
	s_delay_alu instid0(VALU_DEP_1) | instskip(SKIP_2) | instid1(VALU_DEP_3)
	v_xor_b32_e32 v3, 4, v2
	v_xor_b32_e32 v5, 2, v2
	;; [unrolled: 1-line block ×3, first 2 shown]
	v_cmp_gt_i32_e32 vcc_lo, 32, v3
	v_cndmask_b32_e32 v3, v2, v3, vcc_lo
	s_delay_alu instid0(VALU_DEP_4) | instskip(NEXT) | instid1(VALU_DEP_2)
	v_cmp_gt_i32_e32 vcc_lo, 32, v5
	v_lshlrev_b32_e32 v3, 2, v3
	v_cndmask_b32_e32 v5, v2, v5, vcc_lo
	v_cmp_gt_i32_e32 vcc_lo, 32, v7
	ds_bpermute_b32 v4, v3, v9
	v_dual_cndmask_b32 v2, v2, v7 :: v_dual_lshlrev_b32 v5, 2, v5
	v_cmp_eq_u32_e32 vcc_lo, 7, v0
	s_waitcnt lgkmcnt(0)
	s_delay_alu instid0(VALU_DEP_2)
	v_dual_add_f32 v4, v9, v4 :: v_dual_lshlrev_b32 v7, 2, v2
	ds_bpermute_b32 v6, v5, v4
	s_waitcnt lgkmcnt(0)
	v_add_f32_e32 v2, v4, v6
	ds_bpermute_b32 v3, v3, v10
	ds_bpermute_b32 v4, v7, v2
	s_waitcnt lgkmcnt(1)
	v_add_f32_e32 v3, v10, v3
	ds_bpermute_b32 v5, v5, v3
	s_waitcnt lgkmcnt(0)
	v_add_f32_e32 v3, v3, v5
	ds_bpermute_b32 v5, v7, v3
	s_and_b32 exec_lo, exec_lo, vcc_lo
	s_cbranch_execz .LBB26_23
; %bb.19:
	s_load_b64 s[0:1], s[0:1], 0x38
	s_waitcnt lgkmcnt(0)
	v_dual_add_f32 v0, v2, v4 :: v_dual_add_f32 v3, v3, v5
	v_cmp_eq_f32_e64 s3, s12, 0
	s_delay_alu instid0(VALU_DEP_2) | instskip(SKIP_1) | instid1(VALU_DEP_3)
	v_dual_mul_f32 v2, s16, v0 :: v_dual_mul_f32 v3, s16, v3
	v_lshlrev_b32_e32 v0, 1, v1
	s_and_b32 vcc_lo, exec_lo, s3
	s_cbranch_vccz .LBB26_21
; %bb.20:
	s_delay_alu instid0(VALU_DEP_1) | instskip(SKIP_1) | instid1(VALU_DEP_1)
	v_ashrrev_i32_e32 v1, 31, v0
	s_mov_b32 s2, 0
	v_lshlrev_b64 v[4:5], 2, v[0:1]
	s_delay_alu instid0(VALU_DEP_1) | instskip(NEXT) | instid1(VALU_DEP_2)
	v_add_co_u32 v4, vcc_lo, s0, v4
	v_add_co_ci_u32_e32 v5, vcc_lo, s1, v5, vcc_lo
	global_store_b64 v[4:5], v[2:3], off
.LBB26_21:
	s_and_not1_b32 vcc_lo, exec_lo, s2
	s_cbranch_vccnz .LBB26_23
; %bb.22:
	v_ashrrev_i32_e32 v1, 31, v0
	s_delay_alu instid0(VALU_DEP_1) | instskip(NEXT) | instid1(VALU_DEP_1)
	v_lshlrev_b64 v[0:1], 2, v[0:1]
	v_add_co_u32 v0, vcc_lo, s0, v0
	s_delay_alu instid0(VALU_DEP_2)
	v_add_co_ci_u32_e32 v1, vcc_lo, s1, v1, vcc_lo
	global_load_b64 v[4:5], v[0:1], off
	s_waitcnt vmcnt(0)
	v_dual_fmac_f32 v2, s12, v4 :: v_dual_fmac_f32 v3, s12, v5
	global_store_b64 v[0:1], v[2:3], off
.LBB26_23:
	s_nop 0
	s_sendmsg sendmsg(MSG_DEALLOC_VGPRS)
	s_endpgm
	.section	.rodata,"a",@progbits
	.p2align	6, 0x0
	.amdhsa_kernel _ZN9rocsparseL19gebsrmvn_2xn_kernelILj128ELj7ELj8EfEEvi20rocsparse_direction_NS_24const_host_device_scalarIT2_EEPKiS6_PKS3_S8_S4_PS3_21rocsparse_index_base_b
		.amdhsa_group_segment_fixed_size 0
		.amdhsa_private_segment_fixed_size 0
		.amdhsa_kernarg_size 72
		.amdhsa_user_sgpr_count 15
		.amdhsa_user_sgpr_dispatch_ptr 0
		.amdhsa_user_sgpr_queue_ptr 0
		.amdhsa_user_sgpr_kernarg_segment_ptr 1
		.amdhsa_user_sgpr_dispatch_id 0
		.amdhsa_user_sgpr_private_segment_size 0
		.amdhsa_wavefront_size32 1
		.amdhsa_uses_dynamic_stack 0
		.amdhsa_enable_private_segment 0
		.amdhsa_system_sgpr_workgroup_id_x 1
		.amdhsa_system_sgpr_workgroup_id_y 0
		.amdhsa_system_sgpr_workgroup_id_z 0
		.amdhsa_system_sgpr_workgroup_info 0
		.amdhsa_system_vgpr_workitem_id 0
		.amdhsa_next_free_vgpr 36
		.amdhsa_next_free_sgpr 20
		.amdhsa_reserve_vcc 1
		.amdhsa_float_round_mode_32 0
		.amdhsa_float_round_mode_16_64 0
		.amdhsa_float_denorm_mode_32 3
		.amdhsa_float_denorm_mode_16_64 3
		.amdhsa_dx10_clamp 1
		.amdhsa_ieee_mode 1
		.amdhsa_fp16_overflow 0
		.amdhsa_workgroup_processor_mode 1
		.amdhsa_memory_ordered 1
		.amdhsa_forward_progress 0
		.amdhsa_shared_vgpr_count 0
		.amdhsa_exception_fp_ieee_invalid_op 0
		.amdhsa_exception_fp_denorm_src 0
		.amdhsa_exception_fp_ieee_div_zero 0
		.amdhsa_exception_fp_ieee_overflow 0
		.amdhsa_exception_fp_ieee_underflow 0
		.amdhsa_exception_fp_ieee_inexact 0
		.amdhsa_exception_int_div_zero 0
	.end_amdhsa_kernel
	.section	.text._ZN9rocsparseL19gebsrmvn_2xn_kernelILj128ELj7ELj8EfEEvi20rocsparse_direction_NS_24const_host_device_scalarIT2_EEPKiS6_PKS3_S8_S4_PS3_21rocsparse_index_base_b,"axG",@progbits,_ZN9rocsparseL19gebsrmvn_2xn_kernelILj128ELj7ELj8EfEEvi20rocsparse_direction_NS_24const_host_device_scalarIT2_EEPKiS6_PKS3_S8_S4_PS3_21rocsparse_index_base_b,comdat
.Lfunc_end26:
	.size	_ZN9rocsparseL19gebsrmvn_2xn_kernelILj128ELj7ELj8EfEEvi20rocsparse_direction_NS_24const_host_device_scalarIT2_EEPKiS6_PKS3_S8_S4_PS3_21rocsparse_index_base_b, .Lfunc_end26-_ZN9rocsparseL19gebsrmvn_2xn_kernelILj128ELj7ELj8EfEEvi20rocsparse_direction_NS_24const_host_device_scalarIT2_EEPKiS6_PKS3_S8_S4_PS3_21rocsparse_index_base_b
                                        ; -- End function
	.section	.AMDGPU.csdata,"",@progbits
; Kernel info:
; codeLenInByte = 2292
; NumSgprs: 22
; NumVgprs: 36
; ScratchSize: 0
; MemoryBound: 0
; FloatMode: 240
; IeeeMode: 1
; LDSByteSize: 0 bytes/workgroup (compile time only)
; SGPRBlocks: 2
; VGPRBlocks: 4
; NumSGPRsForWavesPerEU: 22
; NumVGPRsForWavesPerEU: 36
; Occupancy: 16
; WaveLimiterHint : 1
; COMPUTE_PGM_RSRC2:SCRATCH_EN: 0
; COMPUTE_PGM_RSRC2:USER_SGPR: 15
; COMPUTE_PGM_RSRC2:TRAP_HANDLER: 0
; COMPUTE_PGM_RSRC2:TGID_X_EN: 1
; COMPUTE_PGM_RSRC2:TGID_Y_EN: 0
; COMPUTE_PGM_RSRC2:TGID_Z_EN: 0
; COMPUTE_PGM_RSRC2:TIDIG_COMP_CNT: 0
	.section	.text._ZN9rocsparseL19gebsrmvn_2xn_kernelILj128ELj7ELj16EfEEvi20rocsparse_direction_NS_24const_host_device_scalarIT2_EEPKiS6_PKS3_S8_S4_PS3_21rocsparse_index_base_b,"axG",@progbits,_ZN9rocsparseL19gebsrmvn_2xn_kernelILj128ELj7ELj16EfEEvi20rocsparse_direction_NS_24const_host_device_scalarIT2_EEPKiS6_PKS3_S8_S4_PS3_21rocsparse_index_base_b,comdat
	.globl	_ZN9rocsparseL19gebsrmvn_2xn_kernelILj128ELj7ELj16EfEEvi20rocsparse_direction_NS_24const_host_device_scalarIT2_EEPKiS6_PKS3_S8_S4_PS3_21rocsparse_index_base_b ; -- Begin function _ZN9rocsparseL19gebsrmvn_2xn_kernelILj128ELj7ELj16EfEEvi20rocsparse_direction_NS_24const_host_device_scalarIT2_EEPKiS6_PKS3_S8_S4_PS3_21rocsparse_index_base_b
	.p2align	8
	.type	_ZN9rocsparseL19gebsrmvn_2xn_kernelILj128ELj7ELj16EfEEvi20rocsparse_direction_NS_24const_host_device_scalarIT2_EEPKiS6_PKS3_S8_S4_PS3_21rocsparse_index_base_b,@function
_ZN9rocsparseL19gebsrmvn_2xn_kernelILj128ELj7ELj16EfEEvi20rocsparse_direction_NS_24const_host_device_scalarIT2_EEPKiS6_PKS3_S8_S4_PS3_21rocsparse_index_base_b: ; @_ZN9rocsparseL19gebsrmvn_2xn_kernelILj128ELj7ELj16EfEEvi20rocsparse_direction_NS_24const_host_device_scalarIT2_EEPKiS6_PKS3_S8_S4_PS3_21rocsparse_index_base_b
; %bb.0:
	s_clause 0x2
	s_load_b64 s[18:19], s[0:1], 0x40
	s_load_b64 s[16:17], s[0:1], 0x8
	;; [unrolled: 1-line block ×3, first 2 shown]
	s_waitcnt lgkmcnt(0)
	s_bitcmp1_b32 s19, 0
	s_cselect_b32 s2, -1, 0
	s_delay_alu instid0(SALU_CYCLE_1)
	s_and_b32 vcc_lo, exec_lo, s2
	s_xor_b32 s2, s2, -1
	s_cbranch_vccnz .LBB27_2
; %bb.1:
	s_load_b32 s16, s[16:17], 0x0
.LBB27_2:
	s_and_not1_b32 vcc_lo, exec_lo, s2
	s_cbranch_vccnz .LBB27_4
; %bb.3:
	s_load_b32 s12, s[12:13], 0x0
.LBB27_4:
	s_waitcnt lgkmcnt(0)
	v_cmp_eq_f32_e64 s2, s16, 0
	v_cmp_eq_f32_e64 s3, s12, 1.0
	s_delay_alu instid0(VALU_DEP_1) | instskip(NEXT) | instid1(SALU_CYCLE_1)
	s_and_b32 s2, s2, s3
	s_and_b32 vcc_lo, exec_lo, s2
	s_cbranch_vccnz .LBB27_23
; %bb.5:
	s_load_b64 s[2:3], s[0:1], 0x0
	v_lshrrev_b32_e32 v1, 4, v0
	s_delay_alu instid0(VALU_DEP_1) | instskip(SKIP_1) | instid1(VALU_DEP_1)
	v_lshl_or_b32 v1, s15, 3, v1
	s_waitcnt lgkmcnt(0)
	v_cmp_gt_i32_e32 vcc_lo, s2, v1
	s_and_saveexec_b32 s2, vcc_lo
	s_cbranch_execz .LBB27_23
; %bb.6:
	s_load_b256 s[4:11], s[0:1], 0x10
	v_ashrrev_i32_e32 v2, 31, v1
	v_and_b32_e32 v0, 15, v0
	s_cmp_lg_u32 s3, 0
	s_delay_alu instid0(VALU_DEP_2) | instskip(SKIP_1) | instid1(VALU_DEP_1)
	v_lshlrev_b64 v[2:3], 2, v[1:2]
	s_waitcnt lgkmcnt(0)
	v_add_co_u32 v2, vcc_lo, s4, v2
	s_delay_alu instid0(VALU_DEP_2) | instskip(SKIP_4) | instid1(VALU_DEP_2)
	v_add_co_ci_u32_e32 v3, vcc_lo, s5, v3, vcc_lo
	global_load_b64 v[2:3], v[2:3], off
	s_waitcnt vmcnt(0)
	v_subrev_nc_u32_e32 v2, s18, v2
	v_subrev_nc_u32_e32 v11, s18, v3
	v_add_nc_u32_e32 v2, v2, v0
	s_delay_alu instid0(VALU_DEP_1)
	v_cmp_lt_i32_e64 s2, v2, v11
	s_cbranch_scc0 .LBB27_12
; %bb.7:
	v_dual_mov_b32 v9, 0 :: v_dual_mov_b32 v10, 0
	s_mov_b32 s3, 0
	s_delay_alu instid0(VALU_DEP_2)
	s_and_saveexec_b32 s4, s2
	s_cbranch_execz .LBB27_11
; %bb.8:
	v_mad_u64_u32 v[3:4], null, v2, 14, 12
	v_dual_mov_b32 v6, 0 :: v_dual_mov_b32 v7, v2
	v_dual_mov_b32 v9, 0 :: v_dual_mov_b32 v10, 0
	s_mov_b32 s5, 0
.LBB27_9:                               ; =>This Inner Loop Header: Depth=1
	s_delay_alu instid0(VALU_DEP_2) | instskip(NEXT) | instid1(VALU_DEP_1)
	v_ashrrev_i32_e32 v8, 31, v7
	v_lshlrev_b64 v[4:5], 2, v[7:8]
	v_add_nc_u32_e32 v7, 16, v7
	s_delay_alu instid0(VALU_DEP_2) | instskip(NEXT) | instid1(VALU_DEP_3)
	v_add_co_u32 v4, vcc_lo, s6, v4
	v_add_co_ci_u32_e32 v5, vcc_lo, s7, v5, vcc_lo
	global_load_b32 v8, v[4:5], off
	v_dual_mov_b32 v4, v6 :: v_dual_add_nc_u32 v5, -12, v3
	s_delay_alu instid0(VALU_DEP_1) | instskip(SKIP_1) | instid1(VALU_DEP_3)
	v_lshlrev_b64 v[14:15], 2, v[5:6]
	v_add_nc_u32_e32 v5, -10, v3
	v_lshlrev_b64 v[16:17], 2, v[3:4]
	s_delay_alu instid0(VALU_DEP_2) | instskip(NEXT) | instid1(VALU_DEP_4)
	v_lshlrev_b64 v[4:5], 2, v[5:6]
	v_add_co_u32 v14, vcc_lo, s8, v14
	v_add_co_ci_u32_e32 v15, vcc_lo, s9, v15, vcc_lo
	s_delay_alu instid0(VALU_DEP_4)
	v_add_co_u32 v16, vcc_lo, s8, v16
	v_add_co_ci_u32_e32 v17, vcc_lo, s9, v17, vcc_lo
	v_add_co_u32 v4, vcc_lo, s8, v4
	v_add_co_ci_u32_e32 v5, vcc_lo, s9, v5, vcc_lo
	s_clause 0x1
	global_load_b64 v[14:15], v[14:15], off
	global_load_b64 v[18:19], v[4:5], off
	v_mov_b32_e32 v13, v6
	s_waitcnt vmcnt(2)
	v_subrev_nc_u32_e32 v4, s18, v8
	s_delay_alu instid0(VALU_DEP_1) | instskip(NEXT) | instid1(VALU_DEP_1)
	v_mul_lo_u32 v12, v4, 7
	v_add_nc_u32_e32 v5, 1, v12
	v_lshlrev_b64 v[20:21], 2, v[12:13]
	s_delay_alu instid0(VALU_DEP_2) | instskip(SKIP_1) | instid1(VALU_DEP_3)
	v_lshlrev_b64 v[22:23], 2, v[5:6]
	v_add_nc_u32_e32 v5, -8, v3
	v_add_co_u32 v20, vcc_lo, s10, v20
	s_delay_alu instid0(VALU_DEP_4) | instskip(NEXT) | instid1(VALU_DEP_4)
	v_add_co_ci_u32_e32 v21, vcc_lo, s11, v21, vcc_lo
	v_add_co_u32 v22, vcc_lo, s10, v22
	s_delay_alu instid0(VALU_DEP_4)
	v_lshlrev_b64 v[24:25], 2, v[5:6]
	v_add_nc_u32_e32 v5, 2, v12
	v_add_co_ci_u32_e32 v23, vcc_lo, s11, v23, vcc_lo
	s_clause 0x1
	global_load_b32 v8, v[20:21], off
	global_load_b32 v32, v[22:23], off
	v_lshlrev_b64 v[20:21], 2, v[5:6]
	v_add_nc_u32_e32 v5, -6, v3
	v_add_co_u32 v22, vcc_lo, s8, v24
	v_add_co_ci_u32_e32 v23, vcc_lo, s9, v25, vcc_lo
	s_delay_alu instid0(VALU_DEP_3) | instskip(SKIP_3) | instid1(VALU_DEP_3)
	v_lshlrev_b64 v[24:25], 2, v[5:6]
	v_add_nc_u32_e32 v5, 3, v12
	v_add_co_u32 v20, vcc_lo, s10, v20
	v_add_co_ci_u32_e32 v21, vcc_lo, s11, v21, vcc_lo
	v_lshlrev_b64 v[26:27], 2, v[5:6]
	v_add_nc_u32_e32 v5, -4, v3
	global_load_b64 v[22:23], v[22:23], off
	global_load_b32 v33, v[20:21], off
	v_add_co_u32 v20, vcc_lo, s8, v24
	v_add_co_ci_u32_e32 v21, vcc_lo, s9, v25, vcc_lo
	v_lshlrev_b64 v[24:25], 2, v[5:6]
	v_add_nc_u32_e32 v5, 4, v12
	v_add_co_u32 v26, vcc_lo, s10, v26
	v_add_co_ci_u32_e32 v27, vcc_lo, s11, v27, vcc_lo
	s_delay_alu instid0(VALU_DEP_3) | instskip(SKIP_3) | instid1(VALU_DEP_4)
	v_lshlrev_b64 v[28:29], 2, v[5:6]
	v_add_co_u32 v24, vcc_lo, s8, v24
	v_add_co_ci_u32_e32 v25, vcc_lo, s9, v25, vcc_lo
	v_add_nc_u32_e32 v5, -2, v3
	v_add_co_u32 v28, vcc_lo, s10, v28
	global_load_b64 v[24:25], v[24:25], off
	v_add_co_ci_u32_e32 v29, vcc_lo, s11, v29, vcc_lo
	global_load_b32 v34, v[26:27], off
	global_load_b64 v[20:21], v[20:21], off
	v_add_nc_u32_e32 v3, 0xe0, v3
	global_load_b32 v28, v[28:29], off
	v_lshlrev_b64 v[26:27], 2, v[5:6]
	v_add_nc_u32_e32 v5, 5, v12
	s_delay_alu instid0(VALU_DEP_1) | instskip(SKIP_1) | instid1(VALU_DEP_4)
	v_lshlrev_b64 v[30:31], 2, v[5:6]
	v_add_nc_u32_e32 v5, 6, v12
	v_add_co_u32 v12, vcc_lo, s8, v26
	v_add_co_ci_u32_e32 v13, vcc_lo, s9, v27, vcc_lo
	s_delay_alu instid0(VALU_DEP_3)
	v_lshlrev_b64 v[4:5], 2, v[5:6]
	v_add_co_u32 v26, vcc_lo, s10, v30
	v_add_co_ci_u32_e32 v27, vcc_lo, s11, v31, vcc_lo
	global_load_b64 v[12:13], v[12:13], off
	global_load_b32 v26, v[26:27], off
	v_add_co_u32 v4, vcc_lo, s10, v4
	v_add_co_ci_u32_e32 v5, vcc_lo, s11, v5, vcc_lo
	global_load_b64 v[16:17], v[16:17], off
	global_load_b32 v4, v[4:5], off
	v_cmp_ge_i32_e32 vcc_lo, v7, v11
	s_or_b32 s5, vcc_lo, s5
	s_waitcnt vmcnt(11)
	v_fmac_f32_e32 v9, v14, v8
	v_fmac_f32_e32 v10, v15, v8
	s_waitcnt vmcnt(10)
	s_delay_alu instid0(VALU_DEP_2) | instskip(SKIP_1) | instid1(VALU_DEP_1)
	v_fmac_f32_e32 v9, v18, v32
	s_waitcnt vmcnt(8)
	v_dual_fmac_f32 v10, v19, v32 :: v_dual_fmac_f32 v9, v22, v33
	s_waitcnt vmcnt(5)
	s_delay_alu instid0(VALU_DEP_1) | instskip(SKIP_1) | instid1(VALU_DEP_1)
	v_dual_fmac_f32 v10, v23, v33 :: v_dual_fmac_f32 v9, v20, v34
	s_waitcnt vmcnt(4)
	v_dual_fmac_f32 v10, v21, v34 :: v_dual_fmac_f32 v9, v24, v28
	s_waitcnt vmcnt(2)
	s_delay_alu instid0(VALU_DEP_1) | instskip(SKIP_1) | instid1(VALU_DEP_1)
	v_dual_fmac_f32 v10, v25, v28 :: v_dual_fmac_f32 v9, v12, v26
	s_waitcnt vmcnt(0)
	v_dual_fmac_f32 v10, v13, v26 :: v_dual_fmac_f32 v9, v16, v4
	s_delay_alu instid0(VALU_DEP_1)
	v_fmac_f32_e32 v10, v17, v4
	s_and_not1_b32 exec_lo, exec_lo, s5
	s_cbranch_execnz .LBB27_9
; %bb.10:
	s_or_b32 exec_lo, exec_lo, s5
.LBB27_11:
	s_delay_alu instid0(SALU_CYCLE_1) | instskip(NEXT) | instid1(SALU_CYCLE_1)
	s_or_b32 exec_lo, exec_lo, s4
	s_and_not1_b32 vcc_lo, exec_lo, s3
	s_cbranch_vccz .LBB27_13
	s_branch .LBB27_18
.LBB27_12:
                                        ; implicit-def: $vgpr9
                                        ; implicit-def: $vgpr10
.LBB27_13:
	v_dual_mov_b32 v9, 0 :: v_dual_mov_b32 v10, 0
	s_delay_alu instid0(VALU_DEP_2)
	s_and_saveexec_b32 s3, s2
	s_cbranch_execz .LBB27_17
; %bb.14:
	v_mad_u64_u32 v[4:5], null, v2, 14, 13
	v_dual_mov_b32 v7, 0 :: v_dual_mov_b32 v10, 0
	v_mov_b32_e32 v9, 0
	s_mov_b32 s2, 0
.LBB27_15:                              ; =>This Inner Loop Header: Depth=1
	v_ashrrev_i32_e32 v3, 31, v2
	s_delay_alu instid0(VALU_DEP_4) | instskip(SKIP_2) | instid1(VALU_DEP_4)
	v_add_nc_u32_e32 v12, -6, v4
	v_mov_b32_e32 v14, v7
	v_mov_b32_e32 v13, v7
	v_lshlrev_b64 v[5:6], 2, v[2:3]
	v_add_nc_u32_e32 v2, 16, v2
	s_delay_alu instid0(VALU_DEP_2) | instskip(NEXT) | instid1(VALU_DEP_3)
	v_add_co_u32 v5, vcc_lo, s6, v5
	v_add_co_ci_u32_e32 v6, vcc_lo, s7, v6, vcc_lo
	global_load_b32 v3, v[5:6], off
	v_dual_mov_b32 v5, v7 :: v_dual_add_nc_u32 v6, -13, v4
	v_lshlrev_b64 v[12:13], 2, v[12:13]
	s_delay_alu instid0(VALU_DEP_2) | instskip(NEXT) | instid1(VALU_DEP_3)
	v_lshlrev_b64 v[15:16], 2, v[6:7]
	v_lshlrev_b64 v[5:6], 2, v[4:5]
	s_delay_alu instid0(VALU_DEP_2) | instskip(NEXT) | instid1(VALU_DEP_3)
	v_add_co_u32 v15, vcc_lo, s8, v15
	v_add_co_ci_u32_e32 v16, vcc_lo, s9, v16, vcc_lo
	v_add_co_u32 v12, vcc_lo, s8, v12
	v_add_co_ci_u32_e32 v13, vcc_lo, s9, v13, vcc_lo
	s_clause 0x1
	global_load_b64 v[15:16], v[15:16], off
	global_load_b32 v8, v[12:13], off
	v_add_co_u32 v17, vcc_lo, s8, v5
	v_add_co_ci_u32_e32 v18, vcc_lo, s9, v6, vcc_lo
	s_waitcnt vmcnt(2)
	v_subrev_nc_u32_e32 v3, s18, v3
	s_delay_alu instid0(VALU_DEP_1) | instskip(NEXT) | instid1(VALU_DEP_1)
	v_mul_lo_u32 v13, v3, 7
	v_lshlrev_b64 v[19:20], 2, v[13:14]
	s_delay_alu instid0(VALU_DEP_1) | instskip(NEXT) | instid1(VALU_DEP_2)
	v_add_co_u32 v19, vcc_lo, s10, v19
	v_add_co_ci_u32_e32 v20, vcc_lo, s11, v20, vcc_lo
	global_load_b32 v3, v[19:20], off
	s_waitcnt vmcnt(0)
	v_dual_fmac_f32 v9, v15, v3 :: v_dual_add_nc_u32 v6, 1, v13
	s_delay_alu instid0(VALU_DEP_1) | instskip(SKIP_1) | instid1(VALU_DEP_2)
	v_lshlrev_b64 v[21:22], 2, v[6:7]
	v_fmac_f32_e32 v10, v8, v3
	v_add_co_u32 v19, vcc_lo, s10, v21
	s_delay_alu instid0(VALU_DEP_3) | instskip(SKIP_3) | instid1(VALU_DEP_1)
	v_add_co_ci_u32_e32 v20, vcc_lo, s11, v22, vcc_lo
	global_load_b32 v14, v[19:20], off
	s_waitcnt vmcnt(0)
	v_dual_fmac_f32 v9, v16, v14 :: v_dual_add_nc_u32 v6, -5, v4
	v_lshlrev_b64 v[23:24], 2, v[6:7]
	v_add_nc_u32_e32 v6, -11, v4
	s_delay_alu instid0(VALU_DEP_1) | instskip(SKIP_1) | instid1(VALU_DEP_4)
	v_lshlrev_b64 v[21:22], 2, v[6:7]
	v_add_nc_u32_e32 v6, 2, v13
	v_add_co_u32 v23, vcc_lo, s8, v23
	v_add_co_ci_u32_e32 v24, vcc_lo, s9, v24, vcc_lo
	s_delay_alu instid0(VALU_DEP_3) | instskip(SKIP_3) | instid1(VALU_DEP_4)
	v_lshlrev_b64 v[19:20], 2, v[6:7]
	v_add_co_u32 v21, vcc_lo, s8, v21
	v_add_nc_u32_e32 v6, -4, v4
	v_add_co_ci_u32_e32 v22, vcc_lo, s9, v22, vcc_lo
	v_add_co_u32 v19, vcc_lo, s10, v19
	s_clause 0x1
	global_load_b32 v25, v[23:24], off
	global_load_b32 v26, v[21:22], off
	v_lshlrev_b64 v[23:24], 2, v[6:7]
	v_add_co_ci_u32_e32 v20, vcc_lo, s11, v20, vcc_lo
	v_add_nc_u32_e32 v6, -10, v4
	global_load_b32 v27, v[19:20], off
	v_add_co_u32 v19, vcc_lo, s8, v23
	v_add_co_ci_u32_e32 v20, vcc_lo, s9, v24, vcc_lo
	global_load_b32 v28, v[19:20], off
	v_lshlrev_b64 v[21:22], 2, v[6:7]
	v_add_nc_u32_e32 v6, 3, v13
	s_delay_alu instid0(VALU_DEP_1) | instskip(SKIP_1) | instid1(VALU_DEP_4)
	v_lshlrev_b64 v[23:24], 2, v[6:7]
	v_add_nc_u32_e32 v6, -3, v4
	v_add_co_u32 v21, vcc_lo, s8, v21
	v_add_co_ci_u32_e32 v22, vcc_lo, s9, v22, vcc_lo
	s_delay_alu instid0(VALU_DEP_3)
	v_lshlrev_b64 v[19:20], 2, v[6:7]
	v_add_nc_u32_e32 v6, -9, v4
	global_load_b32 v29, v[21:22], off
	v_add_co_u32 v21, vcc_lo, s10, v23
	v_add_co_ci_u32_e32 v22, vcc_lo, s11, v24, vcc_lo
	v_lshlrev_b64 v[23:24], 2, v[6:7]
	v_add_nc_u32_e32 v6, 4, v13
	v_add_co_u32 v19, vcc_lo, s8, v19
	v_add_co_ci_u32_e32 v20, vcc_lo, s9, v20, vcc_lo
	global_load_b32 v30, v[21:22], off
	v_lshlrev_b64 v[21:22], 2, v[6:7]
	v_add_nc_u32_e32 v6, -2, v4
	global_load_b32 v31, v[19:20], off
	v_add_co_u32 v19, vcc_lo, s8, v23
	v_add_co_ci_u32_e32 v20, vcc_lo, s9, v24, vcc_lo
	v_lshlrev_b64 v[23:24], 2, v[6:7]
	v_add_nc_u32_e32 v6, -8, v4
	v_add_co_u32 v21, vcc_lo, s10, v21
	v_add_co_ci_u32_e32 v22, vcc_lo, s11, v22, vcc_lo
	global_load_b32 v32, v[19:20], off
	v_lshlrev_b64 v[19:20], 2, v[6:7]
	v_add_nc_u32_e32 v6, 5, v13
	global_load_b32 v33, v[21:22], off
	v_add_co_u32 v21, vcc_lo, s8, v23
	v_add_co_ci_u32_e32 v22, vcc_lo, s9, v24, vcc_lo
	v_add_co_u32 v19, vcc_lo, s8, v19
	v_lshlrev_b64 v[23:24], 2, v[6:7]
	v_add_nc_u32_e32 v6, -1, v4
	v_add_co_ci_u32_e32 v20, vcc_lo, s9, v20, vcc_lo
	s_clause 0x1
	global_load_b32 v34, v[21:22], off
	global_load_b32 v35, v[19:20], off
	v_lshlrev_b64 v[21:22], 2, v[6:7]
	v_add_nc_u32_e32 v6, -7, v4
	v_add_co_u32 v19, vcc_lo, s10, v23
	v_add_co_ci_u32_e32 v20, vcc_lo, s11, v24, vcc_lo
	s_delay_alu instid0(VALU_DEP_3) | instskip(SKIP_3) | instid1(VALU_DEP_3)
	v_lshlrev_b64 v[23:24], 2, v[6:7]
	v_add_nc_u32_e32 v6, 6, v13
	v_add_co_u32 v12, vcc_lo, s8, v21
	v_add_co_ci_u32_e32 v13, vcc_lo, s9, v22, vcc_lo
	v_lshlrev_b64 v[5:6], 2, v[6:7]
	global_load_b32 v19, v[19:20], off
	v_add_nc_u32_e32 v4, 0xe0, v4
	global_load_b32 v20, v[12:13], off
	v_add_co_u32 v12, vcc_lo, s8, v23
	v_add_co_ci_u32_e32 v13, vcc_lo, s9, v24, vcc_lo
	v_add_co_u32 v5, vcc_lo, s10, v5
	v_add_co_ci_u32_e32 v6, vcc_lo, s11, v6, vcc_lo
	s_clause 0x1
	global_load_b32 v17, v[17:18], off
	global_load_b32 v12, v[12:13], off
	;; [unrolled: 1-line block ×3, first 2 shown]
	v_cmp_ge_i32_e32 vcc_lo, v2, v11
	s_or_b32 s2, vcc_lo, s2
	s_waitcnt vmcnt(13)
	v_dual_fmac_f32 v10, v25, v14 :: v_dual_fmac_f32 v9, v26, v27
	s_waitcnt vmcnt(10)
	s_delay_alu instid0(VALU_DEP_1) | instskip(SKIP_1) | instid1(VALU_DEP_1)
	v_dual_fmac_f32 v10, v28, v27 :: v_dual_fmac_f32 v9, v29, v30
	s_waitcnt vmcnt(7)
	v_dual_fmac_f32 v10, v31, v30 :: v_dual_fmac_f32 v9, v32, v33
	s_waitcnt vmcnt(4)
	s_delay_alu instid0(VALU_DEP_1) | instskip(SKIP_1) | instid1(VALU_DEP_1)
	v_dual_fmac_f32 v10, v34, v33 :: v_dual_fmac_f32 v9, v35, v19
	s_waitcnt vmcnt(3)
	v_fmac_f32_e32 v10, v20, v19
	s_waitcnt vmcnt(0)
	s_delay_alu instid0(VALU_DEP_2) | instskip(NEXT) | instid1(VALU_DEP_2)
	v_fmac_f32_e32 v9, v12, v5
	v_fmac_f32_e32 v10, v17, v5
	s_and_not1_b32 exec_lo, exec_lo, s2
	s_cbranch_execnz .LBB27_15
; %bb.16:
	s_or_b32 exec_lo, exec_lo, s2
.LBB27_17:
	s_delay_alu instid0(SALU_CYCLE_1)
	s_or_b32 exec_lo, exec_lo, s3
.LBB27_18:
	v_mbcnt_lo_u32_b32 v2, -1, 0
	s_mov_b32 s2, -1
	s_delay_alu instid0(VALU_DEP_1) | instskip(SKIP_2) | instid1(VALU_DEP_3)
	v_xor_b32_e32 v3, 8, v2
	v_xor_b32_e32 v5, 4, v2
	;; [unrolled: 1-line block ×3, first 2 shown]
	v_cmp_gt_i32_e32 vcc_lo, 32, v3
	v_cndmask_b32_e32 v3, v2, v3, vcc_lo
	s_delay_alu instid0(VALU_DEP_4) | instskip(NEXT) | instid1(VALU_DEP_2)
	v_cmp_gt_i32_e32 vcc_lo, 32, v5
	v_lshlrev_b32_e32 v3, 2, v3
	v_cndmask_b32_e32 v5, v2, v5, vcc_lo
	v_cmp_gt_i32_e32 vcc_lo, 32, v7
	ds_bpermute_b32 v4, v3, v9
	v_lshlrev_b32_e32 v5, 2, v5
	v_cndmask_b32_e32 v7, v2, v7, vcc_lo
	s_waitcnt lgkmcnt(0)
	s_delay_alu instid0(VALU_DEP_1)
	v_dual_add_f32 v4, v9, v4 :: v_dual_lshlrev_b32 v7, 2, v7
	ds_bpermute_b32 v6, v5, v4
	s_waitcnt lgkmcnt(0)
	v_add_f32_e32 v4, v4, v6
	ds_bpermute_b32 v3, v3, v10
	s_waitcnt lgkmcnt(0)
	v_add_f32_e32 v3, v10, v3
	;; [unrolled: 3-line block ×3, first 2 shown]
	ds_bpermute_b32 v5, v7, v4
	ds_bpermute_b32 v6, v7, v3
	v_xor_b32_e32 v7, 1, v2
	s_delay_alu instid0(VALU_DEP_1) | instskip(SKIP_3) | instid1(VALU_DEP_2)
	v_cmp_gt_i32_e32 vcc_lo, 32, v7
	v_cndmask_b32_e32 v2, v2, v7, vcc_lo
	v_cmp_eq_u32_e32 vcc_lo, 15, v0
	s_waitcnt lgkmcnt(1)
	v_dual_add_f32 v2, v4, v5 :: v_dual_lshlrev_b32 v7, 2, v2
	s_waitcnt lgkmcnt(0)
	v_add_f32_e32 v3, v3, v6
	ds_bpermute_b32 v4, v7, v2
	ds_bpermute_b32 v5, v7, v3
	s_and_b32 exec_lo, exec_lo, vcc_lo
	s_cbranch_execz .LBB27_23
; %bb.19:
	s_load_b64 s[0:1], s[0:1], 0x38
	s_waitcnt lgkmcnt(0)
	v_dual_add_f32 v0, v2, v4 :: v_dual_add_f32 v3, v3, v5
	v_cmp_eq_f32_e64 s3, s12, 0
	s_delay_alu instid0(VALU_DEP_2) | instskip(SKIP_1) | instid1(VALU_DEP_3)
	v_dual_mul_f32 v2, s16, v0 :: v_dual_mul_f32 v3, s16, v3
	v_lshlrev_b32_e32 v0, 1, v1
	s_and_b32 vcc_lo, exec_lo, s3
	s_cbranch_vccz .LBB27_21
; %bb.20:
	s_delay_alu instid0(VALU_DEP_1) | instskip(SKIP_1) | instid1(VALU_DEP_1)
	v_ashrrev_i32_e32 v1, 31, v0
	s_mov_b32 s2, 0
	v_lshlrev_b64 v[4:5], 2, v[0:1]
	s_delay_alu instid0(VALU_DEP_1) | instskip(NEXT) | instid1(VALU_DEP_2)
	v_add_co_u32 v4, vcc_lo, s0, v4
	v_add_co_ci_u32_e32 v5, vcc_lo, s1, v5, vcc_lo
	global_store_b64 v[4:5], v[2:3], off
.LBB27_21:
	s_and_not1_b32 vcc_lo, exec_lo, s2
	s_cbranch_vccnz .LBB27_23
; %bb.22:
	v_ashrrev_i32_e32 v1, 31, v0
	s_delay_alu instid0(VALU_DEP_1) | instskip(NEXT) | instid1(VALU_DEP_1)
	v_lshlrev_b64 v[0:1], 2, v[0:1]
	v_add_co_u32 v0, vcc_lo, s0, v0
	s_delay_alu instid0(VALU_DEP_2)
	v_add_co_ci_u32_e32 v1, vcc_lo, s1, v1, vcc_lo
	global_load_b64 v[4:5], v[0:1], off
	s_waitcnt vmcnt(0)
	v_dual_fmac_f32 v2, s12, v4 :: v_dual_fmac_f32 v3, s12, v5
	global_store_b64 v[0:1], v[2:3], off
.LBB27_23:
	s_nop 0
	s_sendmsg sendmsg(MSG_DEALLOC_VGPRS)
	s_endpgm
	.section	.rodata,"a",@progbits
	.p2align	6, 0x0
	.amdhsa_kernel _ZN9rocsparseL19gebsrmvn_2xn_kernelILj128ELj7ELj16EfEEvi20rocsparse_direction_NS_24const_host_device_scalarIT2_EEPKiS6_PKS3_S8_S4_PS3_21rocsparse_index_base_b
		.amdhsa_group_segment_fixed_size 0
		.amdhsa_private_segment_fixed_size 0
		.amdhsa_kernarg_size 72
		.amdhsa_user_sgpr_count 15
		.amdhsa_user_sgpr_dispatch_ptr 0
		.amdhsa_user_sgpr_queue_ptr 0
		.amdhsa_user_sgpr_kernarg_segment_ptr 1
		.amdhsa_user_sgpr_dispatch_id 0
		.amdhsa_user_sgpr_private_segment_size 0
		.amdhsa_wavefront_size32 1
		.amdhsa_uses_dynamic_stack 0
		.amdhsa_enable_private_segment 0
		.amdhsa_system_sgpr_workgroup_id_x 1
		.amdhsa_system_sgpr_workgroup_id_y 0
		.amdhsa_system_sgpr_workgroup_id_z 0
		.amdhsa_system_sgpr_workgroup_info 0
		.amdhsa_system_vgpr_workitem_id 0
		.amdhsa_next_free_vgpr 36
		.amdhsa_next_free_sgpr 20
		.amdhsa_reserve_vcc 1
		.amdhsa_float_round_mode_32 0
		.amdhsa_float_round_mode_16_64 0
		.amdhsa_float_denorm_mode_32 3
		.amdhsa_float_denorm_mode_16_64 3
		.amdhsa_dx10_clamp 1
		.amdhsa_ieee_mode 1
		.amdhsa_fp16_overflow 0
		.amdhsa_workgroup_processor_mode 1
		.amdhsa_memory_ordered 1
		.amdhsa_forward_progress 0
		.amdhsa_shared_vgpr_count 0
		.amdhsa_exception_fp_ieee_invalid_op 0
		.amdhsa_exception_fp_denorm_src 0
		.amdhsa_exception_fp_ieee_div_zero 0
		.amdhsa_exception_fp_ieee_overflow 0
		.amdhsa_exception_fp_ieee_underflow 0
		.amdhsa_exception_fp_ieee_inexact 0
		.amdhsa_exception_int_div_zero 0
	.end_amdhsa_kernel
	.section	.text._ZN9rocsparseL19gebsrmvn_2xn_kernelILj128ELj7ELj16EfEEvi20rocsparse_direction_NS_24const_host_device_scalarIT2_EEPKiS6_PKS3_S8_S4_PS3_21rocsparse_index_base_b,"axG",@progbits,_ZN9rocsparseL19gebsrmvn_2xn_kernelILj128ELj7ELj16EfEEvi20rocsparse_direction_NS_24const_host_device_scalarIT2_EEPKiS6_PKS3_S8_S4_PS3_21rocsparse_index_base_b,comdat
.Lfunc_end27:
	.size	_ZN9rocsparseL19gebsrmvn_2xn_kernelILj128ELj7ELj16EfEEvi20rocsparse_direction_NS_24const_host_device_scalarIT2_EEPKiS6_PKS3_S8_S4_PS3_21rocsparse_index_base_b, .Lfunc_end27-_ZN9rocsparseL19gebsrmvn_2xn_kernelILj128ELj7ELj16EfEEvi20rocsparse_direction_NS_24const_host_device_scalarIT2_EEPKiS6_PKS3_S8_S4_PS3_21rocsparse_index_base_b
                                        ; -- End function
	.section	.AMDGPU.csdata,"",@progbits
; Kernel info:
; codeLenInByte = 2344
; NumSgprs: 22
; NumVgprs: 36
; ScratchSize: 0
; MemoryBound: 0
; FloatMode: 240
; IeeeMode: 1
; LDSByteSize: 0 bytes/workgroup (compile time only)
; SGPRBlocks: 2
; VGPRBlocks: 4
; NumSGPRsForWavesPerEU: 22
; NumVGPRsForWavesPerEU: 36
; Occupancy: 16
; WaveLimiterHint : 1
; COMPUTE_PGM_RSRC2:SCRATCH_EN: 0
; COMPUTE_PGM_RSRC2:USER_SGPR: 15
; COMPUTE_PGM_RSRC2:TRAP_HANDLER: 0
; COMPUTE_PGM_RSRC2:TGID_X_EN: 1
; COMPUTE_PGM_RSRC2:TGID_Y_EN: 0
; COMPUTE_PGM_RSRC2:TGID_Z_EN: 0
; COMPUTE_PGM_RSRC2:TIDIG_COMP_CNT: 0
	.section	.text._ZN9rocsparseL19gebsrmvn_2xn_kernelILj128ELj7ELj32EfEEvi20rocsparse_direction_NS_24const_host_device_scalarIT2_EEPKiS6_PKS3_S8_S4_PS3_21rocsparse_index_base_b,"axG",@progbits,_ZN9rocsparseL19gebsrmvn_2xn_kernelILj128ELj7ELj32EfEEvi20rocsparse_direction_NS_24const_host_device_scalarIT2_EEPKiS6_PKS3_S8_S4_PS3_21rocsparse_index_base_b,comdat
	.globl	_ZN9rocsparseL19gebsrmvn_2xn_kernelILj128ELj7ELj32EfEEvi20rocsparse_direction_NS_24const_host_device_scalarIT2_EEPKiS6_PKS3_S8_S4_PS3_21rocsparse_index_base_b ; -- Begin function _ZN9rocsparseL19gebsrmvn_2xn_kernelILj128ELj7ELj32EfEEvi20rocsparse_direction_NS_24const_host_device_scalarIT2_EEPKiS6_PKS3_S8_S4_PS3_21rocsparse_index_base_b
	.p2align	8
	.type	_ZN9rocsparseL19gebsrmvn_2xn_kernelILj128ELj7ELj32EfEEvi20rocsparse_direction_NS_24const_host_device_scalarIT2_EEPKiS6_PKS3_S8_S4_PS3_21rocsparse_index_base_b,@function
_ZN9rocsparseL19gebsrmvn_2xn_kernelILj128ELj7ELj32EfEEvi20rocsparse_direction_NS_24const_host_device_scalarIT2_EEPKiS6_PKS3_S8_S4_PS3_21rocsparse_index_base_b: ; @_ZN9rocsparseL19gebsrmvn_2xn_kernelILj128ELj7ELj32EfEEvi20rocsparse_direction_NS_24const_host_device_scalarIT2_EEPKiS6_PKS3_S8_S4_PS3_21rocsparse_index_base_b
; %bb.0:
	s_clause 0x2
	s_load_b64 s[18:19], s[0:1], 0x40
	s_load_b64 s[16:17], s[0:1], 0x8
	;; [unrolled: 1-line block ×3, first 2 shown]
	s_waitcnt lgkmcnt(0)
	s_bitcmp1_b32 s19, 0
	s_cselect_b32 s2, -1, 0
	s_delay_alu instid0(SALU_CYCLE_1)
	s_and_b32 vcc_lo, exec_lo, s2
	s_xor_b32 s2, s2, -1
	s_cbranch_vccnz .LBB28_2
; %bb.1:
	s_load_b32 s16, s[16:17], 0x0
.LBB28_2:
	s_and_not1_b32 vcc_lo, exec_lo, s2
	s_cbranch_vccnz .LBB28_4
; %bb.3:
	s_load_b32 s12, s[12:13], 0x0
.LBB28_4:
	s_waitcnt lgkmcnt(0)
	v_cmp_eq_f32_e64 s2, s16, 0
	v_cmp_eq_f32_e64 s3, s12, 1.0
	s_delay_alu instid0(VALU_DEP_1) | instskip(NEXT) | instid1(SALU_CYCLE_1)
	s_and_b32 s2, s2, s3
	s_and_b32 vcc_lo, exec_lo, s2
	s_cbranch_vccnz .LBB28_23
; %bb.5:
	s_load_b64 s[2:3], s[0:1], 0x0
	v_lshrrev_b32_e32 v1, 5, v0
	s_delay_alu instid0(VALU_DEP_1) | instskip(SKIP_1) | instid1(VALU_DEP_1)
	v_lshl_or_b32 v1, s15, 2, v1
	s_waitcnt lgkmcnt(0)
	v_cmp_gt_i32_e32 vcc_lo, s2, v1
	s_and_saveexec_b32 s2, vcc_lo
	s_cbranch_execz .LBB28_23
; %bb.6:
	s_load_b256 s[4:11], s[0:1], 0x10
	v_ashrrev_i32_e32 v2, 31, v1
	v_and_b32_e32 v0, 31, v0
	s_cmp_lg_u32 s3, 0
	s_delay_alu instid0(VALU_DEP_2) | instskip(SKIP_1) | instid1(VALU_DEP_1)
	v_lshlrev_b64 v[2:3], 2, v[1:2]
	s_waitcnt lgkmcnt(0)
	v_add_co_u32 v2, vcc_lo, s4, v2
	s_delay_alu instid0(VALU_DEP_2) | instskip(SKIP_4) | instid1(VALU_DEP_2)
	v_add_co_ci_u32_e32 v3, vcc_lo, s5, v3, vcc_lo
	global_load_b64 v[2:3], v[2:3], off
	s_waitcnt vmcnt(0)
	v_subrev_nc_u32_e32 v2, s18, v2
	v_subrev_nc_u32_e32 v11, s18, v3
	v_add_nc_u32_e32 v2, v2, v0
	s_delay_alu instid0(VALU_DEP_1)
	v_cmp_lt_i32_e64 s2, v2, v11
	s_cbranch_scc0 .LBB28_12
; %bb.7:
	v_dual_mov_b32 v9, 0 :: v_dual_mov_b32 v10, 0
	s_mov_b32 s3, 0
	s_delay_alu instid0(VALU_DEP_2)
	s_and_saveexec_b32 s4, s2
	s_cbranch_execz .LBB28_11
; %bb.8:
	v_mad_u64_u32 v[3:4], null, v2, 14, 12
	v_dual_mov_b32 v6, 0 :: v_dual_mov_b32 v7, v2
	v_dual_mov_b32 v9, 0 :: v_dual_mov_b32 v10, 0
	s_mov_b32 s5, 0
.LBB28_9:                               ; =>This Inner Loop Header: Depth=1
	s_delay_alu instid0(VALU_DEP_2) | instskip(NEXT) | instid1(VALU_DEP_1)
	v_ashrrev_i32_e32 v8, 31, v7
	v_lshlrev_b64 v[4:5], 2, v[7:8]
	v_add_nc_u32_e32 v7, 32, v7
	s_delay_alu instid0(VALU_DEP_2) | instskip(NEXT) | instid1(VALU_DEP_3)
	v_add_co_u32 v4, vcc_lo, s6, v4
	v_add_co_ci_u32_e32 v5, vcc_lo, s7, v5, vcc_lo
	global_load_b32 v8, v[4:5], off
	v_dual_mov_b32 v4, v6 :: v_dual_add_nc_u32 v5, -12, v3
	s_delay_alu instid0(VALU_DEP_1) | instskip(SKIP_1) | instid1(VALU_DEP_3)
	v_lshlrev_b64 v[14:15], 2, v[5:6]
	v_add_nc_u32_e32 v5, -10, v3
	v_lshlrev_b64 v[16:17], 2, v[3:4]
	s_delay_alu instid0(VALU_DEP_2) | instskip(NEXT) | instid1(VALU_DEP_4)
	v_lshlrev_b64 v[4:5], 2, v[5:6]
	v_add_co_u32 v14, vcc_lo, s8, v14
	v_add_co_ci_u32_e32 v15, vcc_lo, s9, v15, vcc_lo
	s_delay_alu instid0(VALU_DEP_4)
	v_add_co_u32 v16, vcc_lo, s8, v16
	v_add_co_ci_u32_e32 v17, vcc_lo, s9, v17, vcc_lo
	v_add_co_u32 v4, vcc_lo, s8, v4
	v_add_co_ci_u32_e32 v5, vcc_lo, s9, v5, vcc_lo
	s_clause 0x1
	global_load_b64 v[14:15], v[14:15], off
	global_load_b64 v[18:19], v[4:5], off
	v_mov_b32_e32 v13, v6
	s_waitcnt vmcnt(2)
	v_subrev_nc_u32_e32 v4, s18, v8
	s_delay_alu instid0(VALU_DEP_1) | instskip(NEXT) | instid1(VALU_DEP_1)
	v_mul_lo_u32 v12, v4, 7
	v_add_nc_u32_e32 v5, 1, v12
	v_lshlrev_b64 v[20:21], 2, v[12:13]
	s_delay_alu instid0(VALU_DEP_2) | instskip(SKIP_1) | instid1(VALU_DEP_3)
	v_lshlrev_b64 v[22:23], 2, v[5:6]
	v_add_nc_u32_e32 v5, -8, v3
	v_add_co_u32 v20, vcc_lo, s10, v20
	s_delay_alu instid0(VALU_DEP_4) | instskip(NEXT) | instid1(VALU_DEP_4)
	v_add_co_ci_u32_e32 v21, vcc_lo, s11, v21, vcc_lo
	v_add_co_u32 v22, vcc_lo, s10, v22
	s_delay_alu instid0(VALU_DEP_4)
	v_lshlrev_b64 v[24:25], 2, v[5:6]
	v_add_nc_u32_e32 v5, 2, v12
	v_add_co_ci_u32_e32 v23, vcc_lo, s11, v23, vcc_lo
	s_clause 0x1
	global_load_b32 v8, v[20:21], off
	global_load_b32 v32, v[22:23], off
	v_lshlrev_b64 v[20:21], 2, v[5:6]
	v_add_nc_u32_e32 v5, -6, v3
	v_add_co_u32 v22, vcc_lo, s8, v24
	v_add_co_ci_u32_e32 v23, vcc_lo, s9, v25, vcc_lo
	s_delay_alu instid0(VALU_DEP_3) | instskip(SKIP_3) | instid1(VALU_DEP_3)
	v_lshlrev_b64 v[24:25], 2, v[5:6]
	v_add_nc_u32_e32 v5, 3, v12
	v_add_co_u32 v20, vcc_lo, s10, v20
	v_add_co_ci_u32_e32 v21, vcc_lo, s11, v21, vcc_lo
	v_lshlrev_b64 v[26:27], 2, v[5:6]
	v_add_nc_u32_e32 v5, -4, v3
	global_load_b64 v[22:23], v[22:23], off
	global_load_b32 v33, v[20:21], off
	v_add_co_u32 v20, vcc_lo, s8, v24
	v_add_co_ci_u32_e32 v21, vcc_lo, s9, v25, vcc_lo
	v_lshlrev_b64 v[24:25], 2, v[5:6]
	v_add_nc_u32_e32 v5, 4, v12
	v_add_co_u32 v26, vcc_lo, s10, v26
	v_add_co_ci_u32_e32 v27, vcc_lo, s11, v27, vcc_lo
	s_delay_alu instid0(VALU_DEP_3) | instskip(SKIP_3) | instid1(VALU_DEP_4)
	v_lshlrev_b64 v[28:29], 2, v[5:6]
	v_add_co_u32 v24, vcc_lo, s8, v24
	v_add_co_ci_u32_e32 v25, vcc_lo, s9, v25, vcc_lo
	v_add_nc_u32_e32 v5, -2, v3
	v_add_co_u32 v28, vcc_lo, s10, v28
	global_load_b64 v[24:25], v[24:25], off
	v_add_co_ci_u32_e32 v29, vcc_lo, s11, v29, vcc_lo
	global_load_b32 v34, v[26:27], off
	global_load_b64 v[20:21], v[20:21], off
	v_add_nc_u32_e32 v3, 0x1c0, v3
	global_load_b32 v28, v[28:29], off
	v_lshlrev_b64 v[26:27], 2, v[5:6]
	v_add_nc_u32_e32 v5, 5, v12
	s_delay_alu instid0(VALU_DEP_1) | instskip(SKIP_1) | instid1(VALU_DEP_4)
	v_lshlrev_b64 v[30:31], 2, v[5:6]
	v_add_nc_u32_e32 v5, 6, v12
	v_add_co_u32 v12, vcc_lo, s8, v26
	v_add_co_ci_u32_e32 v13, vcc_lo, s9, v27, vcc_lo
	s_delay_alu instid0(VALU_DEP_3)
	v_lshlrev_b64 v[4:5], 2, v[5:6]
	v_add_co_u32 v26, vcc_lo, s10, v30
	v_add_co_ci_u32_e32 v27, vcc_lo, s11, v31, vcc_lo
	global_load_b64 v[12:13], v[12:13], off
	global_load_b32 v26, v[26:27], off
	v_add_co_u32 v4, vcc_lo, s10, v4
	v_add_co_ci_u32_e32 v5, vcc_lo, s11, v5, vcc_lo
	global_load_b64 v[16:17], v[16:17], off
	global_load_b32 v4, v[4:5], off
	v_cmp_ge_i32_e32 vcc_lo, v7, v11
	s_or_b32 s5, vcc_lo, s5
	s_waitcnt vmcnt(11)
	v_fmac_f32_e32 v9, v14, v8
	v_fmac_f32_e32 v10, v15, v8
	s_waitcnt vmcnt(10)
	s_delay_alu instid0(VALU_DEP_2) | instskip(SKIP_1) | instid1(VALU_DEP_1)
	v_fmac_f32_e32 v9, v18, v32
	s_waitcnt vmcnt(8)
	v_dual_fmac_f32 v10, v19, v32 :: v_dual_fmac_f32 v9, v22, v33
	s_waitcnt vmcnt(5)
	s_delay_alu instid0(VALU_DEP_1) | instskip(SKIP_1) | instid1(VALU_DEP_1)
	v_dual_fmac_f32 v10, v23, v33 :: v_dual_fmac_f32 v9, v20, v34
	s_waitcnt vmcnt(4)
	v_dual_fmac_f32 v10, v21, v34 :: v_dual_fmac_f32 v9, v24, v28
	s_waitcnt vmcnt(2)
	s_delay_alu instid0(VALU_DEP_1) | instskip(SKIP_1) | instid1(VALU_DEP_1)
	v_dual_fmac_f32 v10, v25, v28 :: v_dual_fmac_f32 v9, v12, v26
	s_waitcnt vmcnt(0)
	v_dual_fmac_f32 v10, v13, v26 :: v_dual_fmac_f32 v9, v16, v4
	s_delay_alu instid0(VALU_DEP_1)
	v_fmac_f32_e32 v10, v17, v4
	s_and_not1_b32 exec_lo, exec_lo, s5
	s_cbranch_execnz .LBB28_9
; %bb.10:
	s_or_b32 exec_lo, exec_lo, s5
.LBB28_11:
	s_delay_alu instid0(SALU_CYCLE_1) | instskip(NEXT) | instid1(SALU_CYCLE_1)
	s_or_b32 exec_lo, exec_lo, s4
	s_and_not1_b32 vcc_lo, exec_lo, s3
	s_cbranch_vccz .LBB28_13
	s_branch .LBB28_18
.LBB28_12:
                                        ; implicit-def: $vgpr9
                                        ; implicit-def: $vgpr10
.LBB28_13:
	v_dual_mov_b32 v9, 0 :: v_dual_mov_b32 v10, 0
	s_delay_alu instid0(VALU_DEP_2)
	s_and_saveexec_b32 s3, s2
	s_cbranch_execz .LBB28_17
; %bb.14:
	v_mad_u64_u32 v[4:5], null, v2, 14, 13
	v_dual_mov_b32 v7, 0 :: v_dual_mov_b32 v10, 0
	v_mov_b32_e32 v9, 0
	s_mov_b32 s2, 0
.LBB28_15:                              ; =>This Inner Loop Header: Depth=1
	v_ashrrev_i32_e32 v3, 31, v2
	s_delay_alu instid0(VALU_DEP_4) | instskip(SKIP_2) | instid1(VALU_DEP_4)
	v_add_nc_u32_e32 v12, -6, v4
	v_mov_b32_e32 v14, v7
	v_mov_b32_e32 v13, v7
	v_lshlrev_b64 v[5:6], 2, v[2:3]
	v_add_nc_u32_e32 v2, 32, v2
	s_delay_alu instid0(VALU_DEP_2) | instskip(NEXT) | instid1(VALU_DEP_3)
	v_add_co_u32 v5, vcc_lo, s6, v5
	v_add_co_ci_u32_e32 v6, vcc_lo, s7, v6, vcc_lo
	global_load_b32 v3, v[5:6], off
	v_dual_mov_b32 v5, v7 :: v_dual_add_nc_u32 v6, -13, v4
	v_lshlrev_b64 v[12:13], 2, v[12:13]
	s_delay_alu instid0(VALU_DEP_2) | instskip(NEXT) | instid1(VALU_DEP_3)
	v_lshlrev_b64 v[15:16], 2, v[6:7]
	v_lshlrev_b64 v[5:6], 2, v[4:5]
	s_delay_alu instid0(VALU_DEP_2) | instskip(NEXT) | instid1(VALU_DEP_3)
	v_add_co_u32 v15, vcc_lo, s8, v15
	v_add_co_ci_u32_e32 v16, vcc_lo, s9, v16, vcc_lo
	v_add_co_u32 v12, vcc_lo, s8, v12
	v_add_co_ci_u32_e32 v13, vcc_lo, s9, v13, vcc_lo
	s_clause 0x1
	global_load_b64 v[15:16], v[15:16], off
	global_load_b32 v8, v[12:13], off
	v_add_co_u32 v17, vcc_lo, s8, v5
	v_add_co_ci_u32_e32 v18, vcc_lo, s9, v6, vcc_lo
	s_waitcnt vmcnt(2)
	v_subrev_nc_u32_e32 v3, s18, v3
	s_delay_alu instid0(VALU_DEP_1) | instskip(NEXT) | instid1(VALU_DEP_1)
	v_mul_lo_u32 v13, v3, 7
	v_lshlrev_b64 v[19:20], 2, v[13:14]
	s_delay_alu instid0(VALU_DEP_1) | instskip(NEXT) | instid1(VALU_DEP_2)
	v_add_co_u32 v19, vcc_lo, s10, v19
	v_add_co_ci_u32_e32 v20, vcc_lo, s11, v20, vcc_lo
	global_load_b32 v3, v[19:20], off
	s_waitcnt vmcnt(0)
	v_dual_fmac_f32 v9, v15, v3 :: v_dual_add_nc_u32 v6, 1, v13
	s_delay_alu instid0(VALU_DEP_1) | instskip(SKIP_1) | instid1(VALU_DEP_2)
	v_lshlrev_b64 v[21:22], 2, v[6:7]
	v_fmac_f32_e32 v10, v8, v3
	v_add_co_u32 v19, vcc_lo, s10, v21
	s_delay_alu instid0(VALU_DEP_3) | instskip(SKIP_3) | instid1(VALU_DEP_1)
	v_add_co_ci_u32_e32 v20, vcc_lo, s11, v22, vcc_lo
	global_load_b32 v14, v[19:20], off
	s_waitcnt vmcnt(0)
	v_dual_fmac_f32 v9, v16, v14 :: v_dual_add_nc_u32 v6, -5, v4
	v_lshlrev_b64 v[23:24], 2, v[6:7]
	v_add_nc_u32_e32 v6, -11, v4
	s_delay_alu instid0(VALU_DEP_1) | instskip(SKIP_1) | instid1(VALU_DEP_4)
	v_lshlrev_b64 v[21:22], 2, v[6:7]
	v_add_nc_u32_e32 v6, 2, v13
	v_add_co_u32 v23, vcc_lo, s8, v23
	v_add_co_ci_u32_e32 v24, vcc_lo, s9, v24, vcc_lo
	s_delay_alu instid0(VALU_DEP_3) | instskip(SKIP_3) | instid1(VALU_DEP_4)
	v_lshlrev_b64 v[19:20], 2, v[6:7]
	v_add_co_u32 v21, vcc_lo, s8, v21
	v_add_nc_u32_e32 v6, -4, v4
	v_add_co_ci_u32_e32 v22, vcc_lo, s9, v22, vcc_lo
	v_add_co_u32 v19, vcc_lo, s10, v19
	s_clause 0x1
	global_load_b32 v25, v[23:24], off
	global_load_b32 v26, v[21:22], off
	v_lshlrev_b64 v[23:24], 2, v[6:7]
	v_add_co_ci_u32_e32 v20, vcc_lo, s11, v20, vcc_lo
	v_add_nc_u32_e32 v6, -10, v4
	global_load_b32 v27, v[19:20], off
	v_add_co_u32 v19, vcc_lo, s8, v23
	v_add_co_ci_u32_e32 v20, vcc_lo, s9, v24, vcc_lo
	global_load_b32 v28, v[19:20], off
	v_lshlrev_b64 v[21:22], 2, v[6:7]
	v_add_nc_u32_e32 v6, 3, v13
	s_delay_alu instid0(VALU_DEP_1) | instskip(SKIP_1) | instid1(VALU_DEP_4)
	v_lshlrev_b64 v[23:24], 2, v[6:7]
	v_add_nc_u32_e32 v6, -3, v4
	v_add_co_u32 v21, vcc_lo, s8, v21
	v_add_co_ci_u32_e32 v22, vcc_lo, s9, v22, vcc_lo
	s_delay_alu instid0(VALU_DEP_3)
	v_lshlrev_b64 v[19:20], 2, v[6:7]
	v_add_nc_u32_e32 v6, -9, v4
	global_load_b32 v29, v[21:22], off
	v_add_co_u32 v21, vcc_lo, s10, v23
	v_add_co_ci_u32_e32 v22, vcc_lo, s11, v24, vcc_lo
	v_lshlrev_b64 v[23:24], 2, v[6:7]
	v_add_nc_u32_e32 v6, 4, v13
	v_add_co_u32 v19, vcc_lo, s8, v19
	v_add_co_ci_u32_e32 v20, vcc_lo, s9, v20, vcc_lo
	global_load_b32 v30, v[21:22], off
	v_lshlrev_b64 v[21:22], 2, v[6:7]
	v_add_nc_u32_e32 v6, -2, v4
	global_load_b32 v31, v[19:20], off
	v_add_co_u32 v19, vcc_lo, s8, v23
	v_add_co_ci_u32_e32 v20, vcc_lo, s9, v24, vcc_lo
	v_lshlrev_b64 v[23:24], 2, v[6:7]
	v_add_nc_u32_e32 v6, -8, v4
	v_add_co_u32 v21, vcc_lo, s10, v21
	v_add_co_ci_u32_e32 v22, vcc_lo, s11, v22, vcc_lo
	global_load_b32 v32, v[19:20], off
	v_lshlrev_b64 v[19:20], 2, v[6:7]
	v_add_nc_u32_e32 v6, 5, v13
	global_load_b32 v33, v[21:22], off
	v_add_co_u32 v21, vcc_lo, s8, v23
	v_add_co_ci_u32_e32 v22, vcc_lo, s9, v24, vcc_lo
	v_add_co_u32 v19, vcc_lo, s8, v19
	v_lshlrev_b64 v[23:24], 2, v[6:7]
	v_add_nc_u32_e32 v6, -1, v4
	v_add_co_ci_u32_e32 v20, vcc_lo, s9, v20, vcc_lo
	s_clause 0x1
	global_load_b32 v34, v[21:22], off
	global_load_b32 v35, v[19:20], off
	v_lshlrev_b64 v[21:22], 2, v[6:7]
	v_add_nc_u32_e32 v6, -7, v4
	v_add_co_u32 v19, vcc_lo, s10, v23
	v_add_co_ci_u32_e32 v20, vcc_lo, s11, v24, vcc_lo
	s_delay_alu instid0(VALU_DEP_3) | instskip(SKIP_3) | instid1(VALU_DEP_3)
	v_lshlrev_b64 v[23:24], 2, v[6:7]
	v_add_nc_u32_e32 v6, 6, v13
	v_add_co_u32 v12, vcc_lo, s8, v21
	v_add_co_ci_u32_e32 v13, vcc_lo, s9, v22, vcc_lo
	v_lshlrev_b64 v[5:6], 2, v[6:7]
	global_load_b32 v19, v[19:20], off
	v_add_nc_u32_e32 v4, 0x1c0, v4
	global_load_b32 v20, v[12:13], off
	v_add_co_u32 v12, vcc_lo, s8, v23
	v_add_co_ci_u32_e32 v13, vcc_lo, s9, v24, vcc_lo
	v_add_co_u32 v5, vcc_lo, s10, v5
	v_add_co_ci_u32_e32 v6, vcc_lo, s11, v6, vcc_lo
	s_clause 0x1
	global_load_b32 v17, v[17:18], off
	global_load_b32 v12, v[12:13], off
	;; [unrolled: 1-line block ×3, first 2 shown]
	v_cmp_ge_i32_e32 vcc_lo, v2, v11
	s_or_b32 s2, vcc_lo, s2
	s_waitcnt vmcnt(13)
	v_dual_fmac_f32 v10, v25, v14 :: v_dual_fmac_f32 v9, v26, v27
	s_waitcnt vmcnt(10)
	s_delay_alu instid0(VALU_DEP_1) | instskip(SKIP_1) | instid1(VALU_DEP_1)
	v_dual_fmac_f32 v10, v28, v27 :: v_dual_fmac_f32 v9, v29, v30
	s_waitcnt vmcnt(7)
	v_dual_fmac_f32 v10, v31, v30 :: v_dual_fmac_f32 v9, v32, v33
	s_waitcnt vmcnt(4)
	s_delay_alu instid0(VALU_DEP_1) | instskip(SKIP_1) | instid1(VALU_DEP_1)
	v_dual_fmac_f32 v10, v34, v33 :: v_dual_fmac_f32 v9, v35, v19
	s_waitcnt vmcnt(3)
	v_fmac_f32_e32 v10, v20, v19
	s_waitcnt vmcnt(0)
	s_delay_alu instid0(VALU_DEP_2) | instskip(NEXT) | instid1(VALU_DEP_2)
	v_fmac_f32_e32 v9, v12, v5
	v_fmac_f32_e32 v10, v17, v5
	s_and_not1_b32 exec_lo, exec_lo, s2
	s_cbranch_execnz .LBB28_15
; %bb.16:
	s_or_b32 exec_lo, exec_lo, s2
.LBB28_17:
	s_delay_alu instid0(SALU_CYCLE_1)
	s_or_b32 exec_lo, exec_lo, s3
.LBB28_18:
	v_mbcnt_lo_u32_b32 v2, -1, 0
	s_mov_b32 s2, -1
	s_delay_alu instid0(VALU_DEP_1) | instskip(SKIP_2) | instid1(VALU_DEP_3)
	v_xor_b32_e32 v3, 16, v2
	v_xor_b32_e32 v5, 8, v2
	;; [unrolled: 1-line block ×3, first 2 shown]
	v_cmp_gt_i32_e32 vcc_lo, 32, v3
	v_cndmask_b32_e32 v3, v2, v3, vcc_lo
	s_delay_alu instid0(VALU_DEP_4) | instskip(NEXT) | instid1(VALU_DEP_2)
	v_cmp_gt_i32_e32 vcc_lo, 32, v5
	v_lshlrev_b32_e32 v3, 2, v3
	v_cndmask_b32_e32 v5, v2, v5, vcc_lo
	v_cmp_gt_i32_e32 vcc_lo, 32, v7
	ds_bpermute_b32 v4, v3, v9
	v_lshlrev_b32_e32 v5, 2, v5
	v_cndmask_b32_e32 v7, v2, v7, vcc_lo
	s_waitcnt lgkmcnt(0)
	s_delay_alu instid0(VALU_DEP_1)
	v_dual_add_f32 v4, v9, v4 :: v_dual_lshlrev_b32 v7, 2, v7
	ds_bpermute_b32 v6, v5, v4
	s_waitcnt lgkmcnt(0)
	v_add_f32_e32 v4, v4, v6
	ds_bpermute_b32 v3, v3, v10
	s_waitcnt lgkmcnt(0)
	v_add_f32_e32 v3, v10, v3
	;; [unrolled: 3-line block ×3, first 2 shown]
	ds_bpermute_b32 v5, v7, v4
	ds_bpermute_b32 v6, v7, v3
	v_xor_b32_e32 v7, 2, v2
	s_delay_alu instid0(VALU_DEP_1) | instskip(SKIP_2) | instid1(VALU_DEP_1)
	v_cmp_gt_i32_e32 vcc_lo, 32, v7
	s_waitcnt lgkmcnt(1)
	v_dual_cndmask_b32 v7, v2, v7 :: v_dual_add_f32 v4, v4, v5
	v_lshlrev_b32_e32 v7, 2, v7
	s_waitcnt lgkmcnt(0)
	v_add_f32_e32 v3, v3, v6
	ds_bpermute_b32 v5, v7, v4
	ds_bpermute_b32 v6, v7, v3
	v_xor_b32_e32 v7, 1, v2
	s_delay_alu instid0(VALU_DEP_1) | instskip(SKIP_3) | instid1(VALU_DEP_2)
	v_cmp_gt_i32_e32 vcc_lo, 32, v7
	v_cndmask_b32_e32 v2, v2, v7, vcc_lo
	v_cmp_eq_u32_e32 vcc_lo, 31, v0
	s_waitcnt lgkmcnt(1)
	v_dual_add_f32 v2, v4, v5 :: v_dual_lshlrev_b32 v7, 2, v2
	s_waitcnt lgkmcnt(0)
	v_add_f32_e32 v3, v3, v6
	ds_bpermute_b32 v4, v7, v2
	ds_bpermute_b32 v5, v7, v3
	s_and_b32 exec_lo, exec_lo, vcc_lo
	s_cbranch_execz .LBB28_23
; %bb.19:
	s_load_b64 s[0:1], s[0:1], 0x38
	s_waitcnt lgkmcnt(0)
	v_dual_add_f32 v0, v2, v4 :: v_dual_add_f32 v3, v3, v5
	v_cmp_eq_f32_e64 s3, s12, 0
	s_delay_alu instid0(VALU_DEP_2) | instskip(SKIP_1) | instid1(VALU_DEP_3)
	v_dual_mul_f32 v2, s16, v0 :: v_dual_mul_f32 v3, s16, v3
	v_lshlrev_b32_e32 v0, 1, v1
	s_and_b32 vcc_lo, exec_lo, s3
	s_cbranch_vccz .LBB28_21
; %bb.20:
	s_delay_alu instid0(VALU_DEP_1) | instskip(SKIP_1) | instid1(VALU_DEP_1)
	v_ashrrev_i32_e32 v1, 31, v0
	s_mov_b32 s2, 0
	v_lshlrev_b64 v[4:5], 2, v[0:1]
	s_delay_alu instid0(VALU_DEP_1) | instskip(NEXT) | instid1(VALU_DEP_2)
	v_add_co_u32 v4, vcc_lo, s0, v4
	v_add_co_ci_u32_e32 v5, vcc_lo, s1, v5, vcc_lo
	global_store_b64 v[4:5], v[2:3], off
.LBB28_21:
	s_and_not1_b32 vcc_lo, exec_lo, s2
	s_cbranch_vccnz .LBB28_23
; %bb.22:
	v_ashrrev_i32_e32 v1, 31, v0
	s_delay_alu instid0(VALU_DEP_1) | instskip(NEXT) | instid1(VALU_DEP_1)
	v_lshlrev_b64 v[0:1], 2, v[0:1]
	v_add_co_u32 v0, vcc_lo, s0, v0
	s_delay_alu instid0(VALU_DEP_2)
	v_add_co_ci_u32_e32 v1, vcc_lo, s1, v1, vcc_lo
	global_load_b64 v[4:5], v[0:1], off
	s_waitcnt vmcnt(0)
	v_dual_fmac_f32 v2, s12, v4 :: v_dual_fmac_f32 v3, s12, v5
	global_store_b64 v[0:1], v[2:3], off
.LBB28_23:
	s_nop 0
	s_sendmsg sendmsg(MSG_DEALLOC_VGPRS)
	s_endpgm
	.section	.rodata,"a",@progbits
	.p2align	6, 0x0
	.amdhsa_kernel _ZN9rocsparseL19gebsrmvn_2xn_kernelILj128ELj7ELj32EfEEvi20rocsparse_direction_NS_24const_host_device_scalarIT2_EEPKiS6_PKS3_S8_S4_PS3_21rocsparse_index_base_b
		.amdhsa_group_segment_fixed_size 0
		.amdhsa_private_segment_fixed_size 0
		.amdhsa_kernarg_size 72
		.amdhsa_user_sgpr_count 15
		.amdhsa_user_sgpr_dispatch_ptr 0
		.amdhsa_user_sgpr_queue_ptr 0
		.amdhsa_user_sgpr_kernarg_segment_ptr 1
		.amdhsa_user_sgpr_dispatch_id 0
		.amdhsa_user_sgpr_private_segment_size 0
		.amdhsa_wavefront_size32 1
		.amdhsa_uses_dynamic_stack 0
		.amdhsa_enable_private_segment 0
		.amdhsa_system_sgpr_workgroup_id_x 1
		.amdhsa_system_sgpr_workgroup_id_y 0
		.amdhsa_system_sgpr_workgroup_id_z 0
		.amdhsa_system_sgpr_workgroup_info 0
		.amdhsa_system_vgpr_workitem_id 0
		.amdhsa_next_free_vgpr 36
		.amdhsa_next_free_sgpr 20
		.amdhsa_reserve_vcc 1
		.amdhsa_float_round_mode_32 0
		.amdhsa_float_round_mode_16_64 0
		.amdhsa_float_denorm_mode_32 3
		.amdhsa_float_denorm_mode_16_64 3
		.amdhsa_dx10_clamp 1
		.amdhsa_ieee_mode 1
		.amdhsa_fp16_overflow 0
		.amdhsa_workgroup_processor_mode 1
		.amdhsa_memory_ordered 1
		.amdhsa_forward_progress 0
		.amdhsa_shared_vgpr_count 0
		.amdhsa_exception_fp_ieee_invalid_op 0
		.amdhsa_exception_fp_denorm_src 0
		.amdhsa_exception_fp_ieee_div_zero 0
		.amdhsa_exception_fp_ieee_overflow 0
		.amdhsa_exception_fp_ieee_underflow 0
		.amdhsa_exception_fp_ieee_inexact 0
		.amdhsa_exception_int_div_zero 0
	.end_amdhsa_kernel
	.section	.text._ZN9rocsparseL19gebsrmvn_2xn_kernelILj128ELj7ELj32EfEEvi20rocsparse_direction_NS_24const_host_device_scalarIT2_EEPKiS6_PKS3_S8_S4_PS3_21rocsparse_index_base_b,"axG",@progbits,_ZN9rocsparseL19gebsrmvn_2xn_kernelILj128ELj7ELj32EfEEvi20rocsparse_direction_NS_24const_host_device_scalarIT2_EEPKiS6_PKS3_S8_S4_PS3_21rocsparse_index_base_b,comdat
.Lfunc_end28:
	.size	_ZN9rocsparseL19gebsrmvn_2xn_kernelILj128ELj7ELj32EfEEvi20rocsparse_direction_NS_24const_host_device_scalarIT2_EEPKiS6_PKS3_S8_S4_PS3_21rocsparse_index_base_b, .Lfunc_end28-_ZN9rocsparseL19gebsrmvn_2xn_kernelILj128ELj7ELj32EfEEvi20rocsparse_direction_NS_24const_host_device_scalarIT2_EEPKiS6_PKS3_S8_S4_PS3_21rocsparse_index_base_b
                                        ; -- End function
	.section	.AMDGPU.csdata,"",@progbits
; Kernel info:
; codeLenInByte = 2396
; NumSgprs: 22
; NumVgprs: 36
; ScratchSize: 0
; MemoryBound: 0
; FloatMode: 240
; IeeeMode: 1
; LDSByteSize: 0 bytes/workgroup (compile time only)
; SGPRBlocks: 2
; VGPRBlocks: 4
; NumSGPRsForWavesPerEU: 22
; NumVGPRsForWavesPerEU: 36
; Occupancy: 16
; WaveLimiterHint : 1
; COMPUTE_PGM_RSRC2:SCRATCH_EN: 0
; COMPUTE_PGM_RSRC2:USER_SGPR: 15
; COMPUTE_PGM_RSRC2:TRAP_HANDLER: 0
; COMPUTE_PGM_RSRC2:TGID_X_EN: 1
; COMPUTE_PGM_RSRC2:TGID_Y_EN: 0
; COMPUTE_PGM_RSRC2:TGID_Z_EN: 0
; COMPUTE_PGM_RSRC2:TIDIG_COMP_CNT: 0
	.section	.text._ZN9rocsparseL19gebsrmvn_2xn_kernelILj128ELj7ELj64EfEEvi20rocsparse_direction_NS_24const_host_device_scalarIT2_EEPKiS6_PKS3_S8_S4_PS3_21rocsparse_index_base_b,"axG",@progbits,_ZN9rocsparseL19gebsrmvn_2xn_kernelILj128ELj7ELj64EfEEvi20rocsparse_direction_NS_24const_host_device_scalarIT2_EEPKiS6_PKS3_S8_S4_PS3_21rocsparse_index_base_b,comdat
	.globl	_ZN9rocsparseL19gebsrmvn_2xn_kernelILj128ELj7ELj64EfEEvi20rocsparse_direction_NS_24const_host_device_scalarIT2_EEPKiS6_PKS3_S8_S4_PS3_21rocsparse_index_base_b ; -- Begin function _ZN9rocsparseL19gebsrmvn_2xn_kernelILj128ELj7ELj64EfEEvi20rocsparse_direction_NS_24const_host_device_scalarIT2_EEPKiS6_PKS3_S8_S4_PS3_21rocsparse_index_base_b
	.p2align	8
	.type	_ZN9rocsparseL19gebsrmvn_2xn_kernelILj128ELj7ELj64EfEEvi20rocsparse_direction_NS_24const_host_device_scalarIT2_EEPKiS6_PKS3_S8_S4_PS3_21rocsparse_index_base_b,@function
_ZN9rocsparseL19gebsrmvn_2xn_kernelILj128ELj7ELj64EfEEvi20rocsparse_direction_NS_24const_host_device_scalarIT2_EEPKiS6_PKS3_S8_S4_PS3_21rocsparse_index_base_b: ; @_ZN9rocsparseL19gebsrmvn_2xn_kernelILj128ELj7ELj64EfEEvi20rocsparse_direction_NS_24const_host_device_scalarIT2_EEPKiS6_PKS3_S8_S4_PS3_21rocsparse_index_base_b
; %bb.0:
	s_clause 0x2
	s_load_b64 s[18:19], s[0:1], 0x40
	s_load_b64 s[16:17], s[0:1], 0x8
	;; [unrolled: 1-line block ×3, first 2 shown]
	s_waitcnt lgkmcnt(0)
	s_bitcmp1_b32 s19, 0
	s_cselect_b32 s2, -1, 0
	s_delay_alu instid0(SALU_CYCLE_1)
	s_and_b32 vcc_lo, exec_lo, s2
	s_xor_b32 s2, s2, -1
	s_cbranch_vccnz .LBB29_2
; %bb.1:
	s_load_b32 s16, s[16:17], 0x0
.LBB29_2:
	s_and_not1_b32 vcc_lo, exec_lo, s2
	s_cbranch_vccnz .LBB29_4
; %bb.3:
	s_load_b32 s12, s[12:13], 0x0
.LBB29_4:
	s_waitcnt lgkmcnt(0)
	v_cmp_eq_f32_e64 s2, s16, 0
	v_cmp_eq_f32_e64 s3, s12, 1.0
	s_delay_alu instid0(VALU_DEP_1) | instskip(NEXT) | instid1(SALU_CYCLE_1)
	s_and_b32 s2, s2, s3
	s_and_b32 vcc_lo, exec_lo, s2
	s_cbranch_vccnz .LBB29_23
; %bb.5:
	s_load_b64 s[2:3], s[0:1], 0x0
	v_lshrrev_b32_e32 v1, 6, v0
	s_delay_alu instid0(VALU_DEP_1) | instskip(SKIP_1) | instid1(VALU_DEP_1)
	v_lshl_or_b32 v1, s15, 1, v1
	s_waitcnt lgkmcnt(0)
	v_cmp_gt_i32_e32 vcc_lo, s2, v1
	s_and_saveexec_b32 s2, vcc_lo
	s_cbranch_execz .LBB29_23
; %bb.6:
	s_load_b256 s[4:11], s[0:1], 0x10
	v_ashrrev_i32_e32 v2, 31, v1
	v_and_b32_e32 v0, 63, v0
	s_cmp_lg_u32 s3, 0
	s_delay_alu instid0(VALU_DEP_2) | instskip(SKIP_1) | instid1(VALU_DEP_1)
	v_lshlrev_b64 v[2:3], 2, v[1:2]
	s_waitcnt lgkmcnt(0)
	v_add_co_u32 v2, vcc_lo, s4, v2
	s_delay_alu instid0(VALU_DEP_2) | instskip(SKIP_4) | instid1(VALU_DEP_2)
	v_add_co_ci_u32_e32 v3, vcc_lo, s5, v3, vcc_lo
	global_load_b64 v[2:3], v[2:3], off
	s_waitcnt vmcnt(0)
	v_subrev_nc_u32_e32 v2, s18, v2
	v_subrev_nc_u32_e32 v11, s18, v3
	v_add_nc_u32_e32 v2, v2, v0
	s_delay_alu instid0(VALU_DEP_1)
	v_cmp_lt_i32_e64 s2, v2, v11
	s_cbranch_scc0 .LBB29_12
; %bb.7:
	v_dual_mov_b32 v9, 0 :: v_dual_mov_b32 v10, 0
	s_mov_b32 s3, 0
	s_delay_alu instid0(VALU_DEP_2)
	s_and_saveexec_b32 s4, s2
	s_cbranch_execz .LBB29_11
; %bb.8:
	v_mad_u64_u32 v[3:4], null, v2, 14, 12
	v_dual_mov_b32 v6, 0 :: v_dual_mov_b32 v7, v2
	v_dual_mov_b32 v9, 0 :: v_dual_mov_b32 v10, 0
	s_mov_b32 s5, 0
.LBB29_9:                               ; =>This Inner Loop Header: Depth=1
	s_delay_alu instid0(VALU_DEP_2) | instskip(NEXT) | instid1(VALU_DEP_1)
	v_ashrrev_i32_e32 v8, 31, v7
	v_lshlrev_b64 v[4:5], 2, v[7:8]
	v_add_nc_u32_e32 v7, 64, v7
	s_delay_alu instid0(VALU_DEP_2) | instskip(NEXT) | instid1(VALU_DEP_3)
	v_add_co_u32 v4, vcc_lo, s6, v4
	v_add_co_ci_u32_e32 v5, vcc_lo, s7, v5, vcc_lo
	global_load_b32 v8, v[4:5], off
	v_dual_mov_b32 v4, v6 :: v_dual_add_nc_u32 v5, -12, v3
	s_delay_alu instid0(VALU_DEP_1) | instskip(SKIP_1) | instid1(VALU_DEP_3)
	v_lshlrev_b64 v[14:15], 2, v[5:6]
	v_add_nc_u32_e32 v5, -10, v3
	v_lshlrev_b64 v[16:17], 2, v[3:4]
	s_delay_alu instid0(VALU_DEP_2) | instskip(NEXT) | instid1(VALU_DEP_4)
	v_lshlrev_b64 v[4:5], 2, v[5:6]
	v_add_co_u32 v14, vcc_lo, s8, v14
	v_add_co_ci_u32_e32 v15, vcc_lo, s9, v15, vcc_lo
	s_delay_alu instid0(VALU_DEP_4)
	v_add_co_u32 v16, vcc_lo, s8, v16
	v_add_co_ci_u32_e32 v17, vcc_lo, s9, v17, vcc_lo
	v_add_co_u32 v4, vcc_lo, s8, v4
	v_add_co_ci_u32_e32 v5, vcc_lo, s9, v5, vcc_lo
	s_clause 0x1
	global_load_b64 v[14:15], v[14:15], off
	global_load_b64 v[18:19], v[4:5], off
	v_mov_b32_e32 v13, v6
	s_waitcnt vmcnt(2)
	v_subrev_nc_u32_e32 v4, s18, v8
	s_delay_alu instid0(VALU_DEP_1) | instskip(NEXT) | instid1(VALU_DEP_1)
	v_mul_lo_u32 v12, v4, 7
	v_add_nc_u32_e32 v5, 1, v12
	v_lshlrev_b64 v[20:21], 2, v[12:13]
	s_delay_alu instid0(VALU_DEP_2) | instskip(SKIP_1) | instid1(VALU_DEP_3)
	v_lshlrev_b64 v[22:23], 2, v[5:6]
	v_add_nc_u32_e32 v5, -8, v3
	v_add_co_u32 v20, vcc_lo, s10, v20
	s_delay_alu instid0(VALU_DEP_4) | instskip(NEXT) | instid1(VALU_DEP_4)
	v_add_co_ci_u32_e32 v21, vcc_lo, s11, v21, vcc_lo
	v_add_co_u32 v22, vcc_lo, s10, v22
	s_delay_alu instid0(VALU_DEP_4)
	v_lshlrev_b64 v[24:25], 2, v[5:6]
	v_add_nc_u32_e32 v5, 2, v12
	v_add_co_ci_u32_e32 v23, vcc_lo, s11, v23, vcc_lo
	s_clause 0x1
	global_load_b32 v8, v[20:21], off
	global_load_b32 v32, v[22:23], off
	v_lshlrev_b64 v[20:21], 2, v[5:6]
	v_add_nc_u32_e32 v5, -6, v3
	v_add_co_u32 v22, vcc_lo, s8, v24
	v_add_co_ci_u32_e32 v23, vcc_lo, s9, v25, vcc_lo
	s_delay_alu instid0(VALU_DEP_3) | instskip(SKIP_3) | instid1(VALU_DEP_3)
	v_lshlrev_b64 v[24:25], 2, v[5:6]
	v_add_nc_u32_e32 v5, 3, v12
	v_add_co_u32 v20, vcc_lo, s10, v20
	v_add_co_ci_u32_e32 v21, vcc_lo, s11, v21, vcc_lo
	v_lshlrev_b64 v[26:27], 2, v[5:6]
	v_add_nc_u32_e32 v5, -4, v3
	global_load_b64 v[22:23], v[22:23], off
	global_load_b32 v33, v[20:21], off
	v_add_co_u32 v20, vcc_lo, s8, v24
	v_add_co_ci_u32_e32 v21, vcc_lo, s9, v25, vcc_lo
	v_lshlrev_b64 v[24:25], 2, v[5:6]
	v_add_nc_u32_e32 v5, 4, v12
	v_add_co_u32 v26, vcc_lo, s10, v26
	v_add_co_ci_u32_e32 v27, vcc_lo, s11, v27, vcc_lo
	s_delay_alu instid0(VALU_DEP_3) | instskip(SKIP_3) | instid1(VALU_DEP_4)
	v_lshlrev_b64 v[28:29], 2, v[5:6]
	v_add_co_u32 v24, vcc_lo, s8, v24
	v_add_co_ci_u32_e32 v25, vcc_lo, s9, v25, vcc_lo
	v_add_nc_u32_e32 v5, -2, v3
	v_add_co_u32 v28, vcc_lo, s10, v28
	global_load_b64 v[24:25], v[24:25], off
	v_add_co_ci_u32_e32 v29, vcc_lo, s11, v29, vcc_lo
	global_load_b32 v34, v[26:27], off
	global_load_b64 v[20:21], v[20:21], off
	v_add_nc_u32_e32 v3, 0x380, v3
	global_load_b32 v28, v[28:29], off
	v_lshlrev_b64 v[26:27], 2, v[5:6]
	v_add_nc_u32_e32 v5, 5, v12
	s_delay_alu instid0(VALU_DEP_1) | instskip(SKIP_1) | instid1(VALU_DEP_4)
	v_lshlrev_b64 v[30:31], 2, v[5:6]
	v_add_nc_u32_e32 v5, 6, v12
	v_add_co_u32 v12, vcc_lo, s8, v26
	v_add_co_ci_u32_e32 v13, vcc_lo, s9, v27, vcc_lo
	s_delay_alu instid0(VALU_DEP_3)
	v_lshlrev_b64 v[4:5], 2, v[5:6]
	v_add_co_u32 v26, vcc_lo, s10, v30
	v_add_co_ci_u32_e32 v27, vcc_lo, s11, v31, vcc_lo
	global_load_b64 v[12:13], v[12:13], off
	global_load_b32 v26, v[26:27], off
	v_add_co_u32 v4, vcc_lo, s10, v4
	v_add_co_ci_u32_e32 v5, vcc_lo, s11, v5, vcc_lo
	global_load_b64 v[16:17], v[16:17], off
	global_load_b32 v4, v[4:5], off
	v_cmp_ge_i32_e32 vcc_lo, v7, v11
	s_or_b32 s5, vcc_lo, s5
	s_waitcnt vmcnt(11)
	v_fmac_f32_e32 v9, v14, v8
	v_fmac_f32_e32 v10, v15, v8
	s_waitcnt vmcnt(10)
	s_delay_alu instid0(VALU_DEP_2) | instskip(SKIP_1) | instid1(VALU_DEP_1)
	v_fmac_f32_e32 v9, v18, v32
	s_waitcnt vmcnt(8)
	v_dual_fmac_f32 v10, v19, v32 :: v_dual_fmac_f32 v9, v22, v33
	s_waitcnt vmcnt(5)
	s_delay_alu instid0(VALU_DEP_1) | instskip(SKIP_1) | instid1(VALU_DEP_1)
	v_dual_fmac_f32 v10, v23, v33 :: v_dual_fmac_f32 v9, v20, v34
	s_waitcnt vmcnt(4)
	v_dual_fmac_f32 v10, v21, v34 :: v_dual_fmac_f32 v9, v24, v28
	s_waitcnt vmcnt(2)
	s_delay_alu instid0(VALU_DEP_1) | instskip(SKIP_1) | instid1(VALU_DEP_1)
	v_dual_fmac_f32 v10, v25, v28 :: v_dual_fmac_f32 v9, v12, v26
	s_waitcnt vmcnt(0)
	v_dual_fmac_f32 v10, v13, v26 :: v_dual_fmac_f32 v9, v16, v4
	s_delay_alu instid0(VALU_DEP_1)
	v_fmac_f32_e32 v10, v17, v4
	s_and_not1_b32 exec_lo, exec_lo, s5
	s_cbranch_execnz .LBB29_9
; %bb.10:
	s_or_b32 exec_lo, exec_lo, s5
.LBB29_11:
	s_delay_alu instid0(SALU_CYCLE_1) | instskip(NEXT) | instid1(SALU_CYCLE_1)
	s_or_b32 exec_lo, exec_lo, s4
	s_and_not1_b32 vcc_lo, exec_lo, s3
	s_cbranch_vccz .LBB29_13
	s_branch .LBB29_18
.LBB29_12:
                                        ; implicit-def: $vgpr9
                                        ; implicit-def: $vgpr10
.LBB29_13:
	v_dual_mov_b32 v9, 0 :: v_dual_mov_b32 v10, 0
	s_delay_alu instid0(VALU_DEP_2)
	s_and_saveexec_b32 s3, s2
	s_cbranch_execz .LBB29_17
; %bb.14:
	v_mad_u64_u32 v[4:5], null, v2, 14, 13
	v_dual_mov_b32 v7, 0 :: v_dual_mov_b32 v10, 0
	v_mov_b32_e32 v9, 0
	s_mov_b32 s2, 0
.LBB29_15:                              ; =>This Inner Loop Header: Depth=1
	v_ashrrev_i32_e32 v3, 31, v2
	s_delay_alu instid0(VALU_DEP_4) | instskip(SKIP_2) | instid1(VALU_DEP_4)
	v_add_nc_u32_e32 v12, -6, v4
	v_mov_b32_e32 v14, v7
	v_mov_b32_e32 v13, v7
	v_lshlrev_b64 v[5:6], 2, v[2:3]
	v_add_nc_u32_e32 v2, 64, v2
	s_delay_alu instid0(VALU_DEP_2) | instskip(NEXT) | instid1(VALU_DEP_3)
	v_add_co_u32 v5, vcc_lo, s6, v5
	v_add_co_ci_u32_e32 v6, vcc_lo, s7, v6, vcc_lo
	global_load_b32 v3, v[5:6], off
	v_dual_mov_b32 v5, v7 :: v_dual_add_nc_u32 v6, -13, v4
	v_lshlrev_b64 v[12:13], 2, v[12:13]
	s_delay_alu instid0(VALU_DEP_2) | instskip(NEXT) | instid1(VALU_DEP_3)
	v_lshlrev_b64 v[15:16], 2, v[6:7]
	v_lshlrev_b64 v[5:6], 2, v[4:5]
	s_delay_alu instid0(VALU_DEP_2) | instskip(NEXT) | instid1(VALU_DEP_3)
	v_add_co_u32 v15, vcc_lo, s8, v15
	v_add_co_ci_u32_e32 v16, vcc_lo, s9, v16, vcc_lo
	v_add_co_u32 v12, vcc_lo, s8, v12
	v_add_co_ci_u32_e32 v13, vcc_lo, s9, v13, vcc_lo
	s_clause 0x1
	global_load_b64 v[15:16], v[15:16], off
	global_load_b32 v8, v[12:13], off
	v_add_co_u32 v17, vcc_lo, s8, v5
	v_add_co_ci_u32_e32 v18, vcc_lo, s9, v6, vcc_lo
	s_waitcnt vmcnt(2)
	v_subrev_nc_u32_e32 v3, s18, v3
	s_delay_alu instid0(VALU_DEP_1) | instskip(NEXT) | instid1(VALU_DEP_1)
	v_mul_lo_u32 v13, v3, 7
	v_lshlrev_b64 v[19:20], 2, v[13:14]
	s_delay_alu instid0(VALU_DEP_1) | instskip(NEXT) | instid1(VALU_DEP_2)
	v_add_co_u32 v19, vcc_lo, s10, v19
	v_add_co_ci_u32_e32 v20, vcc_lo, s11, v20, vcc_lo
	global_load_b32 v3, v[19:20], off
	s_waitcnt vmcnt(0)
	v_dual_fmac_f32 v9, v15, v3 :: v_dual_add_nc_u32 v6, 1, v13
	s_delay_alu instid0(VALU_DEP_1) | instskip(SKIP_1) | instid1(VALU_DEP_2)
	v_lshlrev_b64 v[21:22], 2, v[6:7]
	v_fmac_f32_e32 v10, v8, v3
	v_add_co_u32 v19, vcc_lo, s10, v21
	s_delay_alu instid0(VALU_DEP_3) | instskip(SKIP_3) | instid1(VALU_DEP_1)
	v_add_co_ci_u32_e32 v20, vcc_lo, s11, v22, vcc_lo
	global_load_b32 v14, v[19:20], off
	s_waitcnt vmcnt(0)
	v_dual_fmac_f32 v9, v16, v14 :: v_dual_add_nc_u32 v6, -5, v4
	v_lshlrev_b64 v[23:24], 2, v[6:7]
	v_add_nc_u32_e32 v6, -11, v4
	s_delay_alu instid0(VALU_DEP_1) | instskip(SKIP_1) | instid1(VALU_DEP_4)
	v_lshlrev_b64 v[21:22], 2, v[6:7]
	v_add_nc_u32_e32 v6, 2, v13
	v_add_co_u32 v23, vcc_lo, s8, v23
	v_add_co_ci_u32_e32 v24, vcc_lo, s9, v24, vcc_lo
	s_delay_alu instid0(VALU_DEP_3) | instskip(SKIP_3) | instid1(VALU_DEP_4)
	v_lshlrev_b64 v[19:20], 2, v[6:7]
	v_add_co_u32 v21, vcc_lo, s8, v21
	v_add_nc_u32_e32 v6, -4, v4
	v_add_co_ci_u32_e32 v22, vcc_lo, s9, v22, vcc_lo
	v_add_co_u32 v19, vcc_lo, s10, v19
	s_clause 0x1
	global_load_b32 v25, v[23:24], off
	global_load_b32 v26, v[21:22], off
	v_lshlrev_b64 v[23:24], 2, v[6:7]
	v_add_co_ci_u32_e32 v20, vcc_lo, s11, v20, vcc_lo
	v_add_nc_u32_e32 v6, -10, v4
	global_load_b32 v27, v[19:20], off
	v_add_co_u32 v19, vcc_lo, s8, v23
	v_add_co_ci_u32_e32 v20, vcc_lo, s9, v24, vcc_lo
	global_load_b32 v28, v[19:20], off
	v_lshlrev_b64 v[21:22], 2, v[6:7]
	v_add_nc_u32_e32 v6, 3, v13
	s_delay_alu instid0(VALU_DEP_1) | instskip(SKIP_1) | instid1(VALU_DEP_4)
	v_lshlrev_b64 v[23:24], 2, v[6:7]
	v_add_nc_u32_e32 v6, -3, v4
	v_add_co_u32 v21, vcc_lo, s8, v21
	v_add_co_ci_u32_e32 v22, vcc_lo, s9, v22, vcc_lo
	s_delay_alu instid0(VALU_DEP_3)
	v_lshlrev_b64 v[19:20], 2, v[6:7]
	v_add_nc_u32_e32 v6, -9, v4
	global_load_b32 v29, v[21:22], off
	v_add_co_u32 v21, vcc_lo, s10, v23
	v_add_co_ci_u32_e32 v22, vcc_lo, s11, v24, vcc_lo
	v_lshlrev_b64 v[23:24], 2, v[6:7]
	v_add_nc_u32_e32 v6, 4, v13
	v_add_co_u32 v19, vcc_lo, s8, v19
	v_add_co_ci_u32_e32 v20, vcc_lo, s9, v20, vcc_lo
	global_load_b32 v30, v[21:22], off
	v_lshlrev_b64 v[21:22], 2, v[6:7]
	v_add_nc_u32_e32 v6, -2, v4
	global_load_b32 v31, v[19:20], off
	v_add_co_u32 v19, vcc_lo, s8, v23
	v_add_co_ci_u32_e32 v20, vcc_lo, s9, v24, vcc_lo
	v_lshlrev_b64 v[23:24], 2, v[6:7]
	v_add_nc_u32_e32 v6, -8, v4
	v_add_co_u32 v21, vcc_lo, s10, v21
	v_add_co_ci_u32_e32 v22, vcc_lo, s11, v22, vcc_lo
	global_load_b32 v32, v[19:20], off
	v_lshlrev_b64 v[19:20], 2, v[6:7]
	v_add_nc_u32_e32 v6, 5, v13
	global_load_b32 v33, v[21:22], off
	v_add_co_u32 v21, vcc_lo, s8, v23
	v_add_co_ci_u32_e32 v22, vcc_lo, s9, v24, vcc_lo
	v_add_co_u32 v19, vcc_lo, s8, v19
	v_lshlrev_b64 v[23:24], 2, v[6:7]
	v_add_nc_u32_e32 v6, -1, v4
	v_add_co_ci_u32_e32 v20, vcc_lo, s9, v20, vcc_lo
	s_clause 0x1
	global_load_b32 v34, v[21:22], off
	global_load_b32 v35, v[19:20], off
	v_lshlrev_b64 v[21:22], 2, v[6:7]
	v_add_nc_u32_e32 v6, -7, v4
	v_add_co_u32 v19, vcc_lo, s10, v23
	v_add_co_ci_u32_e32 v20, vcc_lo, s11, v24, vcc_lo
	s_delay_alu instid0(VALU_DEP_3) | instskip(SKIP_3) | instid1(VALU_DEP_3)
	v_lshlrev_b64 v[23:24], 2, v[6:7]
	v_add_nc_u32_e32 v6, 6, v13
	v_add_co_u32 v12, vcc_lo, s8, v21
	v_add_co_ci_u32_e32 v13, vcc_lo, s9, v22, vcc_lo
	v_lshlrev_b64 v[5:6], 2, v[6:7]
	global_load_b32 v19, v[19:20], off
	v_add_nc_u32_e32 v4, 0x380, v4
	global_load_b32 v20, v[12:13], off
	v_add_co_u32 v12, vcc_lo, s8, v23
	v_add_co_ci_u32_e32 v13, vcc_lo, s9, v24, vcc_lo
	v_add_co_u32 v5, vcc_lo, s10, v5
	v_add_co_ci_u32_e32 v6, vcc_lo, s11, v6, vcc_lo
	s_clause 0x1
	global_load_b32 v17, v[17:18], off
	global_load_b32 v12, v[12:13], off
	;; [unrolled: 1-line block ×3, first 2 shown]
	v_cmp_ge_i32_e32 vcc_lo, v2, v11
	s_or_b32 s2, vcc_lo, s2
	s_waitcnt vmcnt(13)
	v_dual_fmac_f32 v10, v25, v14 :: v_dual_fmac_f32 v9, v26, v27
	s_waitcnt vmcnt(10)
	s_delay_alu instid0(VALU_DEP_1) | instskip(SKIP_1) | instid1(VALU_DEP_1)
	v_dual_fmac_f32 v10, v28, v27 :: v_dual_fmac_f32 v9, v29, v30
	s_waitcnt vmcnt(7)
	v_dual_fmac_f32 v10, v31, v30 :: v_dual_fmac_f32 v9, v32, v33
	s_waitcnt vmcnt(4)
	s_delay_alu instid0(VALU_DEP_1) | instskip(SKIP_1) | instid1(VALU_DEP_1)
	v_dual_fmac_f32 v10, v34, v33 :: v_dual_fmac_f32 v9, v35, v19
	s_waitcnt vmcnt(3)
	v_fmac_f32_e32 v10, v20, v19
	s_waitcnt vmcnt(0)
	s_delay_alu instid0(VALU_DEP_2) | instskip(NEXT) | instid1(VALU_DEP_2)
	v_fmac_f32_e32 v9, v12, v5
	v_fmac_f32_e32 v10, v17, v5
	s_and_not1_b32 exec_lo, exec_lo, s2
	s_cbranch_execnz .LBB29_15
; %bb.16:
	s_or_b32 exec_lo, exec_lo, s2
.LBB29_17:
	s_delay_alu instid0(SALU_CYCLE_1)
	s_or_b32 exec_lo, exec_lo, s3
.LBB29_18:
	v_mbcnt_lo_u32_b32 v2, -1, 0
	s_mov_b32 s2, -1
	s_delay_alu instid0(VALU_DEP_1) | instskip(SKIP_2) | instid1(VALU_DEP_3)
	v_or_b32_e32 v3, 32, v2
	v_xor_b32_e32 v5, 16, v2
	v_xor_b32_e32 v7, 8, v2
	v_cmp_gt_i32_e32 vcc_lo, 32, v3
	v_cndmask_b32_e32 v3, v2, v3, vcc_lo
	s_delay_alu instid0(VALU_DEP_4) | instskip(NEXT) | instid1(VALU_DEP_2)
	v_cmp_gt_i32_e32 vcc_lo, 32, v5
	v_lshlrev_b32_e32 v3, 2, v3
	v_cndmask_b32_e32 v5, v2, v5, vcc_lo
	v_cmp_gt_i32_e32 vcc_lo, 32, v7
	ds_bpermute_b32 v4, v3, v9
	v_lshlrev_b32_e32 v5, 2, v5
	v_cndmask_b32_e32 v7, v2, v7, vcc_lo
	s_waitcnt lgkmcnt(0)
	s_delay_alu instid0(VALU_DEP_1)
	v_dual_add_f32 v4, v9, v4 :: v_dual_lshlrev_b32 v7, 2, v7
	ds_bpermute_b32 v6, v5, v4
	s_waitcnt lgkmcnt(0)
	v_add_f32_e32 v4, v4, v6
	ds_bpermute_b32 v3, v3, v10
	s_waitcnt lgkmcnt(0)
	v_add_f32_e32 v3, v10, v3
	;; [unrolled: 3-line block ×3, first 2 shown]
	ds_bpermute_b32 v5, v7, v4
	ds_bpermute_b32 v6, v7, v3
	v_xor_b32_e32 v7, 4, v2
	s_delay_alu instid0(VALU_DEP_1) | instskip(SKIP_2) | instid1(VALU_DEP_1)
	v_cmp_gt_i32_e32 vcc_lo, 32, v7
	s_waitcnt lgkmcnt(1)
	v_dual_cndmask_b32 v7, v2, v7 :: v_dual_add_f32 v4, v4, v5
	v_lshlrev_b32_e32 v7, 2, v7
	s_waitcnt lgkmcnt(0)
	v_add_f32_e32 v3, v3, v6
	ds_bpermute_b32 v5, v7, v4
	ds_bpermute_b32 v6, v7, v3
	v_xor_b32_e32 v7, 2, v2
	s_delay_alu instid0(VALU_DEP_1) | instskip(SKIP_2) | instid1(VALU_DEP_1)
	v_cmp_gt_i32_e32 vcc_lo, 32, v7
	v_cndmask_b32_e32 v7, v2, v7, vcc_lo
	s_waitcnt lgkmcnt(1)
	v_dual_add_f32 v4, v4, v5 :: v_dual_lshlrev_b32 v7, 2, v7
	s_waitcnt lgkmcnt(0)
	v_add_f32_e32 v3, v3, v6
	ds_bpermute_b32 v5, v7, v4
	ds_bpermute_b32 v6, v7, v3
	v_xor_b32_e32 v7, 1, v2
	s_delay_alu instid0(VALU_DEP_1) | instskip(SKIP_3) | instid1(VALU_DEP_2)
	v_cmp_gt_i32_e32 vcc_lo, 32, v7
	v_cndmask_b32_e32 v2, v2, v7, vcc_lo
	v_cmp_eq_u32_e32 vcc_lo, 63, v0
	s_waitcnt lgkmcnt(1)
	v_dual_add_f32 v2, v4, v5 :: v_dual_lshlrev_b32 v7, 2, v2
	s_waitcnt lgkmcnt(0)
	v_add_f32_e32 v3, v3, v6
	ds_bpermute_b32 v4, v7, v2
	ds_bpermute_b32 v5, v7, v3
	s_and_b32 exec_lo, exec_lo, vcc_lo
	s_cbranch_execz .LBB29_23
; %bb.19:
	s_load_b64 s[0:1], s[0:1], 0x38
	s_waitcnt lgkmcnt(0)
	v_dual_add_f32 v0, v2, v4 :: v_dual_add_f32 v3, v3, v5
	v_cmp_eq_f32_e64 s3, s12, 0
	s_delay_alu instid0(VALU_DEP_2) | instskip(SKIP_1) | instid1(VALU_DEP_3)
	v_dual_mul_f32 v2, s16, v0 :: v_dual_mul_f32 v3, s16, v3
	v_lshlrev_b32_e32 v0, 1, v1
	s_and_b32 vcc_lo, exec_lo, s3
	s_cbranch_vccz .LBB29_21
; %bb.20:
	s_delay_alu instid0(VALU_DEP_1) | instskip(SKIP_1) | instid1(VALU_DEP_1)
	v_ashrrev_i32_e32 v1, 31, v0
	s_mov_b32 s2, 0
	v_lshlrev_b64 v[4:5], 2, v[0:1]
	s_delay_alu instid0(VALU_DEP_1) | instskip(NEXT) | instid1(VALU_DEP_2)
	v_add_co_u32 v4, vcc_lo, s0, v4
	v_add_co_ci_u32_e32 v5, vcc_lo, s1, v5, vcc_lo
	global_store_b64 v[4:5], v[2:3], off
.LBB29_21:
	s_and_not1_b32 vcc_lo, exec_lo, s2
	s_cbranch_vccnz .LBB29_23
; %bb.22:
	v_ashrrev_i32_e32 v1, 31, v0
	s_delay_alu instid0(VALU_DEP_1) | instskip(NEXT) | instid1(VALU_DEP_1)
	v_lshlrev_b64 v[0:1], 2, v[0:1]
	v_add_co_u32 v0, vcc_lo, s0, v0
	s_delay_alu instid0(VALU_DEP_2)
	v_add_co_ci_u32_e32 v1, vcc_lo, s1, v1, vcc_lo
	global_load_b64 v[4:5], v[0:1], off
	s_waitcnt vmcnt(0)
	v_dual_fmac_f32 v2, s12, v4 :: v_dual_fmac_f32 v3, s12, v5
	global_store_b64 v[0:1], v[2:3], off
.LBB29_23:
	s_nop 0
	s_sendmsg sendmsg(MSG_DEALLOC_VGPRS)
	s_endpgm
	.section	.rodata,"a",@progbits
	.p2align	6, 0x0
	.amdhsa_kernel _ZN9rocsparseL19gebsrmvn_2xn_kernelILj128ELj7ELj64EfEEvi20rocsparse_direction_NS_24const_host_device_scalarIT2_EEPKiS6_PKS3_S8_S4_PS3_21rocsparse_index_base_b
		.amdhsa_group_segment_fixed_size 0
		.amdhsa_private_segment_fixed_size 0
		.amdhsa_kernarg_size 72
		.amdhsa_user_sgpr_count 15
		.amdhsa_user_sgpr_dispatch_ptr 0
		.amdhsa_user_sgpr_queue_ptr 0
		.amdhsa_user_sgpr_kernarg_segment_ptr 1
		.amdhsa_user_sgpr_dispatch_id 0
		.amdhsa_user_sgpr_private_segment_size 0
		.amdhsa_wavefront_size32 1
		.amdhsa_uses_dynamic_stack 0
		.amdhsa_enable_private_segment 0
		.amdhsa_system_sgpr_workgroup_id_x 1
		.amdhsa_system_sgpr_workgroup_id_y 0
		.amdhsa_system_sgpr_workgroup_id_z 0
		.amdhsa_system_sgpr_workgroup_info 0
		.amdhsa_system_vgpr_workitem_id 0
		.amdhsa_next_free_vgpr 36
		.amdhsa_next_free_sgpr 20
		.amdhsa_reserve_vcc 1
		.amdhsa_float_round_mode_32 0
		.amdhsa_float_round_mode_16_64 0
		.amdhsa_float_denorm_mode_32 3
		.amdhsa_float_denorm_mode_16_64 3
		.amdhsa_dx10_clamp 1
		.amdhsa_ieee_mode 1
		.amdhsa_fp16_overflow 0
		.amdhsa_workgroup_processor_mode 1
		.amdhsa_memory_ordered 1
		.amdhsa_forward_progress 0
		.amdhsa_shared_vgpr_count 0
		.amdhsa_exception_fp_ieee_invalid_op 0
		.amdhsa_exception_fp_denorm_src 0
		.amdhsa_exception_fp_ieee_div_zero 0
		.amdhsa_exception_fp_ieee_overflow 0
		.amdhsa_exception_fp_ieee_underflow 0
		.amdhsa_exception_fp_ieee_inexact 0
		.amdhsa_exception_int_div_zero 0
	.end_amdhsa_kernel
	.section	.text._ZN9rocsparseL19gebsrmvn_2xn_kernelILj128ELj7ELj64EfEEvi20rocsparse_direction_NS_24const_host_device_scalarIT2_EEPKiS6_PKS3_S8_S4_PS3_21rocsparse_index_base_b,"axG",@progbits,_ZN9rocsparseL19gebsrmvn_2xn_kernelILj128ELj7ELj64EfEEvi20rocsparse_direction_NS_24const_host_device_scalarIT2_EEPKiS6_PKS3_S8_S4_PS3_21rocsparse_index_base_b,comdat
.Lfunc_end29:
	.size	_ZN9rocsparseL19gebsrmvn_2xn_kernelILj128ELj7ELj64EfEEvi20rocsparse_direction_NS_24const_host_device_scalarIT2_EEPKiS6_PKS3_S8_S4_PS3_21rocsparse_index_base_b, .Lfunc_end29-_ZN9rocsparseL19gebsrmvn_2xn_kernelILj128ELj7ELj64EfEEvi20rocsparse_direction_NS_24const_host_device_scalarIT2_EEPKiS6_PKS3_S8_S4_PS3_21rocsparse_index_base_b
                                        ; -- End function
	.section	.AMDGPU.csdata,"",@progbits
; Kernel info:
; codeLenInByte = 2448
; NumSgprs: 22
; NumVgprs: 36
; ScratchSize: 0
; MemoryBound: 0
; FloatMode: 240
; IeeeMode: 1
; LDSByteSize: 0 bytes/workgroup (compile time only)
; SGPRBlocks: 2
; VGPRBlocks: 4
; NumSGPRsForWavesPerEU: 22
; NumVGPRsForWavesPerEU: 36
; Occupancy: 16
; WaveLimiterHint : 1
; COMPUTE_PGM_RSRC2:SCRATCH_EN: 0
; COMPUTE_PGM_RSRC2:USER_SGPR: 15
; COMPUTE_PGM_RSRC2:TRAP_HANDLER: 0
; COMPUTE_PGM_RSRC2:TGID_X_EN: 1
; COMPUTE_PGM_RSRC2:TGID_Y_EN: 0
; COMPUTE_PGM_RSRC2:TGID_Z_EN: 0
; COMPUTE_PGM_RSRC2:TIDIG_COMP_CNT: 0
	.section	.text._ZN9rocsparseL19gebsrmvn_2xn_kernelILj128ELj8ELj4EfEEvi20rocsparse_direction_NS_24const_host_device_scalarIT2_EEPKiS6_PKS3_S8_S4_PS3_21rocsparse_index_base_b,"axG",@progbits,_ZN9rocsparseL19gebsrmvn_2xn_kernelILj128ELj8ELj4EfEEvi20rocsparse_direction_NS_24const_host_device_scalarIT2_EEPKiS6_PKS3_S8_S4_PS3_21rocsparse_index_base_b,comdat
	.globl	_ZN9rocsparseL19gebsrmvn_2xn_kernelILj128ELj8ELj4EfEEvi20rocsparse_direction_NS_24const_host_device_scalarIT2_EEPKiS6_PKS3_S8_S4_PS3_21rocsparse_index_base_b ; -- Begin function _ZN9rocsparseL19gebsrmvn_2xn_kernelILj128ELj8ELj4EfEEvi20rocsparse_direction_NS_24const_host_device_scalarIT2_EEPKiS6_PKS3_S8_S4_PS3_21rocsparse_index_base_b
	.p2align	8
	.type	_ZN9rocsparseL19gebsrmvn_2xn_kernelILj128ELj8ELj4EfEEvi20rocsparse_direction_NS_24const_host_device_scalarIT2_EEPKiS6_PKS3_S8_S4_PS3_21rocsparse_index_base_b,@function
_ZN9rocsparseL19gebsrmvn_2xn_kernelILj128ELj8ELj4EfEEvi20rocsparse_direction_NS_24const_host_device_scalarIT2_EEPKiS6_PKS3_S8_S4_PS3_21rocsparse_index_base_b: ; @_ZN9rocsparseL19gebsrmvn_2xn_kernelILj128ELj8ELj4EfEEvi20rocsparse_direction_NS_24const_host_device_scalarIT2_EEPKiS6_PKS3_S8_S4_PS3_21rocsparse_index_base_b
; %bb.0:
	s_clause 0x2
	s_load_b64 s[18:19], s[0:1], 0x40
	s_load_b64 s[16:17], s[0:1], 0x8
	;; [unrolled: 1-line block ×3, first 2 shown]
	s_waitcnt lgkmcnt(0)
	s_bitcmp1_b32 s19, 0
	s_cselect_b32 s2, -1, 0
	s_delay_alu instid0(SALU_CYCLE_1)
	s_and_b32 vcc_lo, exec_lo, s2
	s_xor_b32 s2, s2, -1
	s_cbranch_vccnz .LBB30_2
; %bb.1:
	s_load_b32 s16, s[16:17], 0x0
.LBB30_2:
	s_and_not1_b32 vcc_lo, exec_lo, s2
	s_cbranch_vccnz .LBB30_4
; %bb.3:
	s_load_b32 s12, s[12:13], 0x0
.LBB30_4:
	s_waitcnt lgkmcnt(0)
	v_cmp_eq_f32_e64 s2, s16, 0
	v_cmp_eq_f32_e64 s3, s12, 1.0
	s_delay_alu instid0(VALU_DEP_1) | instskip(NEXT) | instid1(SALU_CYCLE_1)
	s_and_b32 s2, s2, s3
	s_and_b32 vcc_lo, exec_lo, s2
	s_cbranch_vccnz .LBB30_23
; %bb.5:
	s_load_b64 s[2:3], s[0:1], 0x0
	v_lshrrev_b32_e32 v1, 2, v0
	s_delay_alu instid0(VALU_DEP_1) | instskip(SKIP_1) | instid1(VALU_DEP_1)
	v_lshl_or_b32 v1, s15, 5, v1
	s_waitcnt lgkmcnt(0)
	v_cmp_gt_i32_e32 vcc_lo, s2, v1
	s_and_saveexec_b32 s2, vcc_lo
	s_cbranch_execz .LBB30_23
; %bb.6:
	s_load_b256 s[4:11], s[0:1], 0x10
	v_ashrrev_i32_e32 v2, 31, v1
	v_and_b32_e32 v0, 3, v0
	s_cmp_lg_u32 s3, 0
	s_delay_alu instid0(VALU_DEP_2) | instskip(SKIP_1) | instid1(VALU_DEP_1)
	v_lshlrev_b64 v[2:3], 2, v[1:2]
	s_waitcnt lgkmcnt(0)
	v_add_co_u32 v2, vcc_lo, s4, v2
	s_delay_alu instid0(VALU_DEP_2) | instskip(SKIP_4) | instid1(VALU_DEP_2)
	v_add_co_ci_u32_e32 v3, vcc_lo, s5, v3, vcc_lo
	global_load_b64 v[2:3], v[2:3], off
	s_waitcnt vmcnt(0)
	v_subrev_nc_u32_e32 v2, s18, v2
	v_subrev_nc_u32_e32 v8, s18, v3
	v_add_nc_u32_e32 v2, v2, v0
	s_delay_alu instid0(VALU_DEP_1)
	v_cmp_lt_i32_e64 s2, v2, v8
	s_cbranch_scc0 .LBB30_12
; %bb.7:
	v_mov_b32_e32 v7, 0
	v_mov_b32_e32 v9, 0
	s_mov_b32 s3, 0
	s_and_saveexec_b32 s4, s2
	s_cbranch_execz .LBB30_11
; %bb.8:
	v_dual_mov_b32 v4, 0 :: v_dual_lshlrev_b32 v3, 4, v2
	v_mov_b32_e32 v5, v2
	s_mov_b32 s5, 0
	s_delay_alu instid0(VALU_DEP_2)
	v_mov_b32_e32 v7, v4
	v_mov_b32_e32 v9, v4
.LBB30_9:                               ; =>This Inner Loop Header: Depth=1
	s_delay_alu instid0(VALU_DEP_3) | instskip(NEXT) | instid1(VALU_DEP_1)
	v_ashrrev_i32_e32 v6, 31, v5
	v_lshlrev_b64 v[10:11], 2, v[5:6]
	v_add_nc_u32_e32 v5, 4, v5
	s_delay_alu instid0(VALU_DEP_2) | instskip(NEXT) | instid1(VALU_DEP_3)
	v_add_co_u32 v10, vcc_lo, s6, v10
	v_add_co_ci_u32_e32 v11, vcc_lo, s7, v11, vcc_lo
	global_load_b32 v6, v[10:11], off
	v_lshlrev_b64 v[10:11], 2, v[3:4]
	v_add_nc_u32_e32 v3, 64, v3
	s_delay_alu instid0(VALU_DEP_2) | instskip(NEXT) | instid1(VALU_DEP_3)
	v_add_co_u32 v30, vcc_lo, s8, v10
	v_add_co_ci_u32_e32 v31, vcc_lo, s9, v11, vcc_lo
	s_waitcnt vmcnt(0)
	v_subrev_nc_u32_e32 v6, s18, v6
	s_delay_alu instid0(VALU_DEP_1) | instskip(NEXT) | instid1(VALU_DEP_1)
	v_dual_mov_b32 v13, v4 :: v_dual_lshlrev_b32 v12, 3, v6
	v_lshlrev_b64 v[12:13], 2, v[12:13]
	s_delay_alu instid0(VALU_DEP_1) | instskip(NEXT) | instid1(VALU_DEP_2)
	v_add_co_u32 v22, vcc_lo, s10, v12
	v_add_co_ci_u32_e32 v23, vcc_lo, s11, v13, vcc_lo
	v_cmp_ge_i32_e32 vcc_lo, v5, v8
	s_clause 0x1
	global_load_b128 v[10:13], v[30:31], off offset:16
	global_load_b128 v[14:17], v[30:31], off
	s_clause 0x1
	global_load_b128 v[18:21], v[22:23], off
	global_load_b128 v[22:25], v[22:23], off offset:16
	s_clause 0x1
	global_load_b128 v[26:29], v[30:31], off offset:32
	global_load_b128 v[30:33], v[30:31], off offset:48
	s_or_b32 s5, vcc_lo, s5
	s_waitcnt vmcnt(3)
	v_fmac_f32_e32 v7, v14, v18
	v_fmac_f32_e32 v9, v15, v18
	s_delay_alu instid0(VALU_DEP_2) | instskip(NEXT) | instid1(VALU_DEP_2)
	v_fmac_f32_e32 v7, v16, v19
	v_fmac_f32_e32 v9, v17, v19
	s_delay_alu instid0(VALU_DEP_2) | instskip(NEXT) | instid1(VALU_DEP_2)
	;; [unrolled: 3-line block ×3, first 2 shown]
	v_fmac_f32_e32 v7, v12, v21
	v_fmac_f32_e32 v9, v13, v21
	s_waitcnt vmcnt(1)
	s_delay_alu instid0(VALU_DEP_2) | instskip(NEXT) | instid1(VALU_DEP_2)
	v_fmac_f32_e32 v7, v26, v22
	v_fmac_f32_e32 v9, v27, v22
	s_delay_alu instid0(VALU_DEP_2) | instskip(NEXT) | instid1(VALU_DEP_2)
	v_fmac_f32_e32 v7, v28, v23
	v_fmac_f32_e32 v9, v29, v23
	s_waitcnt vmcnt(0)
	s_delay_alu instid0(VALU_DEP_2) | instskip(NEXT) | instid1(VALU_DEP_2)
	v_fmac_f32_e32 v7, v30, v24
	v_fmac_f32_e32 v9, v31, v24
	s_delay_alu instid0(VALU_DEP_2) | instskip(NEXT) | instid1(VALU_DEP_2)
	v_fmac_f32_e32 v7, v32, v25
	v_fmac_f32_e32 v9, v33, v25
	s_and_not1_b32 exec_lo, exec_lo, s5
	s_cbranch_execnz .LBB30_9
; %bb.10:
	s_or_b32 exec_lo, exec_lo, s5
.LBB30_11:
	s_delay_alu instid0(SALU_CYCLE_1) | instskip(NEXT) | instid1(SALU_CYCLE_1)
	s_or_b32 exec_lo, exec_lo, s4
	s_and_not1_b32 vcc_lo, exec_lo, s3
	s_cbranch_vccz .LBB30_13
	s_branch .LBB30_18
.LBB30_12:
                                        ; implicit-def: $vgpr7
                                        ; implicit-def: $vgpr9
.LBB30_13:
	v_mov_b32_e32 v7, 0
	v_mov_b32_e32 v9, 0
	s_delay_alu instid0(VALU_DEP_3)
	s_and_saveexec_b32 s3, s2
	s_cbranch_execz .LBB30_17
; %bb.14:
	v_dual_mov_b32 v5, 0 :: v_dual_lshlrev_b32 v4, 4, v2
	s_mov_b32 s2, 0
	s_delay_alu instid0(VALU_DEP_1)
	v_mov_b32_e32 v7, v5
	v_mov_b32_e32 v9, v5
.LBB30_15:                              ; =>This Inner Loop Header: Depth=1
	v_ashrrev_i32_e32 v3, 31, v2
	s_delay_alu instid0(VALU_DEP_1) | instskip(SKIP_1) | instid1(VALU_DEP_2)
	v_lshlrev_b64 v[10:11], 2, v[2:3]
	v_add_nc_u32_e32 v2, 4, v2
	v_add_co_u32 v10, vcc_lo, s6, v10
	s_delay_alu instid0(VALU_DEP_3) | instskip(SKIP_3) | instid1(VALU_DEP_2)
	v_add_co_ci_u32_e32 v11, vcc_lo, s7, v11, vcc_lo
	global_load_b32 v3, v[10:11], off
	v_lshlrev_b64 v[10:11], 2, v[4:5]
	v_add_nc_u32_e32 v4, 64, v4
	v_add_co_u32 v22, vcc_lo, s8, v10
	s_delay_alu instid0(VALU_DEP_3) | instskip(SKIP_2) | instid1(VALU_DEP_1)
	v_add_co_ci_u32_e32 v23, vcc_lo, s9, v11, vcc_lo
	s_waitcnt vmcnt(0)
	v_subrev_nc_u32_e32 v3, s18, v3
	v_dual_mov_b32 v13, v5 :: v_dual_lshlrev_b32 v12, 3, v3
	s_delay_alu instid0(VALU_DEP_1)
	v_lshlrev_b64 v[14:15], 2, v[12:13]
	global_load_b128 v[10:13], v[22:23], off offset:48
	v_add_co_u32 v30, vcc_lo, s10, v14
	v_add_co_ci_u32_e32 v31, vcc_lo, s11, v15, vcc_lo
	s_clause 0x2
	global_load_b128 v[14:17], v[22:23], off offset:32
	global_load_b128 v[18:21], v[22:23], off offset:16
	global_load_b128 v[22:25], v[22:23], off
	s_clause 0x1
	global_load_b128 v[26:29], v[30:31], off
	global_load_b128 v[30:33], v[30:31], off offset:16
	v_cmp_ge_i32_e32 vcc_lo, v2, v8
	s_or_b32 s2, vcc_lo, s2
	s_waitcnt vmcnt(1)
	v_fmac_f32_e32 v7, v22, v26
	v_fmac_f32_e32 v9, v14, v26
	s_delay_alu instid0(VALU_DEP_2) | instskip(NEXT) | instid1(VALU_DEP_2)
	v_fmac_f32_e32 v7, v23, v27
	v_fmac_f32_e32 v9, v15, v27
	s_delay_alu instid0(VALU_DEP_2) | instskip(NEXT) | instid1(VALU_DEP_2)
	;; [unrolled: 3-line block ×3, first 2 shown]
	v_fmac_f32_e32 v7, v25, v29
	v_fmac_f32_e32 v9, v17, v29
	s_waitcnt vmcnt(0)
	s_delay_alu instid0(VALU_DEP_2) | instskip(NEXT) | instid1(VALU_DEP_2)
	v_fmac_f32_e32 v7, v18, v30
	v_fmac_f32_e32 v9, v10, v30
	s_delay_alu instid0(VALU_DEP_2) | instskip(NEXT) | instid1(VALU_DEP_2)
	v_fmac_f32_e32 v7, v19, v31
	v_fmac_f32_e32 v9, v11, v31
	;; [unrolled: 3-line block ×4, first 2 shown]
	s_and_not1_b32 exec_lo, exec_lo, s2
	s_cbranch_execnz .LBB30_15
; %bb.16:
	s_or_b32 exec_lo, exec_lo, s2
.LBB30_17:
	s_delay_alu instid0(SALU_CYCLE_1)
	s_or_b32 exec_lo, exec_lo, s3
.LBB30_18:
	v_mbcnt_lo_u32_b32 v2, -1, 0
	s_mov_b32 s2, -1
	s_delay_alu instid0(VALU_DEP_1) | instskip(SKIP_1) | instid1(VALU_DEP_2)
	v_xor_b32_e32 v3, 2, v2
	v_xor_b32_e32 v5, 1, v2
	v_cmp_gt_i32_e32 vcc_lo, 32, v3
	v_cndmask_b32_e32 v3, v2, v3, vcc_lo
	s_delay_alu instid0(VALU_DEP_3) | instskip(NEXT) | instid1(VALU_DEP_2)
	v_cmp_gt_i32_e32 vcc_lo, 32, v5
	v_dual_cndmask_b32 v2, v2, v5 :: v_dual_lshlrev_b32 v3, 2, v3
	v_cmp_eq_u32_e32 vcc_lo, 3, v0
	ds_bpermute_b32 v4, v3, v7
	ds_bpermute_b32 v3, v3, v9
	s_waitcnt lgkmcnt(1)
	v_dual_add_f32 v2, v7, v4 :: v_dual_lshlrev_b32 v5, 2, v2
	s_waitcnt lgkmcnt(0)
	v_add_f32_e32 v3, v9, v3
	ds_bpermute_b32 v4, v5, v2
	ds_bpermute_b32 v5, v5, v3
	s_and_b32 exec_lo, exec_lo, vcc_lo
	s_cbranch_execz .LBB30_23
; %bb.19:
	s_load_b64 s[0:1], s[0:1], 0x38
	s_waitcnt lgkmcnt(0)
	v_dual_add_f32 v0, v2, v4 :: v_dual_add_f32 v3, v3, v5
	v_cmp_eq_f32_e64 s3, s12, 0
	s_delay_alu instid0(VALU_DEP_2) | instskip(SKIP_1) | instid1(VALU_DEP_3)
	v_dual_mul_f32 v2, s16, v0 :: v_dual_mul_f32 v3, s16, v3
	v_lshlrev_b32_e32 v0, 1, v1
	s_and_b32 vcc_lo, exec_lo, s3
	s_cbranch_vccz .LBB30_21
; %bb.20:
	s_delay_alu instid0(VALU_DEP_1) | instskip(SKIP_1) | instid1(VALU_DEP_1)
	v_ashrrev_i32_e32 v1, 31, v0
	s_mov_b32 s2, 0
	v_lshlrev_b64 v[4:5], 2, v[0:1]
	s_delay_alu instid0(VALU_DEP_1) | instskip(NEXT) | instid1(VALU_DEP_2)
	v_add_co_u32 v4, vcc_lo, s0, v4
	v_add_co_ci_u32_e32 v5, vcc_lo, s1, v5, vcc_lo
	global_store_b64 v[4:5], v[2:3], off
.LBB30_21:
	s_and_not1_b32 vcc_lo, exec_lo, s2
	s_cbranch_vccnz .LBB30_23
; %bb.22:
	v_ashrrev_i32_e32 v1, 31, v0
	s_delay_alu instid0(VALU_DEP_1) | instskip(NEXT) | instid1(VALU_DEP_1)
	v_lshlrev_b64 v[0:1], 2, v[0:1]
	v_add_co_u32 v0, vcc_lo, s0, v0
	s_delay_alu instid0(VALU_DEP_2)
	v_add_co_ci_u32_e32 v1, vcc_lo, s1, v1, vcc_lo
	global_load_b64 v[4:5], v[0:1], off
	s_waitcnt vmcnt(0)
	v_dual_fmac_f32 v2, s12, v4 :: v_dual_fmac_f32 v3, s12, v5
	global_store_b64 v[0:1], v[2:3], off
.LBB30_23:
	s_nop 0
	s_sendmsg sendmsg(MSG_DEALLOC_VGPRS)
	s_endpgm
	.section	.rodata,"a",@progbits
	.p2align	6, 0x0
	.amdhsa_kernel _ZN9rocsparseL19gebsrmvn_2xn_kernelILj128ELj8ELj4EfEEvi20rocsparse_direction_NS_24const_host_device_scalarIT2_EEPKiS6_PKS3_S8_S4_PS3_21rocsparse_index_base_b
		.amdhsa_group_segment_fixed_size 0
		.amdhsa_private_segment_fixed_size 0
		.amdhsa_kernarg_size 72
		.amdhsa_user_sgpr_count 15
		.amdhsa_user_sgpr_dispatch_ptr 0
		.amdhsa_user_sgpr_queue_ptr 0
		.amdhsa_user_sgpr_kernarg_segment_ptr 1
		.amdhsa_user_sgpr_dispatch_id 0
		.amdhsa_user_sgpr_private_segment_size 0
		.amdhsa_wavefront_size32 1
		.amdhsa_uses_dynamic_stack 0
		.amdhsa_enable_private_segment 0
		.amdhsa_system_sgpr_workgroup_id_x 1
		.amdhsa_system_sgpr_workgroup_id_y 0
		.amdhsa_system_sgpr_workgroup_id_z 0
		.amdhsa_system_sgpr_workgroup_info 0
		.amdhsa_system_vgpr_workitem_id 0
		.amdhsa_next_free_vgpr 34
		.amdhsa_next_free_sgpr 20
		.amdhsa_reserve_vcc 1
		.amdhsa_float_round_mode_32 0
		.amdhsa_float_round_mode_16_64 0
		.amdhsa_float_denorm_mode_32 3
		.amdhsa_float_denorm_mode_16_64 3
		.amdhsa_dx10_clamp 1
		.amdhsa_ieee_mode 1
		.amdhsa_fp16_overflow 0
		.amdhsa_workgroup_processor_mode 1
		.amdhsa_memory_ordered 1
		.amdhsa_forward_progress 0
		.amdhsa_shared_vgpr_count 0
		.amdhsa_exception_fp_ieee_invalid_op 0
		.amdhsa_exception_fp_denorm_src 0
		.amdhsa_exception_fp_ieee_div_zero 0
		.amdhsa_exception_fp_ieee_overflow 0
		.amdhsa_exception_fp_ieee_underflow 0
		.amdhsa_exception_fp_ieee_inexact 0
		.amdhsa_exception_int_div_zero 0
	.end_amdhsa_kernel
	.section	.text._ZN9rocsparseL19gebsrmvn_2xn_kernelILj128ELj8ELj4EfEEvi20rocsparse_direction_NS_24const_host_device_scalarIT2_EEPKiS6_PKS3_S8_S4_PS3_21rocsparse_index_base_b,"axG",@progbits,_ZN9rocsparseL19gebsrmvn_2xn_kernelILj128ELj8ELj4EfEEvi20rocsparse_direction_NS_24const_host_device_scalarIT2_EEPKiS6_PKS3_S8_S4_PS3_21rocsparse_index_base_b,comdat
.Lfunc_end30:
	.size	_ZN9rocsparseL19gebsrmvn_2xn_kernelILj128ELj8ELj4EfEEvi20rocsparse_direction_NS_24const_host_device_scalarIT2_EEPKiS6_PKS3_S8_S4_PS3_21rocsparse_index_base_b, .Lfunc_end30-_ZN9rocsparseL19gebsrmvn_2xn_kernelILj128ELj8ELj4EfEEvi20rocsparse_direction_NS_24const_host_device_scalarIT2_EEPKiS6_PKS3_S8_S4_PS3_21rocsparse_index_base_b
                                        ; -- End function
	.section	.AMDGPU.csdata,"",@progbits
; Kernel info:
; codeLenInByte = 1244
; NumSgprs: 22
; NumVgprs: 34
; ScratchSize: 0
; MemoryBound: 0
; FloatMode: 240
; IeeeMode: 1
; LDSByteSize: 0 bytes/workgroup (compile time only)
; SGPRBlocks: 2
; VGPRBlocks: 4
; NumSGPRsForWavesPerEU: 22
; NumVGPRsForWavesPerEU: 34
; Occupancy: 16
; WaveLimiterHint : 1
; COMPUTE_PGM_RSRC2:SCRATCH_EN: 0
; COMPUTE_PGM_RSRC2:USER_SGPR: 15
; COMPUTE_PGM_RSRC2:TRAP_HANDLER: 0
; COMPUTE_PGM_RSRC2:TGID_X_EN: 1
; COMPUTE_PGM_RSRC2:TGID_Y_EN: 0
; COMPUTE_PGM_RSRC2:TGID_Z_EN: 0
; COMPUTE_PGM_RSRC2:TIDIG_COMP_CNT: 0
	.section	.text._ZN9rocsparseL19gebsrmvn_2xn_kernelILj128ELj8ELj8EfEEvi20rocsparse_direction_NS_24const_host_device_scalarIT2_EEPKiS6_PKS3_S8_S4_PS3_21rocsparse_index_base_b,"axG",@progbits,_ZN9rocsparseL19gebsrmvn_2xn_kernelILj128ELj8ELj8EfEEvi20rocsparse_direction_NS_24const_host_device_scalarIT2_EEPKiS6_PKS3_S8_S4_PS3_21rocsparse_index_base_b,comdat
	.globl	_ZN9rocsparseL19gebsrmvn_2xn_kernelILj128ELj8ELj8EfEEvi20rocsparse_direction_NS_24const_host_device_scalarIT2_EEPKiS6_PKS3_S8_S4_PS3_21rocsparse_index_base_b ; -- Begin function _ZN9rocsparseL19gebsrmvn_2xn_kernelILj128ELj8ELj8EfEEvi20rocsparse_direction_NS_24const_host_device_scalarIT2_EEPKiS6_PKS3_S8_S4_PS3_21rocsparse_index_base_b
	.p2align	8
	.type	_ZN9rocsparseL19gebsrmvn_2xn_kernelILj128ELj8ELj8EfEEvi20rocsparse_direction_NS_24const_host_device_scalarIT2_EEPKiS6_PKS3_S8_S4_PS3_21rocsparse_index_base_b,@function
_ZN9rocsparseL19gebsrmvn_2xn_kernelILj128ELj8ELj8EfEEvi20rocsparse_direction_NS_24const_host_device_scalarIT2_EEPKiS6_PKS3_S8_S4_PS3_21rocsparse_index_base_b: ; @_ZN9rocsparseL19gebsrmvn_2xn_kernelILj128ELj8ELj8EfEEvi20rocsparse_direction_NS_24const_host_device_scalarIT2_EEPKiS6_PKS3_S8_S4_PS3_21rocsparse_index_base_b
; %bb.0:
	s_clause 0x2
	s_load_b64 s[18:19], s[0:1], 0x40
	s_load_b64 s[16:17], s[0:1], 0x8
	;; [unrolled: 1-line block ×3, first 2 shown]
	s_waitcnt lgkmcnt(0)
	s_bitcmp1_b32 s19, 0
	s_cselect_b32 s2, -1, 0
	s_delay_alu instid0(SALU_CYCLE_1)
	s_and_b32 vcc_lo, exec_lo, s2
	s_xor_b32 s2, s2, -1
	s_cbranch_vccnz .LBB31_2
; %bb.1:
	s_load_b32 s16, s[16:17], 0x0
.LBB31_2:
	s_and_not1_b32 vcc_lo, exec_lo, s2
	s_cbranch_vccnz .LBB31_4
; %bb.3:
	s_load_b32 s12, s[12:13], 0x0
.LBB31_4:
	s_waitcnt lgkmcnt(0)
	v_cmp_eq_f32_e64 s2, s16, 0
	v_cmp_eq_f32_e64 s3, s12, 1.0
	s_delay_alu instid0(VALU_DEP_1) | instskip(NEXT) | instid1(SALU_CYCLE_1)
	s_and_b32 s2, s2, s3
	s_and_b32 vcc_lo, exec_lo, s2
	s_cbranch_vccnz .LBB31_23
; %bb.5:
	s_load_b64 s[2:3], s[0:1], 0x0
	v_lshrrev_b32_e32 v1, 3, v0
	s_delay_alu instid0(VALU_DEP_1) | instskip(SKIP_1) | instid1(VALU_DEP_1)
	v_lshl_or_b32 v1, s15, 4, v1
	s_waitcnt lgkmcnt(0)
	v_cmp_gt_i32_e32 vcc_lo, s2, v1
	s_and_saveexec_b32 s2, vcc_lo
	s_cbranch_execz .LBB31_23
; %bb.6:
	s_load_b256 s[4:11], s[0:1], 0x10
	v_ashrrev_i32_e32 v2, 31, v1
	v_and_b32_e32 v0, 7, v0
	s_cmp_lg_u32 s3, 0
	s_delay_alu instid0(VALU_DEP_2) | instskip(SKIP_1) | instid1(VALU_DEP_1)
	v_lshlrev_b64 v[2:3], 2, v[1:2]
	s_waitcnt lgkmcnt(0)
	v_add_co_u32 v2, vcc_lo, s4, v2
	s_delay_alu instid0(VALU_DEP_2) | instskip(SKIP_4) | instid1(VALU_DEP_2)
	v_add_co_ci_u32_e32 v3, vcc_lo, s5, v3, vcc_lo
	global_load_b64 v[2:3], v[2:3], off
	s_waitcnt vmcnt(0)
	v_subrev_nc_u32_e32 v2, s18, v2
	v_subrev_nc_u32_e32 v9, s18, v3
	v_add_nc_u32_e32 v2, v2, v0
	s_delay_alu instid0(VALU_DEP_1)
	v_cmp_lt_i32_e64 s2, v2, v9
	s_cbranch_scc0 .LBB31_12
; %bb.7:
	v_dual_mov_b32 v7, 0 :: v_dual_mov_b32 v8, 0
	s_mov_b32 s3, 0
	s_delay_alu instid0(VALU_DEP_2)
	s_and_saveexec_b32 s4, s2
	s_cbranch_execz .LBB31_11
; %bb.8:
	v_dual_mov_b32 v4, 0 :: v_dual_lshlrev_b32 v3, 4, v2
	v_mov_b32_e32 v5, v2
	s_mov_b32 s5, 0
	s_delay_alu instid0(VALU_DEP_2)
	v_mov_b32_e32 v8, v4
	v_mov_b32_e32 v7, v4
.LBB31_9:                               ; =>This Inner Loop Header: Depth=1
	s_delay_alu instid0(VALU_DEP_3) | instskip(NEXT) | instid1(VALU_DEP_1)
	v_ashrrev_i32_e32 v6, 31, v5
	v_lshlrev_b64 v[10:11], 2, v[5:6]
	s_delay_alu instid0(VALU_DEP_1) | instskip(NEXT) | instid1(VALU_DEP_2)
	v_add_co_u32 v10, vcc_lo, s6, v10
	v_add_co_ci_u32_e32 v11, vcc_lo, s7, v11, vcc_lo
	global_load_b32 v6, v[10:11], off
	v_lshlrev_b64 v[10:11], 2, v[3:4]
	v_add_nc_u32_e32 v3, 0x80, v3
	s_delay_alu instid0(VALU_DEP_2) | instskip(NEXT) | instid1(VALU_DEP_3)
	v_add_co_u32 v30, vcc_lo, s8, v10
	v_add_co_ci_u32_e32 v31, vcc_lo, s9, v11, vcc_lo
	s_waitcnt vmcnt(0)
	v_subrev_nc_u32_e32 v6, s18, v6
	s_delay_alu instid0(VALU_DEP_1) | instskip(NEXT) | instid1(VALU_DEP_1)
	v_dual_mov_b32 v13, v4 :: v_dual_lshlrev_b32 v12, 3, v6
	v_lshlrev_b64 v[12:13], 2, v[12:13]
	s_delay_alu instid0(VALU_DEP_1) | instskip(NEXT) | instid1(VALU_DEP_2)
	v_add_co_u32 v22, vcc_lo, s10, v12
	v_add_co_ci_u32_e32 v23, vcc_lo, s11, v13, vcc_lo
	s_clause 0x1
	global_load_b128 v[10:13], v[30:31], off offset:16
	global_load_b128 v[14:17], v[30:31], off
	s_clause 0x1
	global_load_b128 v[18:21], v[22:23], off
	global_load_b128 v[22:25], v[22:23], off offset:16
	s_clause 0x1
	global_load_b128 v[26:29], v[30:31], off offset:32
	global_load_b128 v[30:33], v[30:31], off offset:48
	s_waitcnt vmcnt(3)
	v_fmac_f32_e32 v8, v15, v18
	s_delay_alu instid0(VALU_DEP_1) | instskip(NEXT) | instid1(VALU_DEP_1)
	v_dual_fmac_f32 v7, v14, v18 :: v_dual_fmac_f32 v8, v17, v19
	v_dual_fmac_f32 v7, v16, v19 :: v_dual_fmac_f32 v8, v11, v20
	s_delay_alu instid0(VALU_DEP_1) | instskip(SKIP_1) | instid1(VALU_DEP_1)
	v_dual_fmac_f32 v7, v10, v20 :: v_dual_fmac_f32 v8, v13, v21
	s_waitcnt vmcnt(1)
	v_dual_fmac_f32 v7, v12, v21 :: v_dual_fmac_f32 v8, v27, v22
	s_delay_alu instid0(VALU_DEP_1) | instskip(NEXT) | instid1(VALU_DEP_1)
	v_dual_fmac_f32 v7, v26, v22 :: v_dual_fmac_f32 v8, v29, v23
	v_fmac_f32_e32 v7, v28, v23
	s_waitcnt vmcnt(0)
	s_delay_alu instid0(VALU_DEP_2) | instskip(NEXT) | instid1(VALU_DEP_2)
	v_dual_fmac_f32 v8, v31, v24 :: v_dual_add_nc_u32 v5, 8, v5
	v_fmac_f32_e32 v7, v30, v24
	s_delay_alu instid0(VALU_DEP_2) | instskip(NEXT) | instid1(VALU_DEP_3)
	v_cmp_ge_i32_e32 vcc_lo, v5, v9
	v_fmac_f32_e32 v8, v33, v25
	s_delay_alu instid0(VALU_DEP_3) | instskip(SKIP_1) | instid1(SALU_CYCLE_1)
	v_fmac_f32_e32 v7, v32, v25
	s_or_b32 s5, vcc_lo, s5
	s_and_not1_b32 exec_lo, exec_lo, s5
	s_cbranch_execnz .LBB31_9
; %bb.10:
	s_or_b32 exec_lo, exec_lo, s5
.LBB31_11:
	s_delay_alu instid0(SALU_CYCLE_1) | instskip(NEXT) | instid1(SALU_CYCLE_1)
	s_or_b32 exec_lo, exec_lo, s4
	s_and_not1_b32 vcc_lo, exec_lo, s3
	s_cbranch_vccz .LBB31_13
	s_branch .LBB31_18
.LBB31_12:
                                        ; implicit-def: $vgpr7
                                        ; implicit-def: $vgpr8
.LBB31_13:
	v_dual_mov_b32 v7, 0 :: v_dual_mov_b32 v8, 0
	s_delay_alu instid0(VALU_DEP_2)
	s_and_saveexec_b32 s3, s2
	s_cbranch_execz .LBB31_17
; %bb.14:
	v_dual_mov_b32 v5, 0 :: v_dual_lshlrev_b32 v4, 4, v2
	s_mov_b32 s2, 0
	s_delay_alu instid0(VALU_DEP_1)
	v_mov_b32_e32 v7, v5
	v_mov_b32_e32 v8, v5
.LBB31_15:                              ; =>This Inner Loop Header: Depth=1
	v_ashrrev_i32_e32 v3, 31, v2
	s_delay_alu instid0(VALU_DEP_1) | instskip(NEXT) | instid1(VALU_DEP_1)
	v_lshlrev_b64 v[10:11], 2, v[2:3]
	v_add_co_u32 v10, vcc_lo, s6, v10
	s_delay_alu instid0(VALU_DEP_2) | instskip(SKIP_3) | instid1(VALU_DEP_2)
	v_add_co_ci_u32_e32 v11, vcc_lo, s7, v11, vcc_lo
	global_load_b32 v3, v[10:11], off
	v_lshlrev_b64 v[10:11], 2, v[4:5]
	v_add_nc_u32_e32 v4, 0x80, v4
	v_add_co_u32 v22, vcc_lo, s8, v10
	s_delay_alu instid0(VALU_DEP_3) | instskip(SKIP_2) | instid1(VALU_DEP_1)
	v_add_co_ci_u32_e32 v23, vcc_lo, s9, v11, vcc_lo
	s_waitcnt vmcnt(0)
	v_subrev_nc_u32_e32 v3, s18, v3
	v_dual_mov_b32 v13, v5 :: v_dual_lshlrev_b32 v12, 3, v3
	s_delay_alu instid0(VALU_DEP_1)
	v_lshlrev_b64 v[14:15], 2, v[12:13]
	global_load_b128 v[10:13], v[22:23], off offset:48
	v_add_co_u32 v30, vcc_lo, s10, v14
	v_add_co_ci_u32_e32 v31, vcc_lo, s11, v15, vcc_lo
	s_clause 0x2
	global_load_b128 v[14:17], v[22:23], off offset:32
	global_load_b128 v[18:21], v[22:23], off offset:16
	global_load_b128 v[22:25], v[22:23], off
	s_clause 0x1
	global_load_b128 v[26:29], v[30:31], off
	global_load_b128 v[30:33], v[30:31], off offset:16
	s_waitcnt vmcnt(1)
	v_fmac_f32_e32 v8, v14, v26
	s_delay_alu instid0(VALU_DEP_1) | instskip(NEXT) | instid1(VALU_DEP_1)
	v_dual_fmac_f32 v7, v22, v26 :: v_dual_fmac_f32 v8, v15, v27
	v_dual_fmac_f32 v7, v23, v27 :: v_dual_fmac_f32 v8, v16, v28
	s_delay_alu instid0(VALU_DEP_1) | instskip(SKIP_1) | instid1(VALU_DEP_1)
	v_dual_fmac_f32 v7, v24, v28 :: v_dual_fmac_f32 v8, v17, v29
	s_waitcnt vmcnt(0)
	v_dual_fmac_f32 v7, v25, v29 :: v_dual_fmac_f32 v8, v10, v30
	s_delay_alu instid0(VALU_DEP_1) | instskip(NEXT) | instid1(VALU_DEP_1)
	v_dual_fmac_f32 v7, v18, v30 :: v_dual_fmac_f32 v8, v11, v31
	v_dual_fmac_f32 v7, v19, v31 :: v_dual_add_nc_u32 v2, 8, v2
	s_delay_alu instid0(VALU_DEP_1) | instskip(NEXT) | instid1(VALU_DEP_3)
	v_fmac_f32_e32 v7, v20, v32
	v_fmac_f32_e32 v8, v12, v32
	s_delay_alu instid0(VALU_DEP_3) | instskip(NEXT) | instid1(VALU_DEP_3)
	v_cmp_ge_i32_e32 vcc_lo, v2, v9
	v_fmac_f32_e32 v7, v21, v33
	s_delay_alu instid0(VALU_DEP_3) | instskip(SKIP_1) | instid1(SALU_CYCLE_1)
	v_fmac_f32_e32 v8, v13, v33
	s_or_b32 s2, vcc_lo, s2
	s_and_not1_b32 exec_lo, exec_lo, s2
	s_cbranch_execnz .LBB31_15
; %bb.16:
	s_or_b32 exec_lo, exec_lo, s2
.LBB31_17:
	s_delay_alu instid0(SALU_CYCLE_1)
	s_or_b32 exec_lo, exec_lo, s3
.LBB31_18:
	v_mbcnt_lo_u32_b32 v2, -1, 0
	s_mov_b32 s2, -1
	s_delay_alu instid0(VALU_DEP_1) | instskip(SKIP_1) | instid1(VALU_DEP_2)
	v_xor_b32_e32 v3, 4, v2
	v_xor_b32_e32 v5, 2, v2
	v_cmp_gt_i32_e32 vcc_lo, 32, v3
	v_cndmask_b32_e32 v3, v2, v3, vcc_lo
	s_delay_alu instid0(VALU_DEP_3) | instskip(NEXT) | instid1(VALU_DEP_2)
	v_cmp_gt_i32_e32 vcc_lo, 32, v5
	v_lshlrev_b32_e32 v3, 2, v3
	v_cndmask_b32_e32 v5, v2, v5, vcc_lo
	ds_bpermute_b32 v4, v3, v7
	s_waitcnt lgkmcnt(0)
	v_add_f32_e32 v4, v7, v4
	v_xor_b32_e32 v7, 1, v2
	s_delay_alu instid0(VALU_DEP_1)
	v_cmp_gt_i32_e32 vcc_lo, 32, v7
	v_dual_cndmask_b32 v2, v2, v7 :: v_dual_lshlrev_b32 v5, 2, v5
	ds_bpermute_b32 v6, v5, v4
	v_cmp_eq_u32_e32 vcc_lo, 7, v0
	v_lshlrev_b32_e32 v7, 2, v2
	s_waitcnt lgkmcnt(0)
	v_add_f32_e32 v2, v4, v6
	ds_bpermute_b32 v3, v3, v8
	ds_bpermute_b32 v4, v7, v2
	s_waitcnt lgkmcnt(1)
	v_add_f32_e32 v3, v8, v3
	ds_bpermute_b32 v5, v5, v3
	s_waitcnt lgkmcnt(0)
	v_add_f32_e32 v3, v3, v5
	ds_bpermute_b32 v5, v7, v3
	s_and_b32 exec_lo, exec_lo, vcc_lo
	s_cbranch_execz .LBB31_23
; %bb.19:
	s_load_b64 s[0:1], s[0:1], 0x38
	s_waitcnt lgkmcnt(0)
	v_dual_add_f32 v0, v2, v4 :: v_dual_add_f32 v3, v3, v5
	v_cmp_eq_f32_e64 s3, s12, 0
	s_delay_alu instid0(VALU_DEP_2) | instskip(SKIP_1) | instid1(VALU_DEP_3)
	v_dual_mul_f32 v2, s16, v0 :: v_dual_mul_f32 v3, s16, v3
	v_lshlrev_b32_e32 v0, 1, v1
	s_and_b32 vcc_lo, exec_lo, s3
	s_cbranch_vccz .LBB31_21
; %bb.20:
	s_delay_alu instid0(VALU_DEP_1) | instskip(SKIP_1) | instid1(VALU_DEP_1)
	v_ashrrev_i32_e32 v1, 31, v0
	s_mov_b32 s2, 0
	v_lshlrev_b64 v[4:5], 2, v[0:1]
	s_delay_alu instid0(VALU_DEP_1) | instskip(NEXT) | instid1(VALU_DEP_2)
	v_add_co_u32 v4, vcc_lo, s0, v4
	v_add_co_ci_u32_e32 v5, vcc_lo, s1, v5, vcc_lo
	global_store_b64 v[4:5], v[2:3], off
.LBB31_21:
	s_and_not1_b32 vcc_lo, exec_lo, s2
	s_cbranch_vccnz .LBB31_23
; %bb.22:
	v_ashrrev_i32_e32 v1, 31, v0
	s_delay_alu instid0(VALU_DEP_1) | instskip(NEXT) | instid1(VALU_DEP_1)
	v_lshlrev_b64 v[0:1], 2, v[0:1]
	v_add_co_u32 v0, vcc_lo, s0, v0
	s_delay_alu instid0(VALU_DEP_2)
	v_add_co_ci_u32_e32 v1, vcc_lo, s1, v1, vcc_lo
	global_load_b64 v[4:5], v[0:1], off
	s_waitcnt vmcnt(0)
	v_dual_fmac_f32 v2, s12, v4 :: v_dual_fmac_f32 v3, s12, v5
	global_store_b64 v[0:1], v[2:3], off
.LBB31_23:
	s_nop 0
	s_sendmsg sendmsg(MSG_DEALLOC_VGPRS)
	s_endpgm
	.section	.rodata,"a",@progbits
	.p2align	6, 0x0
	.amdhsa_kernel _ZN9rocsparseL19gebsrmvn_2xn_kernelILj128ELj8ELj8EfEEvi20rocsparse_direction_NS_24const_host_device_scalarIT2_EEPKiS6_PKS3_S8_S4_PS3_21rocsparse_index_base_b
		.amdhsa_group_segment_fixed_size 0
		.amdhsa_private_segment_fixed_size 0
		.amdhsa_kernarg_size 72
		.amdhsa_user_sgpr_count 15
		.amdhsa_user_sgpr_dispatch_ptr 0
		.amdhsa_user_sgpr_queue_ptr 0
		.amdhsa_user_sgpr_kernarg_segment_ptr 1
		.amdhsa_user_sgpr_dispatch_id 0
		.amdhsa_user_sgpr_private_segment_size 0
		.amdhsa_wavefront_size32 1
		.amdhsa_uses_dynamic_stack 0
		.amdhsa_enable_private_segment 0
		.amdhsa_system_sgpr_workgroup_id_x 1
		.amdhsa_system_sgpr_workgroup_id_y 0
		.amdhsa_system_sgpr_workgroup_id_z 0
		.amdhsa_system_sgpr_workgroup_info 0
		.amdhsa_system_vgpr_workitem_id 0
		.amdhsa_next_free_vgpr 34
		.amdhsa_next_free_sgpr 20
		.amdhsa_reserve_vcc 1
		.amdhsa_float_round_mode_32 0
		.amdhsa_float_round_mode_16_64 0
		.amdhsa_float_denorm_mode_32 3
		.amdhsa_float_denorm_mode_16_64 3
		.amdhsa_dx10_clamp 1
		.amdhsa_ieee_mode 1
		.amdhsa_fp16_overflow 0
		.amdhsa_workgroup_processor_mode 1
		.amdhsa_memory_ordered 1
		.amdhsa_forward_progress 0
		.amdhsa_shared_vgpr_count 0
		.amdhsa_exception_fp_ieee_invalid_op 0
		.amdhsa_exception_fp_denorm_src 0
		.amdhsa_exception_fp_ieee_div_zero 0
		.amdhsa_exception_fp_ieee_overflow 0
		.amdhsa_exception_fp_ieee_underflow 0
		.amdhsa_exception_fp_ieee_inexact 0
		.amdhsa_exception_int_div_zero 0
	.end_amdhsa_kernel
	.section	.text._ZN9rocsparseL19gebsrmvn_2xn_kernelILj128ELj8ELj8EfEEvi20rocsparse_direction_NS_24const_host_device_scalarIT2_EEPKiS6_PKS3_S8_S4_PS3_21rocsparse_index_base_b,"axG",@progbits,_ZN9rocsparseL19gebsrmvn_2xn_kernelILj128ELj8ELj8EfEEvi20rocsparse_direction_NS_24const_host_device_scalarIT2_EEPKiS6_PKS3_S8_S4_PS3_21rocsparse_index_base_b,comdat
.Lfunc_end31:
	.size	_ZN9rocsparseL19gebsrmvn_2xn_kernelILj128ELj8ELj8EfEEvi20rocsparse_direction_NS_24const_host_device_scalarIT2_EEPKiS6_PKS3_S8_S4_PS3_21rocsparse_index_base_b, .Lfunc_end31-_ZN9rocsparseL19gebsrmvn_2xn_kernelILj128ELj8ELj8EfEEvi20rocsparse_direction_NS_24const_host_device_scalarIT2_EEPKiS6_PKS3_S8_S4_PS3_21rocsparse_index_base_b
                                        ; -- End function
	.section	.AMDGPU.csdata,"",@progbits
; Kernel info:
; codeLenInByte = 1300
; NumSgprs: 22
; NumVgprs: 34
; ScratchSize: 0
; MemoryBound: 0
; FloatMode: 240
; IeeeMode: 1
; LDSByteSize: 0 bytes/workgroup (compile time only)
; SGPRBlocks: 2
; VGPRBlocks: 4
; NumSGPRsForWavesPerEU: 22
; NumVGPRsForWavesPerEU: 34
; Occupancy: 16
; WaveLimiterHint : 1
; COMPUTE_PGM_RSRC2:SCRATCH_EN: 0
; COMPUTE_PGM_RSRC2:USER_SGPR: 15
; COMPUTE_PGM_RSRC2:TRAP_HANDLER: 0
; COMPUTE_PGM_RSRC2:TGID_X_EN: 1
; COMPUTE_PGM_RSRC2:TGID_Y_EN: 0
; COMPUTE_PGM_RSRC2:TGID_Z_EN: 0
; COMPUTE_PGM_RSRC2:TIDIG_COMP_CNT: 0
	.section	.text._ZN9rocsparseL19gebsrmvn_2xn_kernelILj128ELj8ELj16EfEEvi20rocsparse_direction_NS_24const_host_device_scalarIT2_EEPKiS6_PKS3_S8_S4_PS3_21rocsparse_index_base_b,"axG",@progbits,_ZN9rocsparseL19gebsrmvn_2xn_kernelILj128ELj8ELj16EfEEvi20rocsparse_direction_NS_24const_host_device_scalarIT2_EEPKiS6_PKS3_S8_S4_PS3_21rocsparse_index_base_b,comdat
	.globl	_ZN9rocsparseL19gebsrmvn_2xn_kernelILj128ELj8ELj16EfEEvi20rocsparse_direction_NS_24const_host_device_scalarIT2_EEPKiS6_PKS3_S8_S4_PS3_21rocsparse_index_base_b ; -- Begin function _ZN9rocsparseL19gebsrmvn_2xn_kernelILj128ELj8ELj16EfEEvi20rocsparse_direction_NS_24const_host_device_scalarIT2_EEPKiS6_PKS3_S8_S4_PS3_21rocsparse_index_base_b
	.p2align	8
	.type	_ZN9rocsparseL19gebsrmvn_2xn_kernelILj128ELj8ELj16EfEEvi20rocsparse_direction_NS_24const_host_device_scalarIT2_EEPKiS6_PKS3_S8_S4_PS3_21rocsparse_index_base_b,@function
_ZN9rocsparseL19gebsrmvn_2xn_kernelILj128ELj8ELj16EfEEvi20rocsparse_direction_NS_24const_host_device_scalarIT2_EEPKiS6_PKS3_S8_S4_PS3_21rocsparse_index_base_b: ; @_ZN9rocsparseL19gebsrmvn_2xn_kernelILj128ELj8ELj16EfEEvi20rocsparse_direction_NS_24const_host_device_scalarIT2_EEPKiS6_PKS3_S8_S4_PS3_21rocsparse_index_base_b
; %bb.0:
	s_clause 0x2
	s_load_b64 s[18:19], s[0:1], 0x40
	s_load_b64 s[16:17], s[0:1], 0x8
	;; [unrolled: 1-line block ×3, first 2 shown]
	s_waitcnt lgkmcnt(0)
	s_bitcmp1_b32 s19, 0
	s_cselect_b32 s2, -1, 0
	s_delay_alu instid0(SALU_CYCLE_1)
	s_and_b32 vcc_lo, exec_lo, s2
	s_xor_b32 s2, s2, -1
	s_cbranch_vccnz .LBB32_2
; %bb.1:
	s_load_b32 s16, s[16:17], 0x0
.LBB32_2:
	s_and_not1_b32 vcc_lo, exec_lo, s2
	s_cbranch_vccnz .LBB32_4
; %bb.3:
	s_load_b32 s12, s[12:13], 0x0
.LBB32_4:
	s_waitcnt lgkmcnt(0)
	v_cmp_eq_f32_e64 s2, s16, 0
	v_cmp_eq_f32_e64 s3, s12, 1.0
	s_delay_alu instid0(VALU_DEP_1) | instskip(NEXT) | instid1(SALU_CYCLE_1)
	s_and_b32 s2, s2, s3
	s_and_b32 vcc_lo, exec_lo, s2
	s_cbranch_vccnz .LBB32_23
; %bb.5:
	s_load_b64 s[2:3], s[0:1], 0x0
	v_lshrrev_b32_e32 v1, 4, v0
	s_delay_alu instid0(VALU_DEP_1) | instskip(SKIP_1) | instid1(VALU_DEP_1)
	v_lshl_or_b32 v1, s15, 3, v1
	s_waitcnt lgkmcnt(0)
	v_cmp_gt_i32_e32 vcc_lo, s2, v1
	s_and_saveexec_b32 s2, vcc_lo
	s_cbranch_execz .LBB32_23
; %bb.6:
	s_load_b256 s[4:11], s[0:1], 0x10
	v_ashrrev_i32_e32 v2, 31, v1
	v_and_b32_e32 v0, 15, v0
	s_cmp_lg_u32 s3, 0
	s_delay_alu instid0(VALU_DEP_2) | instskip(SKIP_1) | instid1(VALU_DEP_1)
	v_lshlrev_b64 v[2:3], 2, v[1:2]
	s_waitcnt lgkmcnt(0)
	v_add_co_u32 v2, vcc_lo, s4, v2
	s_delay_alu instid0(VALU_DEP_2) | instskip(SKIP_4) | instid1(VALU_DEP_2)
	v_add_co_ci_u32_e32 v3, vcc_lo, s5, v3, vcc_lo
	global_load_b64 v[2:3], v[2:3], off
	s_waitcnt vmcnt(0)
	v_subrev_nc_u32_e32 v2, s18, v2
	v_subrev_nc_u32_e32 v9, s18, v3
	v_add_nc_u32_e32 v2, v2, v0
	s_delay_alu instid0(VALU_DEP_1)
	v_cmp_lt_i32_e64 s2, v2, v9
	s_cbranch_scc0 .LBB32_12
; %bb.7:
	v_dual_mov_b32 v7, 0 :: v_dual_mov_b32 v8, 0
	s_mov_b32 s3, 0
	s_delay_alu instid0(VALU_DEP_2)
	s_and_saveexec_b32 s4, s2
	s_cbranch_execz .LBB32_11
; %bb.8:
	v_dual_mov_b32 v4, 0 :: v_dual_lshlrev_b32 v3, 4, v2
	v_mov_b32_e32 v5, v2
	s_mov_b32 s5, 0
	s_delay_alu instid0(VALU_DEP_2)
	v_mov_b32_e32 v8, v4
	v_mov_b32_e32 v7, v4
.LBB32_9:                               ; =>This Inner Loop Header: Depth=1
	s_delay_alu instid0(VALU_DEP_3) | instskip(NEXT) | instid1(VALU_DEP_1)
	v_ashrrev_i32_e32 v6, 31, v5
	v_lshlrev_b64 v[10:11], 2, v[5:6]
	s_delay_alu instid0(VALU_DEP_1) | instskip(NEXT) | instid1(VALU_DEP_2)
	v_add_co_u32 v10, vcc_lo, s6, v10
	v_add_co_ci_u32_e32 v11, vcc_lo, s7, v11, vcc_lo
	global_load_b32 v6, v[10:11], off
	v_lshlrev_b64 v[10:11], 2, v[3:4]
	v_add_nc_u32_e32 v3, 0x100, v3
	s_delay_alu instid0(VALU_DEP_2) | instskip(NEXT) | instid1(VALU_DEP_3)
	v_add_co_u32 v30, vcc_lo, s8, v10
	v_add_co_ci_u32_e32 v31, vcc_lo, s9, v11, vcc_lo
	s_waitcnt vmcnt(0)
	v_subrev_nc_u32_e32 v6, s18, v6
	s_delay_alu instid0(VALU_DEP_1) | instskip(NEXT) | instid1(VALU_DEP_1)
	v_dual_mov_b32 v13, v4 :: v_dual_lshlrev_b32 v12, 3, v6
	v_lshlrev_b64 v[12:13], 2, v[12:13]
	s_delay_alu instid0(VALU_DEP_1) | instskip(NEXT) | instid1(VALU_DEP_2)
	v_add_co_u32 v22, vcc_lo, s10, v12
	v_add_co_ci_u32_e32 v23, vcc_lo, s11, v13, vcc_lo
	s_clause 0x1
	global_load_b128 v[10:13], v[30:31], off offset:16
	global_load_b128 v[14:17], v[30:31], off
	s_clause 0x1
	global_load_b128 v[18:21], v[22:23], off
	global_load_b128 v[22:25], v[22:23], off offset:16
	s_clause 0x1
	global_load_b128 v[26:29], v[30:31], off offset:32
	global_load_b128 v[30:33], v[30:31], off offset:48
	s_waitcnt vmcnt(3)
	v_fmac_f32_e32 v8, v15, v18
	s_delay_alu instid0(VALU_DEP_1) | instskip(NEXT) | instid1(VALU_DEP_1)
	v_dual_fmac_f32 v7, v14, v18 :: v_dual_fmac_f32 v8, v17, v19
	v_dual_fmac_f32 v7, v16, v19 :: v_dual_fmac_f32 v8, v11, v20
	s_delay_alu instid0(VALU_DEP_1) | instskip(SKIP_1) | instid1(VALU_DEP_1)
	v_dual_fmac_f32 v7, v10, v20 :: v_dual_fmac_f32 v8, v13, v21
	s_waitcnt vmcnt(1)
	v_dual_fmac_f32 v7, v12, v21 :: v_dual_fmac_f32 v8, v27, v22
	s_delay_alu instid0(VALU_DEP_1) | instskip(NEXT) | instid1(VALU_DEP_1)
	v_dual_fmac_f32 v7, v26, v22 :: v_dual_fmac_f32 v8, v29, v23
	v_fmac_f32_e32 v7, v28, v23
	s_waitcnt vmcnt(0)
	s_delay_alu instid0(VALU_DEP_2) | instskip(NEXT) | instid1(VALU_DEP_2)
	v_dual_fmac_f32 v8, v31, v24 :: v_dual_add_nc_u32 v5, 16, v5
	v_fmac_f32_e32 v7, v30, v24
	s_delay_alu instid0(VALU_DEP_2) | instskip(NEXT) | instid1(VALU_DEP_3)
	v_cmp_ge_i32_e32 vcc_lo, v5, v9
	v_fmac_f32_e32 v8, v33, v25
	s_delay_alu instid0(VALU_DEP_3) | instskip(SKIP_1) | instid1(SALU_CYCLE_1)
	v_fmac_f32_e32 v7, v32, v25
	s_or_b32 s5, vcc_lo, s5
	s_and_not1_b32 exec_lo, exec_lo, s5
	s_cbranch_execnz .LBB32_9
; %bb.10:
	s_or_b32 exec_lo, exec_lo, s5
.LBB32_11:
	s_delay_alu instid0(SALU_CYCLE_1) | instskip(NEXT) | instid1(SALU_CYCLE_1)
	s_or_b32 exec_lo, exec_lo, s4
	s_and_not1_b32 vcc_lo, exec_lo, s3
	s_cbranch_vccz .LBB32_13
	s_branch .LBB32_18
.LBB32_12:
                                        ; implicit-def: $vgpr7
                                        ; implicit-def: $vgpr8
.LBB32_13:
	v_dual_mov_b32 v7, 0 :: v_dual_mov_b32 v8, 0
	s_delay_alu instid0(VALU_DEP_2)
	s_and_saveexec_b32 s3, s2
	s_cbranch_execz .LBB32_17
; %bb.14:
	v_dual_mov_b32 v5, 0 :: v_dual_lshlrev_b32 v4, 4, v2
	s_mov_b32 s2, 0
	s_delay_alu instid0(VALU_DEP_1)
	v_mov_b32_e32 v7, v5
	v_mov_b32_e32 v8, v5
.LBB32_15:                              ; =>This Inner Loop Header: Depth=1
	v_ashrrev_i32_e32 v3, 31, v2
	s_delay_alu instid0(VALU_DEP_1) | instskip(NEXT) | instid1(VALU_DEP_1)
	v_lshlrev_b64 v[10:11], 2, v[2:3]
	v_add_co_u32 v10, vcc_lo, s6, v10
	s_delay_alu instid0(VALU_DEP_2) | instskip(SKIP_3) | instid1(VALU_DEP_2)
	v_add_co_ci_u32_e32 v11, vcc_lo, s7, v11, vcc_lo
	global_load_b32 v3, v[10:11], off
	v_lshlrev_b64 v[10:11], 2, v[4:5]
	v_add_nc_u32_e32 v4, 0x100, v4
	v_add_co_u32 v22, vcc_lo, s8, v10
	s_delay_alu instid0(VALU_DEP_3) | instskip(SKIP_2) | instid1(VALU_DEP_1)
	v_add_co_ci_u32_e32 v23, vcc_lo, s9, v11, vcc_lo
	s_waitcnt vmcnt(0)
	v_subrev_nc_u32_e32 v3, s18, v3
	v_dual_mov_b32 v13, v5 :: v_dual_lshlrev_b32 v12, 3, v3
	s_delay_alu instid0(VALU_DEP_1)
	v_lshlrev_b64 v[14:15], 2, v[12:13]
	global_load_b128 v[10:13], v[22:23], off offset:48
	v_add_co_u32 v30, vcc_lo, s10, v14
	v_add_co_ci_u32_e32 v31, vcc_lo, s11, v15, vcc_lo
	s_clause 0x2
	global_load_b128 v[14:17], v[22:23], off offset:32
	global_load_b128 v[18:21], v[22:23], off offset:16
	global_load_b128 v[22:25], v[22:23], off
	s_clause 0x1
	global_load_b128 v[26:29], v[30:31], off
	global_load_b128 v[30:33], v[30:31], off offset:16
	s_waitcnt vmcnt(1)
	v_fmac_f32_e32 v8, v14, v26
	s_delay_alu instid0(VALU_DEP_1) | instskip(NEXT) | instid1(VALU_DEP_1)
	v_dual_fmac_f32 v7, v22, v26 :: v_dual_fmac_f32 v8, v15, v27
	v_dual_fmac_f32 v7, v23, v27 :: v_dual_fmac_f32 v8, v16, v28
	s_delay_alu instid0(VALU_DEP_1) | instskip(SKIP_1) | instid1(VALU_DEP_1)
	v_dual_fmac_f32 v7, v24, v28 :: v_dual_fmac_f32 v8, v17, v29
	s_waitcnt vmcnt(0)
	v_dual_fmac_f32 v7, v25, v29 :: v_dual_fmac_f32 v8, v10, v30
	s_delay_alu instid0(VALU_DEP_1) | instskip(NEXT) | instid1(VALU_DEP_1)
	v_dual_fmac_f32 v7, v18, v30 :: v_dual_fmac_f32 v8, v11, v31
	v_dual_fmac_f32 v7, v19, v31 :: v_dual_add_nc_u32 v2, 16, v2
	s_delay_alu instid0(VALU_DEP_1) | instskip(NEXT) | instid1(VALU_DEP_3)
	v_fmac_f32_e32 v7, v20, v32
	v_fmac_f32_e32 v8, v12, v32
	s_delay_alu instid0(VALU_DEP_3) | instskip(NEXT) | instid1(VALU_DEP_3)
	v_cmp_ge_i32_e32 vcc_lo, v2, v9
	v_fmac_f32_e32 v7, v21, v33
	s_delay_alu instid0(VALU_DEP_3) | instskip(SKIP_1) | instid1(SALU_CYCLE_1)
	v_fmac_f32_e32 v8, v13, v33
	s_or_b32 s2, vcc_lo, s2
	s_and_not1_b32 exec_lo, exec_lo, s2
	s_cbranch_execnz .LBB32_15
; %bb.16:
	s_or_b32 exec_lo, exec_lo, s2
.LBB32_17:
	s_delay_alu instid0(SALU_CYCLE_1)
	s_or_b32 exec_lo, exec_lo, s3
.LBB32_18:
	v_mbcnt_lo_u32_b32 v2, -1, 0
	s_mov_b32 s2, -1
	s_delay_alu instid0(VALU_DEP_1) | instskip(SKIP_1) | instid1(VALU_DEP_2)
	v_xor_b32_e32 v3, 8, v2
	v_xor_b32_e32 v5, 4, v2
	v_cmp_gt_i32_e32 vcc_lo, 32, v3
	v_cndmask_b32_e32 v3, v2, v3, vcc_lo
	s_delay_alu instid0(VALU_DEP_3) | instskip(NEXT) | instid1(VALU_DEP_2)
	v_cmp_gt_i32_e32 vcc_lo, 32, v5
	v_lshlrev_b32_e32 v3, 2, v3
	v_cndmask_b32_e32 v5, v2, v5, vcc_lo
	ds_bpermute_b32 v4, v3, v7
	s_waitcnt lgkmcnt(0)
	v_dual_add_f32 v4, v7, v4 :: v_dual_lshlrev_b32 v5, 2, v5
	v_xor_b32_e32 v7, 2, v2
	ds_bpermute_b32 v6, v5, v4
	v_cmp_gt_i32_e32 vcc_lo, 32, v7
	s_waitcnt lgkmcnt(0)
	v_add_f32_e32 v4, v4, v6
	ds_bpermute_b32 v3, v3, v8
	v_cndmask_b32_e32 v7, v2, v7, vcc_lo
	s_delay_alu instid0(VALU_DEP_1)
	v_lshlrev_b32_e32 v7, 2, v7
	s_waitcnt lgkmcnt(0)
	v_add_f32_e32 v3, v8, v3
	ds_bpermute_b32 v5, v5, v3
	s_waitcnt lgkmcnt(0)
	v_add_f32_e32 v3, v3, v5
	ds_bpermute_b32 v5, v7, v4
	ds_bpermute_b32 v6, v7, v3
	v_xor_b32_e32 v7, 1, v2
	s_delay_alu instid0(VALU_DEP_1) | instskip(SKIP_3) | instid1(VALU_DEP_2)
	v_cmp_gt_i32_e32 vcc_lo, 32, v7
	v_cndmask_b32_e32 v2, v2, v7, vcc_lo
	v_cmp_eq_u32_e32 vcc_lo, 15, v0
	s_waitcnt lgkmcnt(1)
	v_dual_add_f32 v2, v4, v5 :: v_dual_lshlrev_b32 v7, 2, v2
	s_waitcnt lgkmcnt(0)
	v_add_f32_e32 v3, v3, v6
	ds_bpermute_b32 v4, v7, v2
	ds_bpermute_b32 v5, v7, v3
	s_and_b32 exec_lo, exec_lo, vcc_lo
	s_cbranch_execz .LBB32_23
; %bb.19:
	s_load_b64 s[0:1], s[0:1], 0x38
	s_waitcnt lgkmcnt(0)
	v_dual_add_f32 v0, v2, v4 :: v_dual_add_f32 v3, v3, v5
	v_cmp_eq_f32_e64 s3, s12, 0
	s_delay_alu instid0(VALU_DEP_2) | instskip(SKIP_1) | instid1(VALU_DEP_3)
	v_dual_mul_f32 v2, s16, v0 :: v_dual_mul_f32 v3, s16, v3
	v_lshlrev_b32_e32 v0, 1, v1
	s_and_b32 vcc_lo, exec_lo, s3
	s_cbranch_vccz .LBB32_21
; %bb.20:
	s_delay_alu instid0(VALU_DEP_1) | instskip(SKIP_1) | instid1(VALU_DEP_1)
	v_ashrrev_i32_e32 v1, 31, v0
	s_mov_b32 s2, 0
	v_lshlrev_b64 v[4:5], 2, v[0:1]
	s_delay_alu instid0(VALU_DEP_1) | instskip(NEXT) | instid1(VALU_DEP_2)
	v_add_co_u32 v4, vcc_lo, s0, v4
	v_add_co_ci_u32_e32 v5, vcc_lo, s1, v5, vcc_lo
	global_store_b64 v[4:5], v[2:3], off
.LBB32_21:
	s_and_not1_b32 vcc_lo, exec_lo, s2
	s_cbranch_vccnz .LBB32_23
; %bb.22:
	v_ashrrev_i32_e32 v1, 31, v0
	s_delay_alu instid0(VALU_DEP_1) | instskip(NEXT) | instid1(VALU_DEP_1)
	v_lshlrev_b64 v[0:1], 2, v[0:1]
	v_add_co_u32 v0, vcc_lo, s0, v0
	s_delay_alu instid0(VALU_DEP_2)
	v_add_co_ci_u32_e32 v1, vcc_lo, s1, v1, vcc_lo
	global_load_b64 v[4:5], v[0:1], off
	s_waitcnt vmcnt(0)
	v_dual_fmac_f32 v2, s12, v4 :: v_dual_fmac_f32 v3, s12, v5
	global_store_b64 v[0:1], v[2:3], off
.LBB32_23:
	s_nop 0
	s_sendmsg sendmsg(MSG_DEALLOC_VGPRS)
	s_endpgm
	.section	.rodata,"a",@progbits
	.p2align	6, 0x0
	.amdhsa_kernel _ZN9rocsparseL19gebsrmvn_2xn_kernelILj128ELj8ELj16EfEEvi20rocsparse_direction_NS_24const_host_device_scalarIT2_EEPKiS6_PKS3_S8_S4_PS3_21rocsparse_index_base_b
		.amdhsa_group_segment_fixed_size 0
		.amdhsa_private_segment_fixed_size 0
		.amdhsa_kernarg_size 72
		.amdhsa_user_sgpr_count 15
		.amdhsa_user_sgpr_dispatch_ptr 0
		.amdhsa_user_sgpr_queue_ptr 0
		.amdhsa_user_sgpr_kernarg_segment_ptr 1
		.amdhsa_user_sgpr_dispatch_id 0
		.amdhsa_user_sgpr_private_segment_size 0
		.amdhsa_wavefront_size32 1
		.amdhsa_uses_dynamic_stack 0
		.amdhsa_enable_private_segment 0
		.amdhsa_system_sgpr_workgroup_id_x 1
		.amdhsa_system_sgpr_workgroup_id_y 0
		.amdhsa_system_sgpr_workgroup_id_z 0
		.amdhsa_system_sgpr_workgroup_info 0
		.amdhsa_system_vgpr_workitem_id 0
		.amdhsa_next_free_vgpr 34
		.amdhsa_next_free_sgpr 20
		.amdhsa_reserve_vcc 1
		.amdhsa_float_round_mode_32 0
		.amdhsa_float_round_mode_16_64 0
		.amdhsa_float_denorm_mode_32 3
		.amdhsa_float_denorm_mode_16_64 3
		.amdhsa_dx10_clamp 1
		.amdhsa_ieee_mode 1
		.amdhsa_fp16_overflow 0
		.amdhsa_workgroup_processor_mode 1
		.amdhsa_memory_ordered 1
		.amdhsa_forward_progress 0
		.amdhsa_shared_vgpr_count 0
		.amdhsa_exception_fp_ieee_invalid_op 0
		.amdhsa_exception_fp_denorm_src 0
		.amdhsa_exception_fp_ieee_div_zero 0
		.amdhsa_exception_fp_ieee_overflow 0
		.amdhsa_exception_fp_ieee_underflow 0
		.amdhsa_exception_fp_ieee_inexact 0
		.amdhsa_exception_int_div_zero 0
	.end_amdhsa_kernel
	.section	.text._ZN9rocsparseL19gebsrmvn_2xn_kernelILj128ELj8ELj16EfEEvi20rocsparse_direction_NS_24const_host_device_scalarIT2_EEPKiS6_PKS3_S8_S4_PS3_21rocsparse_index_base_b,"axG",@progbits,_ZN9rocsparseL19gebsrmvn_2xn_kernelILj128ELj8ELj16EfEEvi20rocsparse_direction_NS_24const_host_device_scalarIT2_EEPKiS6_PKS3_S8_S4_PS3_21rocsparse_index_base_b,comdat
.Lfunc_end32:
	.size	_ZN9rocsparseL19gebsrmvn_2xn_kernelILj128ELj8ELj16EfEEvi20rocsparse_direction_NS_24const_host_device_scalarIT2_EEPKiS6_PKS3_S8_S4_PS3_21rocsparse_index_base_b, .Lfunc_end32-_ZN9rocsparseL19gebsrmvn_2xn_kernelILj128ELj8ELj16EfEEvi20rocsparse_direction_NS_24const_host_device_scalarIT2_EEPKiS6_PKS3_S8_S4_PS3_21rocsparse_index_base_b
                                        ; -- End function
	.section	.AMDGPU.csdata,"",@progbits
; Kernel info:
; codeLenInByte = 1352
; NumSgprs: 22
; NumVgprs: 34
; ScratchSize: 0
; MemoryBound: 0
; FloatMode: 240
; IeeeMode: 1
; LDSByteSize: 0 bytes/workgroup (compile time only)
; SGPRBlocks: 2
; VGPRBlocks: 4
; NumSGPRsForWavesPerEU: 22
; NumVGPRsForWavesPerEU: 34
; Occupancy: 16
; WaveLimiterHint : 1
; COMPUTE_PGM_RSRC2:SCRATCH_EN: 0
; COMPUTE_PGM_RSRC2:USER_SGPR: 15
; COMPUTE_PGM_RSRC2:TRAP_HANDLER: 0
; COMPUTE_PGM_RSRC2:TGID_X_EN: 1
; COMPUTE_PGM_RSRC2:TGID_Y_EN: 0
; COMPUTE_PGM_RSRC2:TGID_Z_EN: 0
; COMPUTE_PGM_RSRC2:TIDIG_COMP_CNT: 0
	.section	.text._ZN9rocsparseL19gebsrmvn_2xn_kernelILj128ELj8ELj32EfEEvi20rocsparse_direction_NS_24const_host_device_scalarIT2_EEPKiS6_PKS3_S8_S4_PS3_21rocsparse_index_base_b,"axG",@progbits,_ZN9rocsparseL19gebsrmvn_2xn_kernelILj128ELj8ELj32EfEEvi20rocsparse_direction_NS_24const_host_device_scalarIT2_EEPKiS6_PKS3_S8_S4_PS3_21rocsparse_index_base_b,comdat
	.globl	_ZN9rocsparseL19gebsrmvn_2xn_kernelILj128ELj8ELj32EfEEvi20rocsparse_direction_NS_24const_host_device_scalarIT2_EEPKiS6_PKS3_S8_S4_PS3_21rocsparse_index_base_b ; -- Begin function _ZN9rocsparseL19gebsrmvn_2xn_kernelILj128ELj8ELj32EfEEvi20rocsparse_direction_NS_24const_host_device_scalarIT2_EEPKiS6_PKS3_S8_S4_PS3_21rocsparse_index_base_b
	.p2align	8
	.type	_ZN9rocsparseL19gebsrmvn_2xn_kernelILj128ELj8ELj32EfEEvi20rocsparse_direction_NS_24const_host_device_scalarIT2_EEPKiS6_PKS3_S8_S4_PS3_21rocsparse_index_base_b,@function
_ZN9rocsparseL19gebsrmvn_2xn_kernelILj128ELj8ELj32EfEEvi20rocsparse_direction_NS_24const_host_device_scalarIT2_EEPKiS6_PKS3_S8_S4_PS3_21rocsparse_index_base_b: ; @_ZN9rocsparseL19gebsrmvn_2xn_kernelILj128ELj8ELj32EfEEvi20rocsparse_direction_NS_24const_host_device_scalarIT2_EEPKiS6_PKS3_S8_S4_PS3_21rocsparse_index_base_b
; %bb.0:
	s_clause 0x2
	s_load_b64 s[18:19], s[0:1], 0x40
	s_load_b64 s[16:17], s[0:1], 0x8
	;; [unrolled: 1-line block ×3, first 2 shown]
	s_waitcnt lgkmcnt(0)
	s_bitcmp1_b32 s19, 0
	s_cselect_b32 s2, -1, 0
	s_delay_alu instid0(SALU_CYCLE_1)
	s_and_b32 vcc_lo, exec_lo, s2
	s_xor_b32 s2, s2, -1
	s_cbranch_vccnz .LBB33_2
; %bb.1:
	s_load_b32 s16, s[16:17], 0x0
.LBB33_2:
	s_and_not1_b32 vcc_lo, exec_lo, s2
	s_cbranch_vccnz .LBB33_4
; %bb.3:
	s_load_b32 s12, s[12:13], 0x0
.LBB33_4:
	s_waitcnt lgkmcnt(0)
	v_cmp_eq_f32_e64 s2, s16, 0
	v_cmp_eq_f32_e64 s3, s12, 1.0
	s_delay_alu instid0(VALU_DEP_1) | instskip(NEXT) | instid1(SALU_CYCLE_1)
	s_and_b32 s2, s2, s3
	s_and_b32 vcc_lo, exec_lo, s2
	s_cbranch_vccnz .LBB33_23
; %bb.5:
	s_load_b64 s[2:3], s[0:1], 0x0
	v_lshrrev_b32_e32 v1, 5, v0
	s_delay_alu instid0(VALU_DEP_1) | instskip(SKIP_1) | instid1(VALU_DEP_1)
	v_lshl_or_b32 v1, s15, 2, v1
	s_waitcnt lgkmcnt(0)
	v_cmp_gt_i32_e32 vcc_lo, s2, v1
	s_and_saveexec_b32 s2, vcc_lo
	s_cbranch_execz .LBB33_23
; %bb.6:
	s_load_b256 s[4:11], s[0:1], 0x10
	v_ashrrev_i32_e32 v2, 31, v1
	v_and_b32_e32 v0, 31, v0
	s_cmp_lg_u32 s3, 0
	s_delay_alu instid0(VALU_DEP_2) | instskip(SKIP_1) | instid1(VALU_DEP_1)
	v_lshlrev_b64 v[2:3], 2, v[1:2]
	s_waitcnt lgkmcnt(0)
	v_add_co_u32 v2, vcc_lo, s4, v2
	s_delay_alu instid0(VALU_DEP_2) | instskip(SKIP_4) | instid1(VALU_DEP_2)
	v_add_co_ci_u32_e32 v3, vcc_lo, s5, v3, vcc_lo
	global_load_b64 v[2:3], v[2:3], off
	s_waitcnt vmcnt(0)
	v_subrev_nc_u32_e32 v2, s18, v2
	v_subrev_nc_u32_e32 v9, s18, v3
	v_add_nc_u32_e32 v2, v2, v0
	s_delay_alu instid0(VALU_DEP_1)
	v_cmp_lt_i32_e64 s2, v2, v9
	s_cbranch_scc0 .LBB33_12
; %bb.7:
	v_dual_mov_b32 v7, 0 :: v_dual_mov_b32 v8, 0
	s_mov_b32 s3, 0
	s_delay_alu instid0(VALU_DEP_2)
	s_and_saveexec_b32 s4, s2
	s_cbranch_execz .LBB33_11
; %bb.8:
	v_dual_mov_b32 v4, 0 :: v_dual_lshlrev_b32 v3, 4, v2
	v_mov_b32_e32 v5, v2
	s_mov_b32 s5, 0
	s_delay_alu instid0(VALU_DEP_2)
	v_mov_b32_e32 v8, v4
	v_mov_b32_e32 v7, v4
.LBB33_9:                               ; =>This Inner Loop Header: Depth=1
	s_delay_alu instid0(VALU_DEP_3) | instskip(NEXT) | instid1(VALU_DEP_1)
	v_ashrrev_i32_e32 v6, 31, v5
	v_lshlrev_b64 v[10:11], 2, v[5:6]
	s_delay_alu instid0(VALU_DEP_1) | instskip(NEXT) | instid1(VALU_DEP_2)
	v_add_co_u32 v10, vcc_lo, s6, v10
	v_add_co_ci_u32_e32 v11, vcc_lo, s7, v11, vcc_lo
	global_load_b32 v6, v[10:11], off
	v_lshlrev_b64 v[10:11], 2, v[3:4]
	v_add_nc_u32_e32 v3, 0x200, v3
	s_delay_alu instid0(VALU_DEP_2) | instskip(NEXT) | instid1(VALU_DEP_3)
	v_add_co_u32 v30, vcc_lo, s8, v10
	v_add_co_ci_u32_e32 v31, vcc_lo, s9, v11, vcc_lo
	s_waitcnt vmcnt(0)
	v_subrev_nc_u32_e32 v6, s18, v6
	s_delay_alu instid0(VALU_DEP_1) | instskip(NEXT) | instid1(VALU_DEP_1)
	v_dual_mov_b32 v13, v4 :: v_dual_lshlrev_b32 v12, 3, v6
	v_lshlrev_b64 v[12:13], 2, v[12:13]
	s_delay_alu instid0(VALU_DEP_1) | instskip(NEXT) | instid1(VALU_DEP_2)
	v_add_co_u32 v22, vcc_lo, s10, v12
	v_add_co_ci_u32_e32 v23, vcc_lo, s11, v13, vcc_lo
	s_clause 0x1
	global_load_b128 v[10:13], v[30:31], off offset:16
	global_load_b128 v[14:17], v[30:31], off
	s_clause 0x1
	global_load_b128 v[18:21], v[22:23], off
	global_load_b128 v[22:25], v[22:23], off offset:16
	s_clause 0x1
	global_load_b128 v[26:29], v[30:31], off offset:32
	global_load_b128 v[30:33], v[30:31], off offset:48
	s_waitcnt vmcnt(3)
	v_fmac_f32_e32 v8, v15, v18
	s_delay_alu instid0(VALU_DEP_1) | instskip(NEXT) | instid1(VALU_DEP_1)
	v_dual_fmac_f32 v7, v14, v18 :: v_dual_fmac_f32 v8, v17, v19
	v_dual_fmac_f32 v7, v16, v19 :: v_dual_fmac_f32 v8, v11, v20
	s_delay_alu instid0(VALU_DEP_1) | instskip(SKIP_1) | instid1(VALU_DEP_1)
	v_dual_fmac_f32 v7, v10, v20 :: v_dual_fmac_f32 v8, v13, v21
	s_waitcnt vmcnt(1)
	v_dual_fmac_f32 v7, v12, v21 :: v_dual_fmac_f32 v8, v27, v22
	s_delay_alu instid0(VALU_DEP_1) | instskip(NEXT) | instid1(VALU_DEP_1)
	v_dual_fmac_f32 v7, v26, v22 :: v_dual_fmac_f32 v8, v29, v23
	v_fmac_f32_e32 v7, v28, v23
	s_waitcnt vmcnt(0)
	s_delay_alu instid0(VALU_DEP_2) | instskip(NEXT) | instid1(VALU_DEP_2)
	v_dual_fmac_f32 v8, v31, v24 :: v_dual_add_nc_u32 v5, 32, v5
	v_fmac_f32_e32 v7, v30, v24
	s_delay_alu instid0(VALU_DEP_2) | instskip(NEXT) | instid1(VALU_DEP_3)
	v_cmp_ge_i32_e32 vcc_lo, v5, v9
	v_fmac_f32_e32 v8, v33, v25
	s_delay_alu instid0(VALU_DEP_3) | instskip(SKIP_1) | instid1(SALU_CYCLE_1)
	v_fmac_f32_e32 v7, v32, v25
	s_or_b32 s5, vcc_lo, s5
	s_and_not1_b32 exec_lo, exec_lo, s5
	s_cbranch_execnz .LBB33_9
; %bb.10:
	s_or_b32 exec_lo, exec_lo, s5
.LBB33_11:
	s_delay_alu instid0(SALU_CYCLE_1) | instskip(NEXT) | instid1(SALU_CYCLE_1)
	s_or_b32 exec_lo, exec_lo, s4
	s_and_not1_b32 vcc_lo, exec_lo, s3
	s_cbranch_vccz .LBB33_13
	s_branch .LBB33_18
.LBB33_12:
                                        ; implicit-def: $vgpr7
                                        ; implicit-def: $vgpr8
.LBB33_13:
	v_dual_mov_b32 v7, 0 :: v_dual_mov_b32 v8, 0
	s_delay_alu instid0(VALU_DEP_2)
	s_and_saveexec_b32 s3, s2
	s_cbranch_execz .LBB33_17
; %bb.14:
	v_dual_mov_b32 v5, 0 :: v_dual_lshlrev_b32 v4, 4, v2
	s_mov_b32 s2, 0
	s_delay_alu instid0(VALU_DEP_1)
	v_mov_b32_e32 v7, v5
	v_mov_b32_e32 v8, v5
.LBB33_15:                              ; =>This Inner Loop Header: Depth=1
	v_ashrrev_i32_e32 v3, 31, v2
	s_delay_alu instid0(VALU_DEP_1) | instskip(NEXT) | instid1(VALU_DEP_1)
	v_lshlrev_b64 v[10:11], 2, v[2:3]
	v_add_co_u32 v10, vcc_lo, s6, v10
	s_delay_alu instid0(VALU_DEP_2) | instskip(SKIP_3) | instid1(VALU_DEP_2)
	v_add_co_ci_u32_e32 v11, vcc_lo, s7, v11, vcc_lo
	global_load_b32 v3, v[10:11], off
	v_lshlrev_b64 v[10:11], 2, v[4:5]
	v_add_nc_u32_e32 v4, 0x200, v4
	v_add_co_u32 v22, vcc_lo, s8, v10
	s_delay_alu instid0(VALU_DEP_3) | instskip(SKIP_2) | instid1(VALU_DEP_1)
	v_add_co_ci_u32_e32 v23, vcc_lo, s9, v11, vcc_lo
	s_waitcnt vmcnt(0)
	v_subrev_nc_u32_e32 v3, s18, v3
	v_dual_mov_b32 v13, v5 :: v_dual_lshlrev_b32 v12, 3, v3
	s_delay_alu instid0(VALU_DEP_1)
	v_lshlrev_b64 v[14:15], 2, v[12:13]
	global_load_b128 v[10:13], v[22:23], off offset:48
	v_add_co_u32 v30, vcc_lo, s10, v14
	v_add_co_ci_u32_e32 v31, vcc_lo, s11, v15, vcc_lo
	s_clause 0x2
	global_load_b128 v[14:17], v[22:23], off offset:32
	global_load_b128 v[18:21], v[22:23], off offset:16
	global_load_b128 v[22:25], v[22:23], off
	s_clause 0x1
	global_load_b128 v[26:29], v[30:31], off
	global_load_b128 v[30:33], v[30:31], off offset:16
	s_waitcnt vmcnt(1)
	v_fmac_f32_e32 v8, v14, v26
	s_delay_alu instid0(VALU_DEP_1) | instskip(NEXT) | instid1(VALU_DEP_1)
	v_dual_fmac_f32 v7, v22, v26 :: v_dual_fmac_f32 v8, v15, v27
	v_dual_fmac_f32 v7, v23, v27 :: v_dual_fmac_f32 v8, v16, v28
	s_delay_alu instid0(VALU_DEP_1) | instskip(SKIP_1) | instid1(VALU_DEP_1)
	v_dual_fmac_f32 v7, v24, v28 :: v_dual_fmac_f32 v8, v17, v29
	s_waitcnt vmcnt(0)
	v_dual_fmac_f32 v7, v25, v29 :: v_dual_fmac_f32 v8, v10, v30
	s_delay_alu instid0(VALU_DEP_1) | instskip(NEXT) | instid1(VALU_DEP_1)
	v_dual_fmac_f32 v7, v18, v30 :: v_dual_fmac_f32 v8, v11, v31
	v_dual_fmac_f32 v7, v19, v31 :: v_dual_add_nc_u32 v2, 32, v2
	s_delay_alu instid0(VALU_DEP_1) | instskip(NEXT) | instid1(VALU_DEP_3)
	v_fmac_f32_e32 v7, v20, v32
	v_fmac_f32_e32 v8, v12, v32
	s_delay_alu instid0(VALU_DEP_3) | instskip(NEXT) | instid1(VALU_DEP_3)
	v_cmp_ge_i32_e32 vcc_lo, v2, v9
	v_fmac_f32_e32 v7, v21, v33
	s_delay_alu instid0(VALU_DEP_3) | instskip(SKIP_1) | instid1(SALU_CYCLE_1)
	v_fmac_f32_e32 v8, v13, v33
	s_or_b32 s2, vcc_lo, s2
	s_and_not1_b32 exec_lo, exec_lo, s2
	s_cbranch_execnz .LBB33_15
; %bb.16:
	s_or_b32 exec_lo, exec_lo, s2
.LBB33_17:
	s_delay_alu instid0(SALU_CYCLE_1)
	s_or_b32 exec_lo, exec_lo, s3
.LBB33_18:
	v_mbcnt_lo_u32_b32 v2, -1, 0
	s_mov_b32 s2, -1
	s_delay_alu instid0(VALU_DEP_1) | instskip(SKIP_1) | instid1(VALU_DEP_2)
	v_xor_b32_e32 v3, 16, v2
	v_xor_b32_e32 v5, 8, v2
	v_cmp_gt_i32_e32 vcc_lo, 32, v3
	v_cndmask_b32_e32 v3, v2, v3, vcc_lo
	s_delay_alu instid0(VALU_DEP_3) | instskip(NEXT) | instid1(VALU_DEP_2)
	v_cmp_gt_i32_e32 vcc_lo, 32, v5
	v_lshlrev_b32_e32 v3, 2, v3
	v_cndmask_b32_e32 v5, v2, v5, vcc_lo
	ds_bpermute_b32 v4, v3, v7
	s_waitcnt lgkmcnt(0)
	v_dual_add_f32 v4, v7, v4 :: v_dual_lshlrev_b32 v5, 2, v5
	v_xor_b32_e32 v7, 4, v2
	ds_bpermute_b32 v6, v5, v4
	v_cmp_gt_i32_e32 vcc_lo, 32, v7
	s_waitcnt lgkmcnt(0)
	v_add_f32_e32 v4, v4, v6
	ds_bpermute_b32 v3, v3, v8
	v_cndmask_b32_e32 v7, v2, v7, vcc_lo
	s_delay_alu instid0(VALU_DEP_1)
	v_lshlrev_b32_e32 v7, 2, v7
	s_waitcnt lgkmcnt(0)
	v_add_f32_e32 v3, v8, v3
	ds_bpermute_b32 v5, v5, v3
	s_waitcnt lgkmcnt(0)
	v_add_f32_e32 v3, v3, v5
	ds_bpermute_b32 v5, v7, v4
	ds_bpermute_b32 v6, v7, v3
	v_xor_b32_e32 v7, 2, v2
	s_delay_alu instid0(VALU_DEP_1) | instskip(SKIP_2) | instid1(VALU_DEP_1)
	v_cmp_gt_i32_e32 vcc_lo, 32, v7
	v_cndmask_b32_e32 v7, v2, v7, vcc_lo
	s_waitcnt lgkmcnt(1)
	v_dual_add_f32 v4, v4, v5 :: v_dual_lshlrev_b32 v7, 2, v7
	s_waitcnt lgkmcnt(0)
	v_add_f32_e32 v3, v3, v6
	ds_bpermute_b32 v5, v7, v4
	ds_bpermute_b32 v6, v7, v3
	v_xor_b32_e32 v7, 1, v2
	s_delay_alu instid0(VALU_DEP_1) | instskip(SKIP_3) | instid1(VALU_DEP_2)
	v_cmp_gt_i32_e32 vcc_lo, 32, v7
	v_cndmask_b32_e32 v2, v2, v7, vcc_lo
	v_cmp_eq_u32_e32 vcc_lo, 31, v0
	s_waitcnt lgkmcnt(1)
	v_dual_add_f32 v2, v4, v5 :: v_dual_lshlrev_b32 v7, 2, v2
	s_waitcnt lgkmcnt(0)
	v_add_f32_e32 v3, v3, v6
	ds_bpermute_b32 v4, v7, v2
	ds_bpermute_b32 v5, v7, v3
	s_and_b32 exec_lo, exec_lo, vcc_lo
	s_cbranch_execz .LBB33_23
; %bb.19:
	s_load_b64 s[0:1], s[0:1], 0x38
	s_waitcnt lgkmcnt(0)
	v_dual_add_f32 v0, v2, v4 :: v_dual_add_f32 v3, v3, v5
	v_cmp_eq_f32_e64 s3, s12, 0
	s_delay_alu instid0(VALU_DEP_2) | instskip(SKIP_1) | instid1(VALU_DEP_3)
	v_dual_mul_f32 v2, s16, v0 :: v_dual_mul_f32 v3, s16, v3
	v_lshlrev_b32_e32 v0, 1, v1
	s_and_b32 vcc_lo, exec_lo, s3
	s_cbranch_vccz .LBB33_21
; %bb.20:
	s_delay_alu instid0(VALU_DEP_1) | instskip(SKIP_1) | instid1(VALU_DEP_1)
	v_ashrrev_i32_e32 v1, 31, v0
	s_mov_b32 s2, 0
	v_lshlrev_b64 v[4:5], 2, v[0:1]
	s_delay_alu instid0(VALU_DEP_1) | instskip(NEXT) | instid1(VALU_DEP_2)
	v_add_co_u32 v4, vcc_lo, s0, v4
	v_add_co_ci_u32_e32 v5, vcc_lo, s1, v5, vcc_lo
	global_store_b64 v[4:5], v[2:3], off
.LBB33_21:
	s_and_not1_b32 vcc_lo, exec_lo, s2
	s_cbranch_vccnz .LBB33_23
; %bb.22:
	v_ashrrev_i32_e32 v1, 31, v0
	s_delay_alu instid0(VALU_DEP_1) | instskip(NEXT) | instid1(VALU_DEP_1)
	v_lshlrev_b64 v[0:1], 2, v[0:1]
	v_add_co_u32 v0, vcc_lo, s0, v0
	s_delay_alu instid0(VALU_DEP_2)
	v_add_co_ci_u32_e32 v1, vcc_lo, s1, v1, vcc_lo
	global_load_b64 v[4:5], v[0:1], off
	s_waitcnt vmcnt(0)
	v_dual_fmac_f32 v2, s12, v4 :: v_dual_fmac_f32 v3, s12, v5
	global_store_b64 v[0:1], v[2:3], off
.LBB33_23:
	s_nop 0
	s_sendmsg sendmsg(MSG_DEALLOC_VGPRS)
	s_endpgm
	.section	.rodata,"a",@progbits
	.p2align	6, 0x0
	.amdhsa_kernel _ZN9rocsparseL19gebsrmvn_2xn_kernelILj128ELj8ELj32EfEEvi20rocsparse_direction_NS_24const_host_device_scalarIT2_EEPKiS6_PKS3_S8_S4_PS3_21rocsparse_index_base_b
		.amdhsa_group_segment_fixed_size 0
		.amdhsa_private_segment_fixed_size 0
		.amdhsa_kernarg_size 72
		.amdhsa_user_sgpr_count 15
		.amdhsa_user_sgpr_dispatch_ptr 0
		.amdhsa_user_sgpr_queue_ptr 0
		.amdhsa_user_sgpr_kernarg_segment_ptr 1
		.amdhsa_user_sgpr_dispatch_id 0
		.amdhsa_user_sgpr_private_segment_size 0
		.amdhsa_wavefront_size32 1
		.amdhsa_uses_dynamic_stack 0
		.amdhsa_enable_private_segment 0
		.amdhsa_system_sgpr_workgroup_id_x 1
		.amdhsa_system_sgpr_workgroup_id_y 0
		.amdhsa_system_sgpr_workgroup_id_z 0
		.amdhsa_system_sgpr_workgroup_info 0
		.amdhsa_system_vgpr_workitem_id 0
		.amdhsa_next_free_vgpr 34
		.amdhsa_next_free_sgpr 20
		.amdhsa_reserve_vcc 1
		.amdhsa_float_round_mode_32 0
		.amdhsa_float_round_mode_16_64 0
		.amdhsa_float_denorm_mode_32 3
		.amdhsa_float_denorm_mode_16_64 3
		.amdhsa_dx10_clamp 1
		.amdhsa_ieee_mode 1
		.amdhsa_fp16_overflow 0
		.amdhsa_workgroup_processor_mode 1
		.amdhsa_memory_ordered 1
		.amdhsa_forward_progress 0
		.amdhsa_shared_vgpr_count 0
		.amdhsa_exception_fp_ieee_invalid_op 0
		.amdhsa_exception_fp_denorm_src 0
		.amdhsa_exception_fp_ieee_div_zero 0
		.amdhsa_exception_fp_ieee_overflow 0
		.amdhsa_exception_fp_ieee_underflow 0
		.amdhsa_exception_fp_ieee_inexact 0
		.amdhsa_exception_int_div_zero 0
	.end_amdhsa_kernel
	.section	.text._ZN9rocsparseL19gebsrmvn_2xn_kernelILj128ELj8ELj32EfEEvi20rocsparse_direction_NS_24const_host_device_scalarIT2_EEPKiS6_PKS3_S8_S4_PS3_21rocsparse_index_base_b,"axG",@progbits,_ZN9rocsparseL19gebsrmvn_2xn_kernelILj128ELj8ELj32EfEEvi20rocsparse_direction_NS_24const_host_device_scalarIT2_EEPKiS6_PKS3_S8_S4_PS3_21rocsparse_index_base_b,comdat
.Lfunc_end33:
	.size	_ZN9rocsparseL19gebsrmvn_2xn_kernelILj128ELj8ELj32EfEEvi20rocsparse_direction_NS_24const_host_device_scalarIT2_EEPKiS6_PKS3_S8_S4_PS3_21rocsparse_index_base_b, .Lfunc_end33-_ZN9rocsparseL19gebsrmvn_2xn_kernelILj128ELj8ELj32EfEEvi20rocsparse_direction_NS_24const_host_device_scalarIT2_EEPKiS6_PKS3_S8_S4_PS3_21rocsparse_index_base_b
                                        ; -- End function
	.section	.AMDGPU.csdata,"",@progbits
; Kernel info:
; codeLenInByte = 1404
; NumSgprs: 22
; NumVgprs: 34
; ScratchSize: 0
; MemoryBound: 0
; FloatMode: 240
; IeeeMode: 1
; LDSByteSize: 0 bytes/workgroup (compile time only)
; SGPRBlocks: 2
; VGPRBlocks: 4
; NumSGPRsForWavesPerEU: 22
; NumVGPRsForWavesPerEU: 34
; Occupancy: 16
; WaveLimiterHint : 1
; COMPUTE_PGM_RSRC2:SCRATCH_EN: 0
; COMPUTE_PGM_RSRC2:USER_SGPR: 15
; COMPUTE_PGM_RSRC2:TRAP_HANDLER: 0
; COMPUTE_PGM_RSRC2:TGID_X_EN: 1
; COMPUTE_PGM_RSRC2:TGID_Y_EN: 0
; COMPUTE_PGM_RSRC2:TGID_Z_EN: 0
; COMPUTE_PGM_RSRC2:TIDIG_COMP_CNT: 0
	.section	.text._ZN9rocsparseL19gebsrmvn_2xn_kernelILj128ELj8ELj64EfEEvi20rocsparse_direction_NS_24const_host_device_scalarIT2_EEPKiS6_PKS3_S8_S4_PS3_21rocsparse_index_base_b,"axG",@progbits,_ZN9rocsparseL19gebsrmvn_2xn_kernelILj128ELj8ELj64EfEEvi20rocsparse_direction_NS_24const_host_device_scalarIT2_EEPKiS6_PKS3_S8_S4_PS3_21rocsparse_index_base_b,comdat
	.globl	_ZN9rocsparseL19gebsrmvn_2xn_kernelILj128ELj8ELj64EfEEvi20rocsparse_direction_NS_24const_host_device_scalarIT2_EEPKiS6_PKS3_S8_S4_PS3_21rocsparse_index_base_b ; -- Begin function _ZN9rocsparseL19gebsrmvn_2xn_kernelILj128ELj8ELj64EfEEvi20rocsparse_direction_NS_24const_host_device_scalarIT2_EEPKiS6_PKS3_S8_S4_PS3_21rocsparse_index_base_b
	.p2align	8
	.type	_ZN9rocsparseL19gebsrmvn_2xn_kernelILj128ELj8ELj64EfEEvi20rocsparse_direction_NS_24const_host_device_scalarIT2_EEPKiS6_PKS3_S8_S4_PS3_21rocsparse_index_base_b,@function
_ZN9rocsparseL19gebsrmvn_2xn_kernelILj128ELj8ELj64EfEEvi20rocsparse_direction_NS_24const_host_device_scalarIT2_EEPKiS6_PKS3_S8_S4_PS3_21rocsparse_index_base_b: ; @_ZN9rocsparseL19gebsrmvn_2xn_kernelILj128ELj8ELj64EfEEvi20rocsparse_direction_NS_24const_host_device_scalarIT2_EEPKiS6_PKS3_S8_S4_PS3_21rocsparse_index_base_b
; %bb.0:
	s_clause 0x2
	s_load_b64 s[18:19], s[0:1], 0x40
	s_load_b64 s[16:17], s[0:1], 0x8
	;; [unrolled: 1-line block ×3, first 2 shown]
	s_waitcnt lgkmcnt(0)
	s_bitcmp1_b32 s19, 0
	s_cselect_b32 s2, -1, 0
	s_delay_alu instid0(SALU_CYCLE_1)
	s_and_b32 vcc_lo, exec_lo, s2
	s_xor_b32 s2, s2, -1
	s_cbranch_vccnz .LBB34_2
; %bb.1:
	s_load_b32 s16, s[16:17], 0x0
.LBB34_2:
	s_and_not1_b32 vcc_lo, exec_lo, s2
	s_cbranch_vccnz .LBB34_4
; %bb.3:
	s_load_b32 s12, s[12:13], 0x0
.LBB34_4:
	s_waitcnt lgkmcnt(0)
	v_cmp_eq_f32_e64 s2, s16, 0
	v_cmp_eq_f32_e64 s3, s12, 1.0
	s_delay_alu instid0(VALU_DEP_1) | instskip(NEXT) | instid1(SALU_CYCLE_1)
	s_and_b32 s2, s2, s3
	s_and_b32 vcc_lo, exec_lo, s2
	s_cbranch_vccnz .LBB34_23
; %bb.5:
	s_load_b64 s[2:3], s[0:1], 0x0
	v_lshrrev_b32_e32 v1, 6, v0
	s_delay_alu instid0(VALU_DEP_1) | instskip(SKIP_1) | instid1(VALU_DEP_1)
	v_lshl_or_b32 v1, s15, 1, v1
	s_waitcnt lgkmcnt(0)
	v_cmp_gt_i32_e32 vcc_lo, s2, v1
	s_and_saveexec_b32 s2, vcc_lo
	s_cbranch_execz .LBB34_23
; %bb.6:
	s_load_b256 s[4:11], s[0:1], 0x10
	v_ashrrev_i32_e32 v2, 31, v1
	v_and_b32_e32 v0, 63, v0
	s_cmp_lg_u32 s3, 0
	s_delay_alu instid0(VALU_DEP_2) | instskip(SKIP_1) | instid1(VALU_DEP_1)
	v_lshlrev_b64 v[2:3], 2, v[1:2]
	s_waitcnt lgkmcnt(0)
	v_add_co_u32 v2, vcc_lo, s4, v2
	s_delay_alu instid0(VALU_DEP_2) | instskip(SKIP_4) | instid1(VALU_DEP_2)
	v_add_co_ci_u32_e32 v3, vcc_lo, s5, v3, vcc_lo
	global_load_b64 v[2:3], v[2:3], off
	s_waitcnt vmcnt(0)
	v_subrev_nc_u32_e32 v2, s18, v2
	v_subrev_nc_u32_e32 v9, s18, v3
	v_add_nc_u32_e32 v2, v2, v0
	s_delay_alu instid0(VALU_DEP_1)
	v_cmp_lt_i32_e64 s2, v2, v9
	s_cbranch_scc0 .LBB34_12
; %bb.7:
	v_dual_mov_b32 v7, 0 :: v_dual_mov_b32 v8, 0
	s_mov_b32 s3, 0
	s_delay_alu instid0(VALU_DEP_2)
	s_and_saveexec_b32 s4, s2
	s_cbranch_execz .LBB34_11
; %bb.8:
	v_dual_mov_b32 v4, 0 :: v_dual_lshlrev_b32 v3, 4, v2
	v_mov_b32_e32 v5, v2
	s_mov_b32 s5, 0
	s_delay_alu instid0(VALU_DEP_2)
	v_mov_b32_e32 v8, v4
	v_mov_b32_e32 v7, v4
.LBB34_9:                               ; =>This Inner Loop Header: Depth=1
	s_delay_alu instid0(VALU_DEP_3) | instskip(NEXT) | instid1(VALU_DEP_1)
	v_ashrrev_i32_e32 v6, 31, v5
	v_lshlrev_b64 v[10:11], 2, v[5:6]
	s_delay_alu instid0(VALU_DEP_1) | instskip(NEXT) | instid1(VALU_DEP_2)
	v_add_co_u32 v10, vcc_lo, s6, v10
	v_add_co_ci_u32_e32 v11, vcc_lo, s7, v11, vcc_lo
	global_load_b32 v6, v[10:11], off
	v_lshlrev_b64 v[10:11], 2, v[3:4]
	v_add_nc_u32_e32 v3, 0x400, v3
	s_delay_alu instid0(VALU_DEP_2) | instskip(NEXT) | instid1(VALU_DEP_3)
	v_add_co_u32 v30, vcc_lo, s8, v10
	v_add_co_ci_u32_e32 v31, vcc_lo, s9, v11, vcc_lo
	s_waitcnt vmcnt(0)
	v_subrev_nc_u32_e32 v6, s18, v6
	s_delay_alu instid0(VALU_DEP_1) | instskip(NEXT) | instid1(VALU_DEP_1)
	v_dual_mov_b32 v13, v4 :: v_dual_lshlrev_b32 v12, 3, v6
	v_lshlrev_b64 v[12:13], 2, v[12:13]
	s_delay_alu instid0(VALU_DEP_1) | instskip(NEXT) | instid1(VALU_DEP_2)
	v_add_co_u32 v22, vcc_lo, s10, v12
	v_add_co_ci_u32_e32 v23, vcc_lo, s11, v13, vcc_lo
	s_clause 0x1
	global_load_b128 v[10:13], v[30:31], off offset:16
	global_load_b128 v[14:17], v[30:31], off
	s_clause 0x1
	global_load_b128 v[18:21], v[22:23], off
	global_load_b128 v[22:25], v[22:23], off offset:16
	s_clause 0x1
	global_load_b128 v[26:29], v[30:31], off offset:32
	global_load_b128 v[30:33], v[30:31], off offset:48
	s_waitcnt vmcnt(3)
	v_fmac_f32_e32 v8, v15, v18
	s_delay_alu instid0(VALU_DEP_1) | instskip(NEXT) | instid1(VALU_DEP_1)
	v_dual_fmac_f32 v7, v14, v18 :: v_dual_fmac_f32 v8, v17, v19
	v_dual_fmac_f32 v7, v16, v19 :: v_dual_fmac_f32 v8, v11, v20
	s_delay_alu instid0(VALU_DEP_1) | instskip(SKIP_1) | instid1(VALU_DEP_1)
	v_dual_fmac_f32 v7, v10, v20 :: v_dual_fmac_f32 v8, v13, v21
	s_waitcnt vmcnt(1)
	v_dual_fmac_f32 v7, v12, v21 :: v_dual_fmac_f32 v8, v27, v22
	s_delay_alu instid0(VALU_DEP_1) | instskip(NEXT) | instid1(VALU_DEP_1)
	v_dual_fmac_f32 v7, v26, v22 :: v_dual_fmac_f32 v8, v29, v23
	v_fmac_f32_e32 v7, v28, v23
	s_waitcnt vmcnt(0)
	s_delay_alu instid0(VALU_DEP_2) | instskip(NEXT) | instid1(VALU_DEP_2)
	v_dual_fmac_f32 v8, v31, v24 :: v_dual_add_nc_u32 v5, 64, v5
	v_fmac_f32_e32 v7, v30, v24
	s_delay_alu instid0(VALU_DEP_2) | instskip(NEXT) | instid1(VALU_DEP_3)
	v_cmp_ge_i32_e32 vcc_lo, v5, v9
	v_fmac_f32_e32 v8, v33, v25
	s_delay_alu instid0(VALU_DEP_3) | instskip(SKIP_1) | instid1(SALU_CYCLE_1)
	v_fmac_f32_e32 v7, v32, v25
	s_or_b32 s5, vcc_lo, s5
	s_and_not1_b32 exec_lo, exec_lo, s5
	s_cbranch_execnz .LBB34_9
; %bb.10:
	s_or_b32 exec_lo, exec_lo, s5
.LBB34_11:
	s_delay_alu instid0(SALU_CYCLE_1) | instskip(NEXT) | instid1(SALU_CYCLE_1)
	s_or_b32 exec_lo, exec_lo, s4
	s_and_not1_b32 vcc_lo, exec_lo, s3
	s_cbranch_vccz .LBB34_13
	s_branch .LBB34_18
.LBB34_12:
                                        ; implicit-def: $vgpr7
                                        ; implicit-def: $vgpr8
.LBB34_13:
	v_dual_mov_b32 v7, 0 :: v_dual_mov_b32 v8, 0
	s_delay_alu instid0(VALU_DEP_2)
	s_and_saveexec_b32 s3, s2
	s_cbranch_execz .LBB34_17
; %bb.14:
	v_dual_mov_b32 v5, 0 :: v_dual_lshlrev_b32 v4, 4, v2
	s_mov_b32 s2, 0
	s_delay_alu instid0(VALU_DEP_1)
	v_mov_b32_e32 v7, v5
	v_mov_b32_e32 v8, v5
.LBB34_15:                              ; =>This Inner Loop Header: Depth=1
	v_ashrrev_i32_e32 v3, 31, v2
	s_delay_alu instid0(VALU_DEP_1) | instskip(NEXT) | instid1(VALU_DEP_1)
	v_lshlrev_b64 v[10:11], 2, v[2:3]
	v_add_co_u32 v10, vcc_lo, s6, v10
	s_delay_alu instid0(VALU_DEP_2) | instskip(SKIP_3) | instid1(VALU_DEP_2)
	v_add_co_ci_u32_e32 v11, vcc_lo, s7, v11, vcc_lo
	global_load_b32 v3, v[10:11], off
	v_lshlrev_b64 v[10:11], 2, v[4:5]
	v_add_nc_u32_e32 v4, 0x400, v4
	v_add_co_u32 v22, vcc_lo, s8, v10
	s_delay_alu instid0(VALU_DEP_3) | instskip(SKIP_2) | instid1(VALU_DEP_1)
	v_add_co_ci_u32_e32 v23, vcc_lo, s9, v11, vcc_lo
	s_waitcnt vmcnt(0)
	v_subrev_nc_u32_e32 v3, s18, v3
	v_dual_mov_b32 v13, v5 :: v_dual_lshlrev_b32 v12, 3, v3
	s_delay_alu instid0(VALU_DEP_1)
	v_lshlrev_b64 v[14:15], 2, v[12:13]
	global_load_b128 v[10:13], v[22:23], off offset:48
	v_add_co_u32 v30, vcc_lo, s10, v14
	v_add_co_ci_u32_e32 v31, vcc_lo, s11, v15, vcc_lo
	s_clause 0x2
	global_load_b128 v[14:17], v[22:23], off offset:32
	global_load_b128 v[18:21], v[22:23], off offset:16
	global_load_b128 v[22:25], v[22:23], off
	s_clause 0x1
	global_load_b128 v[26:29], v[30:31], off
	global_load_b128 v[30:33], v[30:31], off offset:16
	s_waitcnt vmcnt(1)
	v_fmac_f32_e32 v8, v14, v26
	s_delay_alu instid0(VALU_DEP_1) | instskip(NEXT) | instid1(VALU_DEP_1)
	v_dual_fmac_f32 v7, v22, v26 :: v_dual_fmac_f32 v8, v15, v27
	v_dual_fmac_f32 v7, v23, v27 :: v_dual_fmac_f32 v8, v16, v28
	s_delay_alu instid0(VALU_DEP_1) | instskip(SKIP_1) | instid1(VALU_DEP_1)
	v_dual_fmac_f32 v7, v24, v28 :: v_dual_fmac_f32 v8, v17, v29
	s_waitcnt vmcnt(0)
	v_dual_fmac_f32 v7, v25, v29 :: v_dual_fmac_f32 v8, v10, v30
	s_delay_alu instid0(VALU_DEP_1) | instskip(NEXT) | instid1(VALU_DEP_1)
	v_dual_fmac_f32 v7, v18, v30 :: v_dual_fmac_f32 v8, v11, v31
	v_dual_fmac_f32 v7, v19, v31 :: v_dual_add_nc_u32 v2, 64, v2
	s_delay_alu instid0(VALU_DEP_1) | instskip(NEXT) | instid1(VALU_DEP_3)
	v_fmac_f32_e32 v7, v20, v32
	v_fmac_f32_e32 v8, v12, v32
	s_delay_alu instid0(VALU_DEP_3) | instskip(NEXT) | instid1(VALU_DEP_3)
	v_cmp_ge_i32_e32 vcc_lo, v2, v9
	v_fmac_f32_e32 v7, v21, v33
	s_delay_alu instid0(VALU_DEP_3) | instskip(SKIP_1) | instid1(SALU_CYCLE_1)
	v_fmac_f32_e32 v8, v13, v33
	s_or_b32 s2, vcc_lo, s2
	s_and_not1_b32 exec_lo, exec_lo, s2
	s_cbranch_execnz .LBB34_15
; %bb.16:
	s_or_b32 exec_lo, exec_lo, s2
.LBB34_17:
	s_delay_alu instid0(SALU_CYCLE_1)
	s_or_b32 exec_lo, exec_lo, s3
.LBB34_18:
	v_mbcnt_lo_u32_b32 v2, -1, 0
	s_mov_b32 s2, -1
	s_delay_alu instid0(VALU_DEP_1) | instskip(SKIP_1) | instid1(VALU_DEP_2)
	v_or_b32_e32 v3, 32, v2
	v_xor_b32_e32 v5, 16, v2
	v_cmp_gt_i32_e32 vcc_lo, 32, v3
	v_cndmask_b32_e32 v3, v2, v3, vcc_lo
	s_delay_alu instid0(VALU_DEP_3) | instskip(NEXT) | instid1(VALU_DEP_2)
	v_cmp_gt_i32_e32 vcc_lo, 32, v5
	v_lshlrev_b32_e32 v3, 2, v3
	v_cndmask_b32_e32 v5, v2, v5, vcc_lo
	ds_bpermute_b32 v4, v3, v7
	s_waitcnt lgkmcnt(0)
	v_dual_add_f32 v4, v7, v4 :: v_dual_lshlrev_b32 v5, 2, v5
	v_xor_b32_e32 v7, 8, v2
	ds_bpermute_b32 v6, v5, v4
	v_cmp_gt_i32_e32 vcc_lo, 32, v7
	s_waitcnt lgkmcnt(0)
	v_add_f32_e32 v4, v4, v6
	ds_bpermute_b32 v3, v3, v8
	v_cndmask_b32_e32 v7, v2, v7, vcc_lo
	s_delay_alu instid0(VALU_DEP_1)
	v_lshlrev_b32_e32 v7, 2, v7
	s_waitcnt lgkmcnt(0)
	v_add_f32_e32 v3, v8, v3
	ds_bpermute_b32 v5, v5, v3
	s_waitcnt lgkmcnt(0)
	v_add_f32_e32 v3, v3, v5
	ds_bpermute_b32 v5, v7, v4
	ds_bpermute_b32 v6, v7, v3
	v_xor_b32_e32 v7, 4, v2
	s_delay_alu instid0(VALU_DEP_1) | instskip(SKIP_2) | instid1(VALU_DEP_1)
	v_cmp_gt_i32_e32 vcc_lo, 32, v7
	v_cndmask_b32_e32 v7, v2, v7, vcc_lo
	s_waitcnt lgkmcnt(1)
	v_dual_add_f32 v4, v4, v5 :: v_dual_lshlrev_b32 v7, 2, v7
	s_waitcnt lgkmcnt(0)
	v_add_f32_e32 v3, v3, v6
	ds_bpermute_b32 v5, v7, v4
	ds_bpermute_b32 v6, v7, v3
	v_xor_b32_e32 v7, 2, v2
	s_delay_alu instid0(VALU_DEP_1) | instskip(SKIP_2) | instid1(VALU_DEP_1)
	v_cmp_gt_i32_e32 vcc_lo, 32, v7
	v_cndmask_b32_e32 v7, v2, v7, vcc_lo
	s_waitcnt lgkmcnt(1)
	v_dual_add_f32 v4, v4, v5 :: v_dual_lshlrev_b32 v7, 2, v7
	s_waitcnt lgkmcnt(0)
	v_add_f32_e32 v3, v3, v6
	ds_bpermute_b32 v5, v7, v4
	ds_bpermute_b32 v6, v7, v3
	v_xor_b32_e32 v7, 1, v2
	s_delay_alu instid0(VALU_DEP_1) | instskip(SKIP_3) | instid1(VALU_DEP_2)
	v_cmp_gt_i32_e32 vcc_lo, 32, v7
	v_cndmask_b32_e32 v2, v2, v7, vcc_lo
	v_cmp_eq_u32_e32 vcc_lo, 63, v0
	s_waitcnt lgkmcnt(1)
	v_dual_add_f32 v2, v4, v5 :: v_dual_lshlrev_b32 v7, 2, v2
	s_waitcnt lgkmcnt(0)
	v_add_f32_e32 v3, v3, v6
	ds_bpermute_b32 v4, v7, v2
	ds_bpermute_b32 v5, v7, v3
	s_and_b32 exec_lo, exec_lo, vcc_lo
	s_cbranch_execz .LBB34_23
; %bb.19:
	s_load_b64 s[0:1], s[0:1], 0x38
	s_waitcnt lgkmcnt(0)
	v_dual_add_f32 v0, v2, v4 :: v_dual_add_f32 v3, v3, v5
	v_cmp_eq_f32_e64 s3, s12, 0
	s_delay_alu instid0(VALU_DEP_2) | instskip(SKIP_1) | instid1(VALU_DEP_3)
	v_dual_mul_f32 v2, s16, v0 :: v_dual_mul_f32 v3, s16, v3
	v_lshlrev_b32_e32 v0, 1, v1
	s_and_b32 vcc_lo, exec_lo, s3
	s_cbranch_vccz .LBB34_21
; %bb.20:
	s_delay_alu instid0(VALU_DEP_1) | instskip(SKIP_1) | instid1(VALU_DEP_1)
	v_ashrrev_i32_e32 v1, 31, v0
	s_mov_b32 s2, 0
	v_lshlrev_b64 v[4:5], 2, v[0:1]
	s_delay_alu instid0(VALU_DEP_1) | instskip(NEXT) | instid1(VALU_DEP_2)
	v_add_co_u32 v4, vcc_lo, s0, v4
	v_add_co_ci_u32_e32 v5, vcc_lo, s1, v5, vcc_lo
	global_store_b64 v[4:5], v[2:3], off
.LBB34_21:
	s_and_not1_b32 vcc_lo, exec_lo, s2
	s_cbranch_vccnz .LBB34_23
; %bb.22:
	v_ashrrev_i32_e32 v1, 31, v0
	s_delay_alu instid0(VALU_DEP_1) | instskip(NEXT) | instid1(VALU_DEP_1)
	v_lshlrev_b64 v[0:1], 2, v[0:1]
	v_add_co_u32 v0, vcc_lo, s0, v0
	s_delay_alu instid0(VALU_DEP_2)
	v_add_co_ci_u32_e32 v1, vcc_lo, s1, v1, vcc_lo
	global_load_b64 v[4:5], v[0:1], off
	s_waitcnt vmcnt(0)
	v_dual_fmac_f32 v2, s12, v4 :: v_dual_fmac_f32 v3, s12, v5
	global_store_b64 v[0:1], v[2:3], off
.LBB34_23:
	s_nop 0
	s_sendmsg sendmsg(MSG_DEALLOC_VGPRS)
	s_endpgm
	.section	.rodata,"a",@progbits
	.p2align	6, 0x0
	.amdhsa_kernel _ZN9rocsparseL19gebsrmvn_2xn_kernelILj128ELj8ELj64EfEEvi20rocsparse_direction_NS_24const_host_device_scalarIT2_EEPKiS6_PKS3_S8_S4_PS3_21rocsparse_index_base_b
		.amdhsa_group_segment_fixed_size 0
		.amdhsa_private_segment_fixed_size 0
		.amdhsa_kernarg_size 72
		.amdhsa_user_sgpr_count 15
		.amdhsa_user_sgpr_dispatch_ptr 0
		.amdhsa_user_sgpr_queue_ptr 0
		.amdhsa_user_sgpr_kernarg_segment_ptr 1
		.amdhsa_user_sgpr_dispatch_id 0
		.amdhsa_user_sgpr_private_segment_size 0
		.amdhsa_wavefront_size32 1
		.amdhsa_uses_dynamic_stack 0
		.amdhsa_enable_private_segment 0
		.amdhsa_system_sgpr_workgroup_id_x 1
		.amdhsa_system_sgpr_workgroup_id_y 0
		.amdhsa_system_sgpr_workgroup_id_z 0
		.amdhsa_system_sgpr_workgroup_info 0
		.amdhsa_system_vgpr_workitem_id 0
		.amdhsa_next_free_vgpr 34
		.amdhsa_next_free_sgpr 20
		.amdhsa_reserve_vcc 1
		.amdhsa_float_round_mode_32 0
		.amdhsa_float_round_mode_16_64 0
		.amdhsa_float_denorm_mode_32 3
		.amdhsa_float_denorm_mode_16_64 3
		.amdhsa_dx10_clamp 1
		.amdhsa_ieee_mode 1
		.amdhsa_fp16_overflow 0
		.amdhsa_workgroup_processor_mode 1
		.amdhsa_memory_ordered 1
		.amdhsa_forward_progress 0
		.amdhsa_shared_vgpr_count 0
		.amdhsa_exception_fp_ieee_invalid_op 0
		.amdhsa_exception_fp_denorm_src 0
		.amdhsa_exception_fp_ieee_div_zero 0
		.amdhsa_exception_fp_ieee_overflow 0
		.amdhsa_exception_fp_ieee_underflow 0
		.amdhsa_exception_fp_ieee_inexact 0
		.amdhsa_exception_int_div_zero 0
	.end_amdhsa_kernel
	.section	.text._ZN9rocsparseL19gebsrmvn_2xn_kernelILj128ELj8ELj64EfEEvi20rocsparse_direction_NS_24const_host_device_scalarIT2_EEPKiS6_PKS3_S8_S4_PS3_21rocsparse_index_base_b,"axG",@progbits,_ZN9rocsparseL19gebsrmvn_2xn_kernelILj128ELj8ELj64EfEEvi20rocsparse_direction_NS_24const_host_device_scalarIT2_EEPKiS6_PKS3_S8_S4_PS3_21rocsparse_index_base_b,comdat
.Lfunc_end34:
	.size	_ZN9rocsparseL19gebsrmvn_2xn_kernelILj128ELj8ELj64EfEEvi20rocsparse_direction_NS_24const_host_device_scalarIT2_EEPKiS6_PKS3_S8_S4_PS3_21rocsparse_index_base_b, .Lfunc_end34-_ZN9rocsparseL19gebsrmvn_2xn_kernelILj128ELj8ELj64EfEEvi20rocsparse_direction_NS_24const_host_device_scalarIT2_EEPKiS6_PKS3_S8_S4_PS3_21rocsparse_index_base_b
                                        ; -- End function
	.section	.AMDGPU.csdata,"",@progbits
; Kernel info:
; codeLenInByte = 1456
; NumSgprs: 22
; NumVgprs: 34
; ScratchSize: 0
; MemoryBound: 0
; FloatMode: 240
; IeeeMode: 1
; LDSByteSize: 0 bytes/workgroup (compile time only)
; SGPRBlocks: 2
; VGPRBlocks: 4
; NumSGPRsForWavesPerEU: 22
; NumVGPRsForWavesPerEU: 34
; Occupancy: 16
; WaveLimiterHint : 1
; COMPUTE_PGM_RSRC2:SCRATCH_EN: 0
; COMPUTE_PGM_RSRC2:USER_SGPR: 15
; COMPUTE_PGM_RSRC2:TRAP_HANDLER: 0
; COMPUTE_PGM_RSRC2:TGID_X_EN: 1
; COMPUTE_PGM_RSRC2:TGID_Y_EN: 0
; COMPUTE_PGM_RSRC2:TGID_Z_EN: 0
; COMPUTE_PGM_RSRC2:TIDIG_COMP_CNT: 0
	.section	.text._ZN9rocsparseL19gebsrmvn_2xn_kernelILj128ELj9ELj4EfEEvi20rocsparse_direction_NS_24const_host_device_scalarIT2_EEPKiS6_PKS3_S8_S4_PS3_21rocsparse_index_base_b,"axG",@progbits,_ZN9rocsparseL19gebsrmvn_2xn_kernelILj128ELj9ELj4EfEEvi20rocsparse_direction_NS_24const_host_device_scalarIT2_EEPKiS6_PKS3_S8_S4_PS3_21rocsparse_index_base_b,comdat
	.globl	_ZN9rocsparseL19gebsrmvn_2xn_kernelILj128ELj9ELj4EfEEvi20rocsparse_direction_NS_24const_host_device_scalarIT2_EEPKiS6_PKS3_S8_S4_PS3_21rocsparse_index_base_b ; -- Begin function _ZN9rocsparseL19gebsrmvn_2xn_kernelILj128ELj9ELj4EfEEvi20rocsparse_direction_NS_24const_host_device_scalarIT2_EEPKiS6_PKS3_S8_S4_PS3_21rocsparse_index_base_b
	.p2align	8
	.type	_ZN9rocsparseL19gebsrmvn_2xn_kernelILj128ELj9ELj4EfEEvi20rocsparse_direction_NS_24const_host_device_scalarIT2_EEPKiS6_PKS3_S8_S4_PS3_21rocsparse_index_base_b,@function
_ZN9rocsparseL19gebsrmvn_2xn_kernelILj128ELj9ELj4EfEEvi20rocsparse_direction_NS_24const_host_device_scalarIT2_EEPKiS6_PKS3_S8_S4_PS3_21rocsparse_index_base_b: ; @_ZN9rocsparseL19gebsrmvn_2xn_kernelILj128ELj9ELj4EfEEvi20rocsparse_direction_NS_24const_host_device_scalarIT2_EEPKiS6_PKS3_S8_S4_PS3_21rocsparse_index_base_b
; %bb.0:
	s_clause 0x2
	s_load_b64 s[18:19], s[0:1], 0x40
	s_load_b64 s[16:17], s[0:1], 0x8
	;; [unrolled: 1-line block ×3, first 2 shown]
	s_waitcnt lgkmcnt(0)
	s_bitcmp1_b32 s19, 0
	s_cselect_b32 s2, -1, 0
	s_delay_alu instid0(SALU_CYCLE_1)
	s_and_b32 vcc_lo, exec_lo, s2
	s_xor_b32 s2, s2, -1
	s_cbranch_vccnz .LBB35_2
; %bb.1:
	s_load_b32 s16, s[16:17], 0x0
.LBB35_2:
	s_and_not1_b32 vcc_lo, exec_lo, s2
	s_cbranch_vccnz .LBB35_4
; %bb.3:
	s_load_b32 s12, s[12:13], 0x0
.LBB35_4:
	s_waitcnt lgkmcnt(0)
	v_cmp_eq_f32_e64 s2, s16, 0
	v_cmp_eq_f32_e64 s3, s12, 1.0
	s_delay_alu instid0(VALU_DEP_1) | instskip(NEXT) | instid1(SALU_CYCLE_1)
	s_and_b32 s2, s2, s3
	s_and_b32 vcc_lo, exec_lo, s2
	s_cbranch_vccnz .LBB35_23
; %bb.5:
	s_load_b64 s[2:3], s[0:1], 0x0
	v_lshrrev_b32_e32 v1, 2, v0
	s_delay_alu instid0(VALU_DEP_1) | instskip(SKIP_1) | instid1(VALU_DEP_1)
	v_lshl_or_b32 v1, s15, 5, v1
	s_waitcnt lgkmcnt(0)
	v_cmp_gt_i32_e32 vcc_lo, s2, v1
	s_and_saveexec_b32 s2, vcc_lo
	s_cbranch_execz .LBB35_23
; %bb.6:
	s_load_b256 s[4:11], s[0:1], 0x10
	v_ashrrev_i32_e32 v2, 31, v1
	v_and_b32_e32 v0, 3, v0
	s_cmp_lg_u32 s3, 0
	s_delay_alu instid0(VALU_DEP_2) | instskip(SKIP_1) | instid1(VALU_DEP_1)
	v_lshlrev_b64 v[2:3], 2, v[1:2]
	s_waitcnt lgkmcnt(0)
	v_add_co_u32 v2, vcc_lo, s4, v2
	s_delay_alu instid0(VALU_DEP_2) | instskip(SKIP_4) | instid1(VALU_DEP_2)
	v_add_co_ci_u32_e32 v3, vcc_lo, s5, v3, vcc_lo
	global_load_b64 v[2:3], v[2:3], off
	s_waitcnt vmcnt(0)
	v_subrev_nc_u32_e32 v2, s18, v2
	v_subrev_nc_u32_e32 v10, s18, v3
	v_add_nc_u32_e32 v2, v2, v0
	s_delay_alu instid0(VALU_DEP_1)
	v_cmp_lt_i32_e64 s2, v2, v10
	s_cbranch_scc0 .LBB35_12
; %bb.7:
	v_mov_b32_e32 v9, 0
	v_mov_b32_e32 v11, 0
	s_mov_b32 s3, 0
	s_and_saveexec_b32 s4, s2
	s_cbranch_execz .LBB35_11
; %bb.8:
	v_mad_u64_u32 v[3:4], null, v2, 18, 16
	v_dual_mov_b32 v6, 0 :: v_dual_mov_b32 v7, v2
	v_mov_b32_e32 v9, 0
	v_mov_b32_e32 v11, 0
	s_mov_b32 s5, 0
.LBB35_9:                               ; =>This Inner Loop Header: Depth=1
	s_delay_alu instid0(VALU_DEP_3) | instskip(SKIP_1) | instid1(VALU_DEP_2)
	v_ashrrev_i32_e32 v8, 31, v7
	v_mov_b32_e32 v13, v6
	v_lshlrev_b64 v[4:5], 2, v[7:8]
	v_add_nc_u32_e32 v7, 4, v7
	s_delay_alu instid0(VALU_DEP_2) | instskip(NEXT) | instid1(VALU_DEP_3)
	v_add_co_u32 v4, vcc_lo, s6, v4
	v_add_co_ci_u32_e32 v5, vcc_lo, s7, v5, vcc_lo
	global_load_b32 v8, v[4:5], off
	v_dual_mov_b32 v4, v6 :: v_dual_add_nc_u32 v5, -16, v3
	s_delay_alu instid0(VALU_DEP_1) | instskip(SKIP_1) | instid1(VALU_DEP_3)
	v_lshlrev_b64 v[14:15], 2, v[5:6]
	v_add_nc_u32_e32 v5, -14, v3
	v_lshlrev_b64 v[16:17], 2, v[3:4]
	s_delay_alu instid0(VALU_DEP_2) | instskip(NEXT) | instid1(VALU_DEP_4)
	v_lshlrev_b64 v[4:5], 2, v[5:6]
	v_add_co_u32 v14, vcc_lo, s8, v14
	v_add_co_ci_u32_e32 v15, vcc_lo, s9, v15, vcc_lo
	s_delay_alu instid0(VALU_DEP_4)
	v_add_co_u32 v16, vcc_lo, s8, v16
	v_add_co_ci_u32_e32 v17, vcc_lo, s9, v17, vcc_lo
	v_add_co_u32 v4, vcc_lo, s8, v4
	v_add_co_ci_u32_e32 v5, vcc_lo, s9, v5, vcc_lo
	s_clause 0x1
	global_load_b64 v[14:15], v[14:15], off
	global_load_b64 v[18:19], v[4:5], off
	s_waitcnt vmcnt(2)
	v_subrev_nc_u32_e32 v4, s18, v8
	s_delay_alu instid0(VALU_DEP_1) | instskip(NEXT) | instid1(VALU_DEP_1)
	v_lshl_add_u32 v12, v4, 3, v4
	v_add_nc_u32_e32 v5, 1, v12
	v_lshlrev_b64 v[20:21], 2, v[12:13]
	s_delay_alu instid0(VALU_DEP_2) | instskip(SKIP_1) | instid1(VALU_DEP_3)
	v_lshlrev_b64 v[22:23], 2, v[5:6]
	v_add_nc_u32_e32 v5, -12, v3
	v_add_co_u32 v20, vcc_lo, s10, v20
	s_delay_alu instid0(VALU_DEP_4) | instskip(NEXT) | instid1(VALU_DEP_4)
	v_add_co_ci_u32_e32 v21, vcc_lo, s11, v21, vcc_lo
	v_add_co_u32 v22, vcc_lo, s10, v22
	s_delay_alu instid0(VALU_DEP_4)
	v_lshlrev_b64 v[24:25], 2, v[5:6]
	v_add_nc_u32_e32 v5, 2, v12
	v_add_co_ci_u32_e32 v23, vcc_lo, s11, v23, vcc_lo
	s_clause 0x1
	global_load_b32 v8, v[20:21], off
	global_load_b32 v36, v[22:23], off
	v_lshlrev_b64 v[20:21], 2, v[5:6]
	v_add_nc_u32_e32 v5, -10, v3
	v_add_co_u32 v22, vcc_lo, s8, v24
	v_add_co_ci_u32_e32 v23, vcc_lo, s9, v25, vcc_lo
	s_delay_alu instid0(VALU_DEP_3) | instskip(SKIP_3) | instid1(VALU_DEP_3)
	v_lshlrev_b64 v[24:25], 2, v[5:6]
	v_add_nc_u32_e32 v5, 3, v12
	v_add_co_u32 v20, vcc_lo, s10, v20
	v_add_co_ci_u32_e32 v21, vcc_lo, s11, v21, vcc_lo
	v_lshlrev_b64 v[26:27], 2, v[5:6]
	v_add_nc_u32_e32 v5, -8, v3
	global_load_b64 v[22:23], v[22:23], off
	global_load_b32 v37, v[20:21], off
	v_add_co_u32 v20, vcc_lo, s8, v24
	v_add_co_ci_u32_e32 v21, vcc_lo, s9, v25, vcc_lo
	v_lshlrev_b64 v[24:25], 2, v[5:6]
	v_add_nc_u32_e32 v5, 4, v12
	v_add_co_u32 v26, vcc_lo, s10, v26
	v_add_co_ci_u32_e32 v27, vcc_lo, s11, v27, vcc_lo
	s_delay_alu instid0(VALU_DEP_3) | instskip(SKIP_3) | instid1(VALU_DEP_4)
	v_lshlrev_b64 v[28:29], 2, v[5:6]
	v_add_co_u32 v24, vcc_lo, s8, v24
	v_add_co_ci_u32_e32 v25, vcc_lo, s9, v25, vcc_lo
	v_add_nc_u32_e32 v5, -6, v3
	v_add_co_u32 v28, vcc_lo, s10, v28
	global_load_b64 v[24:25], v[24:25], off
	v_add_co_ci_u32_e32 v29, vcc_lo, s11, v29, vcc_lo
	global_load_b32 v38, v[26:27], off
	global_load_b64 v[20:21], v[20:21], off
	global_load_b32 v39, v[28:29], off
	v_lshlrev_b64 v[26:27], 2, v[5:6]
	v_add_nc_u32_e32 v5, 5, v12
	s_delay_alu instid0(VALU_DEP_1) | instskip(SKIP_1) | instid1(VALU_DEP_4)
	v_lshlrev_b64 v[30:31], 2, v[5:6]
	v_add_nc_u32_e32 v5, -4, v3
	v_add_co_u32 v26, vcc_lo, s8, v26
	v_add_co_ci_u32_e32 v27, vcc_lo, s9, v27, vcc_lo
	s_delay_alu instid0(VALU_DEP_3) | instskip(SKIP_3) | instid1(VALU_DEP_3)
	v_lshlrev_b64 v[28:29], 2, v[5:6]
	v_add_nc_u32_e32 v5, 6, v12
	v_add_co_u32 v30, vcc_lo, s10, v30
	v_add_co_ci_u32_e32 v31, vcc_lo, s11, v31, vcc_lo
	v_lshlrev_b64 v[32:33], 2, v[5:6]
	v_add_co_u32 v28, vcc_lo, s8, v28
	v_add_co_ci_u32_e32 v29, vcc_lo, s9, v29, vcc_lo
	v_add_nc_u32_e32 v5, -2, v3
	s_delay_alu instid0(VALU_DEP_4)
	v_add_co_u32 v32, vcc_lo, s10, v32
	v_add_co_ci_u32_e32 v33, vcc_lo, s11, v33, vcc_lo
	global_load_b32 v40, v[30:31], off
	s_clause 0x1
	global_load_b64 v[26:27], v[26:27], off
	global_load_b64 v[28:29], v[28:29], off
	global_load_b32 v32, v[32:33], off
	v_lshlrev_b64 v[30:31], 2, v[5:6]
	v_add_nc_u32_e32 v5, 7, v12
	v_add_nc_u32_e32 v3, 0x48, v3
	s_delay_alu instid0(VALU_DEP_2) | instskip(SKIP_3) | instid1(VALU_DEP_3)
	v_lshlrev_b64 v[34:35], 2, v[5:6]
	v_add_nc_u32_e32 v5, 8, v12
	v_add_co_u32 v12, vcc_lo, s8, v30
	v_add_co_ci_u32_e32 v13, vcc_lo, s9, v31, vcc_lo
	v_lshlrev_b64 v[4:5], 2, v[5:6]
	v_add_co_u32 v30, vcc_lo, s10, v34
	v_add_co_ci_u32_e32 v31, vcc_lo, s11, v35, vcc_lo
	global_load_b64 v[12:13], v[12:13], off
	global_load_b32 v30, v[30:31], off
	v_add_co_u32 v4, vcc_lo, s10, v4
	v_add_co_ci_u32_e32 v5, vcc_lo, s11, v5, vcc_lo
	global_load_b64 v[16:17], v[16:17], off
	global_load_b32 v4, v[4:5], off
	v_cmp_ge_i32_e32 vcc_lo, v7, v10
	s_or_b32 s5, vcc_lo, s5
	s_waitcnt vmcnt(15)
	v_fmac_f32_e32 v9, v14, v8
	v_fmac_f32_e32 v11, v15, v8
	s_waitcnt vmcnt(14)
	s_delay_alu instid0(VALU_DEP_2) | instskip(NEXT) | instid1(VALU_DEP_2)
	v_fmac_f32_e32 v9, v18, v36
	v_fmac_f32_e32 v11, v19, v36
	s_waitcnt vmcnt(12)
	s_delay_alu instid0(VALU_DEP_2) | instskip(NEXT) | instid1(VALU_DEP_2)
	;; [unrolled: 4-line block ×8, first 2 shown]
	v_fmac_f32_e32 v9, v16, v4
	v_fmac_f32_e32 v11, v17, v4
	s_and_not1_b32 exec_lo, exec_lo, s5
	s_cbranch_execnz .LBB35_9
; %bb.10:
	s_or_b32 exec_lo, exec_lo, s5
.LBB35_11:
	s_delay_alu instid0(SALU_CYCLE_1) | instskip(NEXT) | instid1(SALU_CYCLE_1)
	s_or_b32 exec_lo, exec_lo, s4
	s_and_not1_b32 vcc_lo, exec_lo, s3
	s_cbranch_vccz .LBB35_13
	s_branch .LBB35_18
.LBB35_12:
                                        ; implicit-def: $vgpr9
                                        ; implicit-def: $vgpr11
.LBB35_13:
	v_mov_b32_e32 v9, 0
	v_mov_b32_e32 v11, 0
	s_delay_alu instid0(VALU_DEP_3)
	s_and_saveexec_b32 s3, s2
	s_cbranch_execz .LBB35_17
; %bb.14:
	v_mad_u64_u32 v[4:5], null, v2, 18, 17
	v_mov_b32_e32 v7, 0
	v_mov_b32_e32 v9, 0
	;; [unrolled: 1-line block ×3, first 2 shown]
	s_mov_b32 s2, 0
.LBB35_15:                              ; =>This Inner Loop Header: Depth=1
	v_ashrrev_i32_e32 v3, 31, v2
	v_dual_mov_b32 v13, v7 :: v_dual_add_nc_u32 v12, -8, v4
	s_delay_alu instid0(VALU_DEP_2) | instskip(SKIP_1) | instid1(VALU_DEP_3)
	v_lshlrev_b64 v[5:6], 2, v[2:3]
	v_add_nc_u32_e32 v2, 4, v2
	v_lshlrev_b64 v[12:13], 2, v[12:13]
	s_delay_alu instid0(VALU_DEP_3) | instskip(NEXT) | instid1(VALU_DEP_4)
	v_add_co_u32 v5, vcc_lo, s6, v5
	v_add_co_ci_u32_e32 v6, vcc_lo, s7, v6, vcc_lo
	global_load_b32 v3, v[5:6], off
	v_subrev_nc_u32_e32 v6, 17, v4
	s_delay_alu instid0(VALU_DEP_1) | instskip(NEXT) | instid1(VALU_DEP_1)
	v_lshlrev_b64 v[15:16], 2, v[6:7]
	v_add_co_u32 v15, vcc_lo, s8, v15
	s_delay_alu instid0(VALU_DEP_2)
	v_add_co_ci_u32_e32 v16, vcc_lo, s9, v16, vcc_lo
	v_add_co_u32 v12, vcc_lo, s8, v12
	v_add_co_ci_u32_e32 v13, vcc_lo, s9, v13, vcc_lo
	s_clause 0x1
	global_load_b64 v[15:16], v[15:16], off
	global_load_b32 v8, v[12:13], off
	v_mov_b32_e32 v14, v7
	s_waitcnt vmcnt(2)
	v_subrev_nc_u32_e32 v3, s18, v3
	s_delay_alu instid0(VALU_DEP_1) | instskip(SKIP_1) | instid1(VALU_DEP_2)
	v_lshl_add_u32 v13, v3, 3, v3
	v_mov_b32_e32 v5, v7
	v_lshlrev_b64 v[19:20], 2, v[13:14]
	s_delay_alu instid0(VALU_DEP_2) | instskip(NEXT) | instid1(VALU_DEP_1)
	v_lshlrev_b64 v[5:6], 2, v[4:5]
	v_add_co_u32 v17, vcc_lo, s8, v5
	s_delay_alu instid0(VALU_DEP_2) | instskip(SKIP_3) | instid1(VALU_DEP_3)
	v_add_co_ci_u32_e32 v18, vcc_lo, s9, v6, vcc_lo
	v_add_nc_u32_e32 v6, 1, v13
	v_add_co_u32 v19, vcc_lo, s10, v19
	v_add_co_ci_u32_e32 v20, vcc_lo, s11, v20, vcc_lo
	v_lshlrev_b64 v[21:22], 2, v[6:7]
	global_load_b32 v3, v[19:20], off
	v_add_nc_u32_e32 v6, -7, v4
	v_add_co_u32 v19, vcc_lo, s10, v21
	v_add_co_ci_u32_e32 v20, vcc_lo, s11, v22, vcc_lo
	global_load_b32 v14, v[19:20], off
	s_waitcnt vmcnt(1)
	v_fmac_f32_e32 v9, v15, v3
	v_lshlrev_b64 v[23:24], 2, v[6:7]
	v_dual_fmac_f32 v11, v8, v3 :: v_dual_add_nc_u32 v6, -15, v4
	s_delay_alu instid0(VALU_DEP_2) | instskip(NEXT) | instid1(VALU_DEP_3)
	v_add_co_u32 v23, vcc_lo, s8, v23
	v_add_co_ci_u32_e32 v24, vcc_lo, s9, v24, vcc_lo
	s_waitcnt vmcnt(0)
	v_fmac_f32_e32 v9, v16, v14
	v_lshlrev_b64 v[21:22], 2, v[6:7]
	global_load_b32 v25, v[23:24], off
	v_add_co_u32 v21, vcc_lo, s8, v21
	v_add_co_ci_u32_e32 v22, vcc_lo, s9, v22, vcc_lo
	global_load_b32 v26, v[21:22], off
	s_waitcnt vmcnt(1)
	v_dual_fmac_f32 v11, v25, v14 :: v_dual_add_nc_u32 v6, 2, v13
	s_delay_alu instid0(VALU_DEP_1) | instskip(NEXT) | instid1(VALU_DEP_1)
	v_lshlrev_b64 v[19:20], 2, v[6:7]
	v_add_co_u32 v19, vcc_lo, s10, v19
	s_delay_alu instid0(VALU_DEP_2) | instskip(SKIP_2) | instid1(VALU_DEP_1)
	v_add_co_ci_u32_e32 v20, vcc_lo, s11, v20, vcc_lo
	global_load_b32 v27, v[19:20], off
	v_add_nc_u32_e32 v6, -6, v4
	v_lshlrev_b64 v[23:24], 2, v[6:7]
	s_delay_alu instid0(VALU_DEP_1) | instskip(NEXT) | instid1(VALU_DEP_2)
	v_add_co_u32 v19, vcc_lo, s8, v23
	v_add_co_ci_u32_e32 v20, vcc_lo, s9, v24, vcc_lo
	global_load_b32 v28, v[19:20], off
	s_waitcnt vmcnt(1)
	v_dual_fmac_f32 v9, v26, v27 :: v_dual_add_nc_u32 v6, -14, v4
	s_waitcnt vmcnt(0)
	v_fmac_f32_e32 v11, v28, v27
	s_delay_alu instid0(VALU_DEP_2) | instskip(NEXT) | instid1(VALU_DEP_1)
	v_lshlrev_b64 v[21:22], 2, v[6:7]
	v_add_co_u32 v21, vcc_lo, s8, v21
	s_delay_alu instid0(VALU_DEP_2) | instskip(SKIP_2) | instid1(VALU_DEP_1)
	v_add_co_ci_u32_e32 v22, vcc_lo, s9, v22, vcc_lo
	global_load_b32 v29, v[21:22], off
	v_add_nc_u32_e32 v6, 3, v13
	v_lshlrev_b64 v[23:24], 2, v[6:7]
	s_delay_alu instid0(VALU_DEP_1) | instskip(NEXT) | instid1(VALU_DEP_2)
	v_add_co_u32 v21, vcc_lo, s10, v23
	v_add_co_ci_u32_e32 v22, vcc_lo, s11, v24, vcc_lo
	global_load_b32 v30, v[21:22], off
	v_add_nc_u32_e32 v6, -5, v4
	s_delay_alu instid0(VALU_DEP_1) | instskip(NEXT) | instid1(VALU_DEP_1)
	v_lshlrev_b64 v[19:20], 2, v[6:7]
	v_add_co_u32 v19, vcc_lo, s8, v19
	s_delay_alu instid0(VALU_DEP_2) | instskip(SKIP_3) | instid1(VALU_DEP_1)
	v_add_co_ci_u32_e32 v20, vcc_lo, s9, v20, vcc_lo
	global_load_b32 v31, v[19:20], off
	s_waitcnt vmcnt(1)
	v_dual_fmac_f32 v9, v29, v30 :: v_dual_add_nc_u32 v6, -13, v4
	v_lshlrev_b64 v[23:24], 2, v[6:7]
	v_add_nc_u32_e32 v6, 4, v13
	s_delay_alu instid0(VALU_DEP_1) | instskip(NEXT) | instid1(VALU_DEP_3)
	v_lshlrev_b64 v[21:22], 2, v[6:7]
	v_add_co_u32 v19, vcc_lo, s8, v23
	s_delay_alu instid0(VALU_DEP_4) | instskip(NEXT) | instid1(VALU_DEP_3)
	v_add_co_ci_u32_e32 v20, vcc_lo, s9, v24, vcc_lo
	v_add_co_u32 v21, vcc_lo, s10, v21
	s_delay_alu instid0(VALU_DEP_4)
	v_add_co_ci_u32_e32 v22, vcc_lo, s11, v22, vcc_lo
	s_waitcnt vmcnt(0)
	v_fmac_f32_e32 v11, v31, v30
	global_load_b32 v32, v[19:20], off
	global_load_b32 v33, v[21:22], off
	v_add_nc_u32_e32 v6, -4, v4
	s_delay_alu instid0(VALU_DEP_1) | instskip(SKIP_1) | instid1(VALU_DEP_2)
	v_lshlrev_b64 v[23:24], 2, v[6:7]
	v_add_nc_u32_e32 v6, -12, v4
	v_add_co_u32 v21, vcc_lo, s8, v23
	s_delay_alu instid0(VALU_DEP_3) | instskip(NEXT) | instid1(VALU_DEP_3)
	v_add_co_ci_u32_e32 v22, vcc_lo, s9, v24, vcc_lo
	v_lshlrev_b64 v[19:20], 2, v[6:7]
	global_load_b32 v34, v[21:22], off
	v_add_co_u32 v19, vcc_lo, s8, v19
	v_add_co_ci_u32_e32 v20, vcc_lo, s9, v20, vcc_lo
	global_load_b32 v35, v[19:20], off
	s_waitcnt vmcnt(2)
	v_fmac_f32_e32 v9, v32, v33
	s_waitcnt vmcnt(1)
	v_fmac_f32_e32 v11, v34, v33
	v_add_nc_u32_e32 v6, 5, v13
	s_delay_alu instid0(VALU_DEP_1) | instskip(SKIP_1) | instid1(VALU_DEP_1)
	v_lshlrev_b64 v[23:24], 2, v[6:7]
	v_add_nc_u32_e32 v6, -3, v4
	v_lshlrev_b64 v[21:22], 2, v[6:7]
	v_add_nc_u32_e32 v6, -11, v4
	s_delay_alu instid0(VALU_DEP_4) | instskip(SKIP_1) | instid1(VALU_DEP_3)
	v_add_co_u32 v19, vcc_lo, s10, v23
	v_add_co_ci_u32_e32 v20, vcc_lo, s11, v24, vcc_lo
	v_lshlrev_b64 v[23:24], 2, v[6:7]
	v_add_nc_u32_e32 v6, 6, v13
	v_add_co_u32 v21, vcc_lo, s8, v21
	v_add_co_ci_u32_e32 v22, vcc_lo, s9, v22, vcc_lo
	global_load_b32 v36, v[19:20], off
	v_lshlrev_b64 v[19:20], 2, v[6:7]
	v_add_nc_u32_e32 v6, -2, v4
	global_load_b32 v37, v[21:22], off
	v_add_co_u32 v21, vcc_lo, s8, v23
	v_add_co_ci_u32_e32 v22, vcc_lo, s9, v24, vcc_lo
	v_add_co_u32 v19, vcc_lo, s10, v19
	v_lshlrev_b64 v[23:24], 2, v[6:7]
	v_add_co_ci_u32_e32 v20, vcc_lo, s11, v20, vcc_lo
	v_add_nc_u32_e32 v6, -10, v4
	global_load_b32 v38, v[21:22], off
	global_load_b32 v39, v[19:20], off
	v_add_co_u32 v19, vcc_lo, s8, v23
	v_add_co_ci_u32_e32 v20, vcc_lo, s9, v24, vcc_lo
	global_load_b32 v40, v[19:20], off
	v_lshlrev_b64 v[21:22], 2, v[6:7]
	v_add_nc_u32_e32 v6, 7, v13
	s_delay_alu instid0(VALU_DEP_1) | instskip(SKIP_1) | instid1(VALU_DEP_4)
	v_lshlrev_b64 v[23:24], 2, v[6:7]
	v_add_nc_u32_e32 v6, -1, v4
	v_add_co_u32 v21, vcc_lo, s8, v21
	v_add_co_ci_u32_e32 v22, vcc_lo, s9, v22, vcc_lo
	s_delay_alu instid0(VALU_DEP_3)
	v_lshlrev_b64 v[19:20], 2, v[6:7]
	v_add_nc_u32_e32 v6, -9, v4
	v_add_nc_u32_e32 v4, 0x48, v4
	global_load_b32 v41, v[21:22], off
	v_add_co_u32 v21, vcc_lo, s10, v23
	v_add_co_ci_u32_e32 v22, vcc_lo, s11, v24, vcc_lo
	v_lshlrev_b64 v[23:24], 2, v[6:7]
	v_add_nc_u32_e32 v6, 8, v13
	v_add_co_u32 v12, vcc_lo, s8, v19
	v_add_co_ci_u32_e32 v13, vcc_lo, s9, v20, vcc_lo
	s_delay_alu instid0(VALU_DEP_3)
	v_lshlrev_b64 v[5:6], 2, v[6:7]
	global_load_b32 v19, v[21:22], off
	global_load_b32 v20, v[12:13], off
	v_add_co_u32 v12, vcc_lo, s8, v23
	v_add_co_ci_u32_e32 v13, vcc_lo, s9, v24, vcc_lo
	v_add_co_u32 v5, vcc_lo, s10, v5
	v_add_co_ci_u32_e32 v6, vcc_lo, s11, v6, vcc_lo
	s_clause 0x1
	global_load_b32 v17, v[17:18], off
	global_load_b32 v12, v[12:13], off
	global_load_b32 v5, v[5:6], off
	v_cmp_ge_i32_e32 vcc_lo, v2, v10
	s_or_b32 s2, vcc_lo, s2
	s_waitcnt vmcnt(10)
	v_fmac_f32_e32 v9, v35, v36
	s_waitcnt vmcnt(9)
	v_fmac_f32_e32 v11, v37, v36
	s_waitcnt vmcnt(7)
	s_delay_alu instid0(VALU_DEP_2) | instskip(SKIP_1) | instid1(VALU_DEP_2)
	v_fmac_f32_e32 v9, v38, v39
	s_waitcnt vmcnt(6)
	v_fmac_f32_e32 v11, v40, v39
	s_waitcnt vmcnt(4)
	s_delay_alu instid0(VALU_DEP_2) | instskip(SKIP_1) | instid1(VALU_DEP_2)
	v_fmac_f32_e32 v9, v41, v19
	s_waitcnt vmcnt(3)
	v_fmac_f32_e32 v11, v20, v19
	s_waitcnt vmcnt(0)
	s_delay_alu instid0(VALU_DEP_2) | instskip(NEXT) | instid1(VALU_DEP_2)
	v_fmac_f32_e32 v9, v12, v5
	v_fmac_f32_e32 v11, v17, v5
	s_and_not1_b32 exec_lo, exec_lo, s2
	s_cbranch_execnz .LBB35_15
; %bb.16:
	s_or_b32 exec_lo, exec_lo, s2
.LBB35_17:
	s_delay_alu instid0(SALU_CYCLE_1)
	s_or_b32 exec_lo, exec_lo, s3
.LBB35_18:
	v_mbcnt_lo_u32_b32 v2, -1, 0
	s_mov_b32 s2, -1
	s_delay_alu instid0(VALU_DEP_1) | instskip(SKIP_1) | instid1(VALU_DEP_2)
	v_xor_b32_e32 v3, 2, v2
	v_xor_b32_e32 v5, 1, v2
	v_cmp_gt_i32_e32 vcc_lo, 32, v3
	v_cndmask_b32_e32 v3, v2, v3, vcc_lo
	s_delay_alu instid0(VALU_DEP_3) | instskip(NEXT) | instid1(VALU_DEP_2)
	v_cmp_gt_i32_e32 vcc_lo, 32, v5
	v_dual_cndmask_b32 v2, v2, v5 :: v_dual_lshlrev_b32 v3, 2, v3
	v_cmp_eq_u32_e32 vcc_lo, 3, v0
	ds_bpermute_b32 v4, v3, v9
	ds_bpermute_b32 v3, v3, v11
	s_waitcnt lgkmcnt(1)
	v_dual_add_f32 v2, v9, v4 :: v_dual_lshlrev_b32 v5, 2, v2
	s_waitcnt lgkmcnt(0)
	v_add_f32_e32 v3, v11, v3
	ds_bpermute_b32 v4, v5, v2
	ds_bpermute_b32 v5, v5, v3
	s_and_b32 exec_lo, exec_lo, vcc_lo
	s_cbranch_execz .LBB35_23
; %bb.19:
	s_load_b64 s[0:1], s[0:1], 0x38
	s_waitcnt lgkmcnt(0)
	v_dual_add_f32 v0, v2, v4 :: v_dual_add_f32 v3, v3, v5
	v_cmp_eq_f32_e64 s3, s12, 0
	s_delay_alu instid0(VALU_DEP_2) | instskip(SKIP_1) | instid1(VALU_DEP_3)
	v_dual_mul_f32 v2, s16, v0 :: v_dual_mul_f32 v3, s16, v3
	v_lshlrev_b32_e32 v0, 1, v1
	s_and_b32 vcc_lo, exec_lo, s3
	s_cbranch_vccz .LBB35_21
; %bb.20:
	s_delay_alu instid0(VALU_DEP_1) | instskip(SKIP_1) | instid1(VALU_DEP_1)
	v_ashrrev_i32_e32 v1, 31, v0
	s_mov_b32 s2, 0
	v_lshlrev_b64 v[4:5], 2, v[0:1]
	s_delay_alu instid0(VALU_DEP_1) | instskip(NEXT) | instid1(VALU_DEP_2)
	v_add_co_u32 v4, vcc_lo, s0, v4
	v_add_co_ci_u32_e32 v5, vcc_lo, s1, v5, vcc_lo
	global_store_b64 v[4:5], v[2:3], off
.LBB35_21:
	s_and_not1_b32 vcc_lo, exec_lo, s2
	s_cbranch_vccnz .LBB35_23
; %bb.22:
	v_ashrrev_i32_e32 v1, 31, v0
	s_delay_alu instid0(VALU_DEP_1) | instskip(NEXT) | instid1(VALU_DEP_1)
	v_lshlrev_b64 v[0:1], 2, v[0:1]
	v_add_co_u32 v0, vcc_lo, s0, v0
	s_delay_alu instid0(VALU_DEP_2)
	v_add_co_ci_u32_e32 v1, vcc_lo, s1, v1, vcc_lo
	global_load_b64 v[4:5], v[0:1], off
	s_waitcnt vmcnt(0)
	v_dual_fmac_f32 v2, s12, v4 :: v_dual_fmac_f32 v3, s12, v5
	global_store_b64 v[0:1], v[2:3], off
.LBB35_23:
	s_nop 0
	s_sendmsg sendmsg(MSG_DEALLOC_VGPRS)
	s_endpgm
	.section	.rodata,"a",@progbits
	.p2align	6, 0x0
	.amdhsa_kernel _ZN9rocsparseL19gebsrmvn_2xn_kernelILj128ELj9ELj4EfEEvi20rocsparse_direction_NS_24const_host_device_scalarIT2_EEPKiS6_PKS3_S8_S4_PS3_21rocsparse_index_base_b
		.amdhsa_group_segment_fixed_size 0
		.amdhsa_private_segment_fixed_size 0
		.amdhsa_kernarg_size 72
		.amdhsa_user_sgpr_count 15
		.amdhsa_user_sgpr_dispatch_ptr 0
		.amdhsa_user_sgpr_queue_ptr 0
		.amdhsa_user_sgpr_kernarg_segment_ptr 1
		.amdhsa_user_sgpr_dispatch_id 0
		.amdhsa_user_sgpr_private_segment_size 0
		.amdhsa_wavefront_size32 1
		.amdhsa_uses_dynamic_stack 0
		.amdhsa_enable_private_segment 0
		.amdhsa_system_sgpr_workgroup_id_x 1
		.amdhsa_system_sgpr_workgroup_id_y 0
		.amdhsa_system_sgpr_workgroup_id_z 0
		.amdhsa_system_sgpr_workgroup_info 0
		.amdhsa_system_vgpr_workitem_id 0
		.amdhsa_next_free_vgpr 42
		.amdhsa_next_free_sgpr 20
		.amdhsa_reserve_vcc 1
		.amdhsa_float_round_mode_32 0
		.amdhsa_float_round_mode_16_64 0
		.amdhsa_float_denorm_mode_32 3
		.amdhsa_float_denorm_mode_16_64 3
		.amdhsa_dx10_clamp 1
		.amdhsa_ieee_mode 1
		.amdhsa_fp16_overflow 0
		.amdhsa_workgroup_processor_mode 1
		.amdhsa_memory_ordered 1
		.amdhsa_forward_progress 0
		.amdhsa_shared_vgpr_count 0
		.amdhsa_exception_fp_ieee_invalid_op 0
		.amdhsa_exception_fp_denorm_src 0
		.amdhsa_exception_fp_ieee_div_zero 0
		.amdhsa_exception_fp_ieee_overflow 0
		.amdhsa_exception_fp_ieee_underflow 0
		.amdhsa_exception_fp_ieee_inexact 0
		.amdhsa_exception_int_div_zero 0
	.end_amdhsa_kernel
	.section	.text._ZN9rocsparseL19gebsrmvn_2xn_kernelILj128ELj9ELj4EfEEvi20rocsparse_direction_NS_24const_host_device_scalarIT2_EEPKiS6_PKS3_S8_S4_PS3_21rocsparse_index_base_b,"axG",@progbits,_ZN9rocsparseL19gebsrmvn_2xn_kernelILj128ELj9ELj4EfEEvi20rocsparse_direction_NS_24const_host_device_scalarIT2_EEPKiS6_PKS3_S8_S4_PS3_21rocsparse_index_base_b,comdat
.Lfunc_end35:
	.size	_ZN9rocsparseL19gebsrmvn_2xn_kernelILj128ELj9ELj4EfEEvi20rocsparse_direction_NS_24const_host_device_scalarIT2_EEPKiS6_PKS3_S8_S4_PS3_21rocsparse_index_base_b, .Lfunc_end35-_ZN9rocsparseL19gebsrmvn_2xn_kernelILj128ELj9ELj4EfEEvi20rocsparse_direction_NS_24const_host_device_scalarIT2_EEPKiS6_PKS3_S8_S4_PS3_21rocsparse_index_base_b
                                        ; -- End function
	.section	.AMDGPU.csdata,"",@progbits
; Kernel info:
; codeLenInByte = 2700
; NumSgprs: 22
; NumVgprs: 42
; ScratchSize: 0
; MemoryBound: 0
; FloatMode: 240
; IeeeMode: 1
; LDSByteSize: 0 bytes/workgroup (compile time only)
; SGPRBlocks: 2
; VGPRBlocks: 5
; NumSGPRsForWavesPerEU: 22
; NumVGPRsForWavesPerEU: 42
; Occupancy: 16
; WaveLimiterHint : 1
; COMPUTE_PGM_RSRC2:SCRATCH_EN: 0
; COMPUTE_PGM_RSRC2:USER_SGPR: 15
; COMPUTE_PGM_RSRC2:TRAP_HANDLER: 0
; COMPUTE_PGM_RSRC2:TGID_X_EN: 1
; COMPUTE_PGM_RSRC2:TGID_Y_EN: 0
; COMPUTE_PGM_RSRC2:TGID_Z_EN: 0
; COMPUTE_PGM_RSRC2:TIDIG_COMP_CNT: 0
	.section	.text._ZN9rocsparseL19gebsrmvn_2xn_kernelILj128ELj9ELj8EfEEvi20rocsparse_direction_NS_24const_host_device_scalarIT2_EEPKiS6_PKS3_S8_S4_PS3_21rocsparse_index_base_b,"axG",@progbits,_ZN9rocsparseL19gebsrmvn_2xn_kernelILj128ELj9ELj8EfEEvi20rocsparse_direction_NS_24const_host_device_scalarIT2_EEPKiS6_PKS3_S8_S4_PS3_21rocsparse_index_base_b,comdat
	.globl	_ZN9rocsparseL19gebsrmvn_2xn_kernelILj128ELj9ELj8EfEEvi20rocsparse_direction_NS_24const_host_device_scalarIT2_EEPKiS6_PKS3_S8_S4_PS3_21rocsparse_index_base_b ; -- Begin function _ZN9rocsparseL19gebsrmvn_2xn_kernelILj128ELj9ELj8EfEEvi20rocsparse_direction_NS_24const_host_device_scalarIT2_EEPKiS6_PKS3_S8_S4_PS3_21rocsparse_index_base_b
	.p2align	8
	.type	_ZN9rocsparseL19gebsrmvn_2xn_kernelILj128ELj9ELj8EfEEvi20rocsparse_direction_NS_24const_host_device_scalarIT2_EEPKiS6_PKS3_S8_S4_PS3_21rocsparse_index_base_b,@function
_ZN9rocsparseL19gebsrmvn_2xn_kernelILj128ELj9ELj8EfEEvi20rocsparse_direction_NS_24const_host_device_scalarIT2_EEPKiS6_PKS3_S8_S4_PS3_21rocsparse_index_base_b: ; @_ZN9rocsparseL19gebsrmvn_2xn_kernelILj128ELj9ELj8EfEEvi20rocsparse_direction_NS_24const_host_device_scalarIT2_EEPKiS6_PKS3_S8_S4_PS3_21rocsparse_index_base_b
; %bb.0:
	s_clause 0x2
	s_load_b64 s[18:19], s[0:1], 0x40
	s_load_b64 s[16:17], s[0:1], 0x8
	;; [unrolled: 1-line block ×3, first 2 shown]
	s_waitcnt lgkmcnt(0)
	s_bitcmp1_b32 s19, 0
	s_cselect_b32 s2, -1, 0
	s_delay_alu instid0(SALU_CYCLE_1)
	s_and_b32 vcc_lo, exec_lo, s2
	s_xor_b32 s2, s2, -1
	s_cbranch_vccnz .LBB36_2
; %bb.1:
	s_load_b32 s16, s[16:17], 0x0
.LBB36_2:
	s_and_not1_b32 vcc_lo, exec_lo, s2
	s_cbranch_vccnz .LBB36_4
; %bb.3:
	s_load_b32 s12, s[12:13], 0x0
.LBB36_4:
	s_waitcnt lgkmcnt(0)
	v_cmp_eq_f32_e64 s2, s16, 0
	v_cmp_eq_f32_e64 s3, s12, 1.0
	s_delay_alu instid0(VALU_DEP_1) | instskip(NEXT) | instid1(SALU_CYCLE_1)
	s_and_b32 s2, s2, s3
	s_and_b32 vcc_lo, exec_lo, s2
	s_cbranch_vccnz .LBB36_23
; %bb.5:
	s_load_b64 s[2:3], s[0:1], 0x0
	v_lshrrev_b32_e32 v1, 3, v0
	s_delay_alu instid0(VALU_DEP_1) | instskip(SKIP_1) | instid1(VALU_DEP_1)
	v_lshl_or_b32 v1, s15, 4, v1
	s_waitcnt lgkmcnt(0)
	v_cmp_gt_i32_e32 vcc_lo, s2, v1
	s_and_saveexec_b32 s2, vcc_lo
	s_cbranch_execz .LBB36_23
; %bb.6:
	s_load_b256 s[4:11], s[0:1], 0x10
	v_ashrrev_i32_e32 v2, 31, v1
	v_and_b32_e32 v0, 7, v0
	s_cmp_lg_u32 s3, 0
	s_delay_alu instid0(VALU_DEP_2) | instskip(SKIP_1) | instid1(VALU_DEP_1)
	v_lshlrev_b64 v[2:3], 2, v[1:2]
	s_waitcnt lgkmcnt(0)
	v_add_co_u32 v2, vcc_lo, s4, v2
	s_delay_alu instid0(VALU_DEP_2) | instskip(SKIP_4) | instid1(VALU_DEP_2)
	v_add_co_ci_u32_e32 v3, vcc_lo, s5, v3, vcc_lo
	global_load_b64 v[2:3], v[2:3], off
	s_waitcnt vmcnt(0)
	v_subrev_nc_u32_e32 v2, s18, v2
	v_subrev_nc_u32_e32 v11, s18, v3
	v_add_nc_u32_e32 v2, v2, v0
	s_delay_alu instid0(VALU_DEP_1)
	v_cmp_lt_i32_e64 s2, v2, v11
	s_cbranch_scc0 .LBB36_12
; %bb.7:
	v_dual_mov_b32 v9, 0 :: v_dual_mov_b32 v10, 0
	s_mov_b32 s3, 0
	s_delay_alu instid0(VALU_DEP_2)
	s_and_saveexec_b32 s4, s2
	s_cbranch_execz .LBB36_11
; %bb.8:
	v_mad_u64_u32 v[3:4], null, v2, 18, 16
	v_dual_mov_b32 v6, 0 :: v_dual_mov_b32 v7, v2
	v_dual_mov_b32 v9, 0 :: v_dual_mov_b32 v10, 0
	s_mov_b32 s5, 0
.LBB36_9:                               ; =>This Inner Loop Header: Depth=1
	s_delay_alu instid0(VALU_DEP_2) | instskip(NEXT) | instid1(VALU_DEP_1)
	v_ashrrev_i32_e32 v8, 31, v7
	v_lshlrev_b64 v[4:5], 2, v[7:8]
	v_add_nc_u32_e32 v7, 8, v7
	s_delay_alu instid0(VALU_DEP_2) | instskip(NEXT) | instid1(VALU_DEP_3)
	v_add_co_u32 v4, vcc_lo, s6, v4
	v_add_co_ci_u32_e32 v5, vcc_lo, s7, v5, vcc_lo
	global_load_b32 v8, v[4:5], off
	v_dual_mov_b32 v4, v6 :: v_dual_add_nc_u32 v5, -16, v3
	s_delay_alu instid0(VALU_DEP_1) | instskip(SKIP_1) | instid1(VALU_DEP_3)
	v_lshlrev_b64 v[14:15], 2, v[5:6]
	v_add_nc_u32_e32 v5, -14, v3
	v_lshlrev_b64 v[16:17], 2, v[3:4]
	s_delay_alu instid0(VALU_DEP_2) | instskip(NEXT) | instid1(VALU_DEP_4)
	v_lshlrev_b64 v[4:5], 2, v[5:6]
	v_add_co_u32 v14, vcc_lo, s8, v14
	v_add_co_ci_u32_e32 v15, vcc_lo, s9, v15, vcc_lo
	s_delay_alu instid0(VALU_DEP_4)
	v_add_co_u32 v16, vcc_lo, s8, v16
	v_add_co_ci_u32_e32 v17, vcc_lo, s9, v17, vcc_lo
	v_add_co_u32 v4, vcc_lo, s8, v4
	v_add_co_ci_u32_e32 v5, vcc_lo, s9, v5, vcc_lo
	s_clause 0x1
	global_load_b64 v[14:15], v[14:15], off
	global_load_b64 v[18:19], v[4:5], off
	v_mov_b32_e32 v13, v6
	s_waitcnt vmcnt(2)
	v_subrev_nc_u32_e32 v4, s18, v8
	s_delay_alu instid0(VALU_DEP_1) | instskip(NEXT) | instid1(VALU_DEP_1)
	v_lshl_add_u32 v12, v4, 3, v4
	v_add_nc_u32_e32 v5, 1, v12
	v_lshlrev_b64 v[20:21], 2, v[12:13]
	s_delay_alu instid0(VALU_DEP_2) | instskip(SKIP_1) | instid1(VALU_DEP_3)
	v_lshlrev_b64 v[22:23], 2, v[5:6]
	v_add_nc_u32_e32 v5, -12, v3
	v_add_co_u32 v20, vcc_lo, s10, v20
	s_delay_alu instid0(VALU_DEP_4) | instskip(NEXT) | instid1(VALU_DEP_4)
	v_add_co_ci_u32_e32 v21, vcc_lo, s11, v21, vcc_lo
	v_add_co_u32 v22, vcc_lo, s10, v22
	s_delay_alu instid0(VALU_DEP_4)
	v_lshlrev_b64 v[24:25], 2, v[5:6]
	v_add_nc_u32_e32 v5, 2, v12
	v_add_co_ci_u32_e32 v23, vcc_lo, s11, v23, vcc_lo
	s_clause 0x1
	global_load_b32 v8, v[20:21], off
	global_load_b32 v36, v[22:23], off
	v_lshlrev_b64 v[20:21], 2, v[5:6]
	v_add_nc_u32_e32 v5, -10, v3
	v_add_co_u32 v22, vcc_lo, s8, v24
	v_add_co_ci_u32_e32 v23, vcc_lo, s9, v25, vcc_lo
	s_delay_alu instid0(VALU_DEP_3) | instskip(SKIP_3) | instid1(VALU_DEP_3)
	v_lshlrev_b64 v[24:25], 2, v[5:6]
	v_add_nc_u32_e32 v5, 3, v12
	v_add_co_u32 v20, vcc_lo, s10, v20
	v_add_co_ci_u32_e32 v21, vcc_lo, s11, v21, vcc_lo
	v_lshlrev_b64 v[26:27], 2, v[5:6]
	v_add_nc_u32_e32 v5, -8, v3
	global_load_b64 v[22:23], v[22:23], off
	global_load_b32 v37, v[20:21], off
	v_add_co_u32 v20, vcc_lo, s8, v24
	v_add_co_ci_u32_e32 v21, vcc_lo, s9, v25, vcc_lo
	v_lshlrev_b64 v[24:25], 2, v[5:6]
	v_add_nc_u32_e32 v5, 4, v12
	v_add_co_u32 v26, vcc_lo, s10, v26
	v_add_co_ci_u32_e32 v27, vcc_lo, s11, v27, vcc_lo
	s_delay_alu instid0(VALU_DEP_3) | instskip(SKIP_3) | instid1(VALU_DEP_4)
	v_lshlrev_b64 v[28:29], 2, v[5:6]
	v_add_co_u32 v24, vcc_lo, s8, v24
	v_add_co_ci_u32_e32 v25, vcc_lo, s9, v25, vcc_lo
	v_add_nc_u32_e32 v5, -6, v3
	v_add_co_u32 v28, vcc_lo, s10, v28
	v_add_co_ci_u32_e32 v29, vcc_lo, s11, v29, vcc_lo
	global_load_b32 v38, v[26:27], off
	s_clause 0x1
	global_load_b64 v[24:25], v[24:25], off
	global_load_b64 v[20:21], v[20:21], off
	global_load_b32 v39, v[28:29], off
	v_lshlrev_b64 v[26:27], 2, v[5:6]
	v_add_nc_u32_e32 v5, 5, v12
	s_delay_alu instid0(VALU_DEP_1) | instskip(SKIP_1) | instid1(VALU_DEP_4)
	v_lshlrev_b64 v[30:31], 2, v[5:6]
	v_add_nc_u32_e32 v5, -4, v3
	v_add_co_u32 v26, vcc_lo, s8, v26
	v_add_co_ci_u32_e32 v27, vcc_lo, s9, v27, vcc_lo
	s_delay_alu instid0(VALU_DEP_3) | instskip(SKIP_3) | instid1(VALU_DEP_3)
	v_lshlrev_b64 v[28:29], 2, v[5:6]
	v_add_nc_u32_e32 v5, 6, v12
	v_add_co_u32 v30, vcc_lo, s10, v30
	v_add_co_ci_u32_e32 v31, vcc_lo, s11, v31, vcc_lo
	v_lshlrev_b64 v[32:33], 2, v[5:6]
	v_add_co_u32 v28, vcc_lo, s8, v28
	v_add_co_ci_u32_e32 v29, vcc_lo, s9, v29, vcc_lo
	v_add_nc_u32_e32 v5, -2, v3
	s_delay_alu instid0(VALU_DEP_4)
	v_add_co_u32 v32, vcc_lo, s10, v32
	v_add_co_ci_u32_e32 v33, vcc_lo, s11, v33, vcc_lo
	global_load_b32 v40, v[30:31], off
	s_clause 0x1
	global_load_b64 v[26:27], v[26:27], off
	global_load_b64 v[28:29], v[28:29], off
	global_load_b32 v32, v[32:33], off
	v_lshlrev_b64 v[30:31], 2, v[5:6]
	v_add_nc_u32_e32 v5, 7, v12
	v_add_nc_u32_e32 v3, 0x90, v3
	s_delay_alu instid0(VALU_DEP_2) | instskip(SKIP_3) | instid1(VALU_DEP_3)
	v_lshlrev_b64 v[34:35], 2, v[5:6]
	v_add_nc_u32_e32 v5, 8, v12
	v_add_co_u32 v12, vcc_lo, s8, v30
	v_add_co_ci_u32_e32 v13, vcc_lo, s9, v31, vcc_lo
	v_lshlrev_b64 v[4:5], 2, v[5:6]
	v_add_co_u32 v30, vcc_lo, s10, v34
	v_add_co_ci_u32_e32 v31, vcc_lo, s11, v35, vcc_lo
	global_load_b64 v[12:13], v[12:13], off
	global_load_b32 v30, v[30:31], off
	v_add_co_u32 v4, vcc_lo, s10, v4
	v_add_co_ci_u32_e32 v5, vcc_lo, s11, v5, vcc_lo
	global_load_b64 v[16:17], v[16:17], off
	global_load_b32 v4, v[4:5], off
	v_cmp_ge_i32_e32 vcc_lo, v7, v11
	s_or_b32 s5, vcc_lo, s5
	s_waitcnt vmcnt(15)
	v_fmac_f32_e32 v9, v14, v8
	v_fmac_f32_e32 v10, v15, v8
	s_waitcnt vmcnt(14)
	s_delay_alu instid0(VALU_DEP_2) | instskip(SKIP_1) | instid1(VALU_DEP_1)
	v_fmac_f32_e32 v9, v18, v36
	s_waitcnt vmcnt(12)
	v_dual_fmac_f32 v10, v19, v36 :: v_dual_fmac_f32 v9, v22, v37
	s_waitcnt vmcnt(9)
	s_delay_alu instid0(VALU_DEP_1) | instskip(SKIP_1) | instid1(VALU_DEP_1)
	v_dual_fmac_f32 v10, v23, v37 :: v_dual_fmac_f32 v9, v20, v38
	s_waitcnt vmcnt(8)
	v_dual_fmac_f32 v10, v21, v38 :: v_dual_fmac_f32 v9, v24, v39
	s_waitcnt vmcnt(6)
	s_delay_alu instid0(VALU_DEP_1) | instskip(NEXT) | instid1(VALU_DEP_1)
	v_dual_fmac_f32 v10, v25, v39 :: v_dual_fmac_f32 v9, v26, v40
	v_fmac_f32_e32 v10, v27, v40
	s_waitcnt vmcnt(4)
	s_delay_alu instid0(VALU_DEP_2) | instskip(SKIP_1) | instid1(VALU_DEP_1)
	v_fmac_f32_e32 v9, v28, v32
	s_waitcnt vmcnt(2)
	v_dual_fmac_f32 v10, v29, v32 :: v_dual_fmac_f32 v9, v12, v30
	s_waitcnt vmcnt(0)
	s_delay_alu instid0(VALU_DEP_1) | instskip(NEXT) | instid1(VALU_DEP_1)
	v_dual_fmac_f32 v10, v13, v30 :: v_dual_fmac_f32 v9, v16, v4
	v_fmac_f32_e32 v10, v17, v4
	s_and_not1_b32 exec_lo, exec_lo, s5
	s_cbranch_execnz .LBB36_9
; %bb.10:
	s_or_b32 exec_lo, exec_lo, s5
.LBB36_11:
	s_delay_alu instid0(SALU_CYCLE_1) | instskip(NEXT) | instid1(SALU_CYCLE_1)
	s_or_b32 exec_lo, exec_lo, s4
	s_and_not1_b32 vcc_lo, exec_lo, s3
	s_cbranch_vccz .LBB36_13
	s_branch .LBB36_18
.LBB36_12:
                                        ; implicit-def: $vgpr9
                                        ; implicit-def: $vgpr10
.LBB36_13:
	v_dual_mov_b32 v9, 0 :: v_dual_mov_b32 v10, 0
	s_delay_alu instid0(VALU_DEP_2)
	s_and_saveexec_b32 s3, s2
	s_cbranch_execz .LBB36_17
; %bb.14:
	v_mad_u64_u32 v[4:5], null, v2, 18, 17
	v_dual_mov_b32 v7, 0 :: v_dual_mov_b32 v10, 0
	v_mov_b32_e32 v9, 0
	s_mov_b32 s2, 0
.LBB36_15:                              ; =>This Inner Loop Header: Depth=1
	v_ashrrev_i32_e32 v3, 31, v2
	s_delay_alu instid0(VALU_DEP_3) | instskip(SKIP_1) | instid1(VALU_DEP_3)
	v_dual_mov_b32 v13, v7 :: v_dual_add_nc_u32 v12, -8, v4
	v_mov_b32_e32 v14, v7
	v_lshlrev_b64 v[5:6], 2, v[2:3]
	v_add_nc_u32_e32 v2, 8, v2
	s_delay_alu instid0(VALU_DEP_4) | instskip(NEXT) | instid1(VALU_DEP_3)
	v_lshlrev_b64 v[12:13], 2, v[12:13]
	v_add_co_u32 v5, vcc_lo, s6, v5
	s_delay_alu instid0(VALU_DEP_4) | instskip(SKIP_2) | instid1(VALU_DEP_1)
	v_add_co_ci_u32_e32 v6, vcc_lo, s7, v6, vcc_lo
	global_load_b32 v3, v[5:6], off
	v_subrev_nc_u32_e32 v6, 17, v4
	v_lshlrev_b64 v[15:16], 2, v[6:7]
	s_delay_alu instid0(VALU_DEP_1) | instskip(NEXT) | instid1(VALU_DEP_2)
	v_add_co_u32 v15, vcc_lo, s8, v15
	v_add_co_ci_u32_e32 v16, vcc_lo, s9, v16, vcc_lo
	v_add_co_u32 v12, vcc_lo, s8, v12
	v_add_co_ci_u32_e32 v13, vcc_lo, s9, v13, vcc_lo
	s_clause 0x1
	global_load_b64 v[15:16], v[15:16], off
	global_load_b32 v8, v[12:13], off
	s_waitcnt vmcnt(2)
	v_subrev_nc_u32_e32 v3, s18, v3
	s_delay_alu instid0(VALU_DEP_1) | instskip(SKIP_1) | instid1(VALU_DEP_2)
	v_lshl_add_u32 v13, v3, 3, v3
	v_mov_b32_e32 v5, v7
	v_lshlrev_b64 v[19:20], 2, v[13:14]
	s_delay_alu instid0(VALU_DEP_2) | instskip(NEXT) | instid1(VALU_DEP_1)
	v_lshlrev_b64 v[5:6], 2, v[4:5]
	v_add_co_u32 v17, vcc_lo, s8, v5
	s_delay_alu instid0(VALU_DEP_2) | instskip(SKIP_3) | instid1(VALU_DEP_3)
	v_add_co_ci_u32_e32 v18, vcc_lo, s9, v6, vcc_lo
	v_add_nc_u32_e32 v6, 1, v13
	v_add_co_u32 v19, vcc_lo, s10, v19
	v_add_co_ci_u32_e32 v20, vcc_lo, s11, v20, vcc_lo
	v_lshlrev_b64 v[21:22], 2, v[6:7]
	global_load_b32 v3, v[19:20], off
	v_add_nc_u32_e32 v6, -7, v4
	v_add_co_u32 v19, vcc_lo, s10, v21
	v_add_co_ci_u32_e32 v20, vcc_lo, s11, v22, vcc_lo
	global_load_b32 v14, v[19:20], off
	s_waitcnt vmcnt(1)
	v_fmac_f32_e32 v9, v15, v3
	v_lshlrev_b64 v[23:24], 2, v[6:7]
	v_add_nc_u32_e32 v6, -15, v4
	v_fmac_f32_e32 v10, v8, v3
	s_delay_alu instid0(VALU_DEP_3) | instskip(NEXT) | instid1(VALU_DEP_4)
	v_add_co_u32 v23, vcc_lo, s8, v23
	v_add_co_ci_u32_e32 v24, vcc_lo, s9, v24, vcc_lo
	s_waitcnt vmcnt(0)
	v_fmac_f32_e32 v9, v16, v14
	v_lshlrev_b64 v[21:22], 2, v[6:7]
	v_add_nc_u32_e32 v6, 2, v13
	global_load_b32 v25, v[23:24], off
	v_lshlrev_b64 v[19:20], 2, v[6:7]
	v_add_co_u32 v21, vcc_lo, s8, v21
	v_add_nc_u32_e32 v6, -6, v4
	v_add_co_ci_u32_e32 v22, vcc_lo, s9, v22, vcc_lo
	s_delay_alu instid0(VALU_DEP_4)
	v_add_co_u32 v19, vcc_lo, s10, v19
	v_add_co_ci_u32_e32 v20, vcc_lo, s11, v20, vcc_lo
	global_load_b32 v26, v[21:22], off
	v_lshlrev_b64 v[23:24], 2, v[6:7]
	v_add_nc_u32_e32 v6, -14, v4
	global_load_b32 v27, v[19:20], off
	v_add_co_u32 v19, vcc_lo, s8, v23
	v_add_co_ci_u32_e32 v20, vcc_lo, s9, v24, vcc_lo
	global_load_b32 v28, v[19:20], off
	v_lshlrev_b64 v[21:22], 2, v[6:7]
	v_add_nc_u32_e32 v6, 3, v13
	s_delay_alu instid0(VALU_DEP_1) | instskip(SKIP_1) | instid1(VALU_DEP_4)
	v_lshlrev_b64 v[23:24], 2, v[6:7]
	v_add_nc_u32_e32 v6, -5, v4
	v_add_co_u32 v21, vcc_lo, s8, v21
	v_add_co_ci_u32_e32 v22, vcc_lo, s9, v22, vcc_lo
	s_delay_alu instid0(VALU_DEP_3)
	v_lshlrev_b64 v[19:20], 2, v[6:7]
	v_add_nc_u32_e32 v6, -13, v4
	global_load_b32 v29, v[21:22], off
	v_add_co_u32 v21, vcc_lo, s10, v23
	v_add_co_ci_u32_e32 v22, vcc_lo, s11, v24, vcc_lo
	v_lshlrev_b64 v[23:24], 2, v[6:7]
	v_add_nc_u32_e32 v6, 4, v13
	v_add_co_u32 v19, vcc_lo, s8, v19
	v_add_co_ci_u32_e32 v20, vcc_lo, s9, v20, vcc_lo
	global_load_b32 v30, v[21:22], off
	v_lshlrev_b64 v[21:22], 2, v[6:7]
	v_add_nc_u32_e32 v6, -4, v4
	global_load_b32 v31, v[19:20], off
	v_add_co_u32 v19, vcc_lo, s8, v23
	v_add_co_ci_u32_e32 v20, vcc_lo, s9, v24, vcc_lo
	v_lshlrev_b64 v[23:24], 2, v[6:7]
	v_add_nc_u32_e32 v6, -12, v4
	v_add_co_u32 v21, vcc_lo, s10, v21
	v_add_co_ci_u32_e32 v22, vcc_lo, s11, v22, vcc_lo
	global_load_b32 v32, v[19:20], off
	v_lshlrev_b64 v[19:20], 2, v[6:7]
	v_add_nc_u32_e32 v6, 5, v13
	global_load_b32 v33, v[21:22], off
	v_add_co_u32 v21, vcc_lo, s8, v23
	v_add_co_ci_u32_e32 v22, vcc_lo, s9, v24, vcc_lo
	v_add_co_u32 v19, vcc_lo, s8, v19
	v_lshlrev_b64 v[23:24], 2, v[6:7]
	v_add_nc_u32_e32 v6, -3, v4
	v_add_co_ci_u32_e32 v20, vcc_lo, s9, v20, vcc_lo
	s_clause 0x1
	global_load_b32 v34, v[21:22], off
	global_load_b32 v35, v[19:20], off
	v_lshlrev_b64 v[21:22], 2, v[6:7]
	v_add_nc_u32_e32 v6, -11, v4
	v_add_co_u32 v19, vcc_lo, s10, v23
	v_add_co_ci_u32_e32 v20, vcc_lo, s11, v24, vcc_lo
	s_delay_alu instid0(VALU_DEP_3)
	v_lshlrev_b64 v[23:24], 2, v[6:7]
	v_add_nc_u32_e32 v6, 6, v13
	v_add_co_u32 v21, vcc_lo, s8, v21
	v_add_co_ci_u32_e32 v22, vcc_lo, s9, v22, vcc_lo
	global_load_b32 v36, v[19:20], off
	v_lshlrev_b64 v[19:20], 2, v[6:7]
	v_add_nc_u32_e32 v6, -2, v4
	global_load_b32 v37, v[21:22], off
	v_add_co_u32 v21, vcc_lo, s8, v23
	v_add_co_ci_u32_e32 v22, vcc_lo, s9, v24, vcc_lo
	v_add_co_u32 v19, vcc_lo, s10, v19
	v_lshlrev_b64 v[23:24], 2, v[6:7]
	v_add_co_ci_u32_e32 v20, vcc_lo, s11, v20, vcc_lo
	v_add_nc_u32_e32 v6, -10, v4
	global_load_b32 v38, v[21:22], off
	global_load_b32 v39, v[19:20], off
	v_add_co_u32 v19, vcc_lo, s8, v23
	v_add_co_ci_u32_e32 v20, vcc_lo, s9, v24, vcc_lo
	global_load_b32 v40, v[19:20], off
	v_lshlrev_b64 v[21:22], 2, v[6:7]
	v_add_nc_u32_e32 v6, 7, v13
	s_delay_alu instid0(VALU_DEP_1) | instskip(SKIP_1) | instid1(VALU_DEP_4)
	v_lshlrev_b64 v[23:24], 2, v[6:7]
	v_add_nc_u32_e32 v6, -1, v4
	v_add_co_u32 v21, vcc_lo, s8, v21
	v_add_co_ci_u32_e32 v22, vcc_lo, s9, v22, vcc_lo
	s_delay_alu instid0(VALU_DEP_3)
	v_lshlrev_b64 v[19:20], 2, v[6:7]
	v_add_nc_u32_e32 v6, -9, v4
	v_add_nc_u32_e32 v4, 0x90, v4
	global_load_b32 v41, v[21:22], off
	v_add_co_u32 v21, vcc_lo, s10, v23
	v_add_co_ci_u32_e32 v22, vcc_lo, s11, v24, vcc_lo
	v_lshlrev_b64 v[23:24], 2, v[6:7]
	v_add_nc_u32_e32 v6, 8, v13
	v_add_co_u32 v12, vcc_lo, s8, v19
	v_add_co_ci_u32_e32 v13, vcc_lo, s9, v20, vcc_lo
	s_delay_alu instid0(VALU_DEP_3)
	v_lshlrev_b64 v[5:6], 2, v[6:7]
	global_load_b32 v19, v[21:22], off
	global_load_b32 v20, v[12:13], off
	v_add_co_u32 v12, vcc_lo, s8, v23
	v_add_co_ci_u32_e32 v13, vcc_lo, s9, v24, vcc_lo
	v_add_co_u32 v5, vcc_lo, s10, v5
	v_add_co_ci_u32_e32 v6, vcc_lo, s11, v6, vcc_lo
	s_clause 0x1
	global_load_b32 v17, v[17:18], off
	global_load_b32 v12, v[12:13], off
	;; [unrolled: 1-line block ×3, first 2 shown]
	v_cmp_ge_i32_e32 vcc_lo, v2, v11
	s_or_b32 s2, vcc_lo, s2
	s_waitcnt vmcnt(19)
	v_dual_fmac_f32 v10, v25, v14 :: v_dual_fmac_f32 v9, v26, v27
	s_waitcnt vmcnt(16)
	s_delay_alu instid0(VALU_DEP_1) | instskip(SKIP_1) | instid1(VALU_DEP_1)
	v_dual_fmac_f32 v10, v28, v27 :: v_dual_fmac_f32 v9, v29, v30
	s_waitcnt vmcnt(13)
	v_dual_fmac_f32 v10, v31, v30 :: v_dual_fmac_f32 v9, v32, v33
	s_waitcnt vmcnt(10)
	s_delay_alu instid0(VALU_DEP_1) | instskip(SKIP_1) | instid1(VALU_DEP_1)
	v_dual_fmac_f32 v10, v34, v33 :: v_dual_fmac_f32 v9, v35, v36
	s_waitcnt vmcnt(7)
	v_dual_fmac_f32 v10, v37, v36 :: v_dual_fmac_f32 v9, v38, v39
	s_waitcnt vmcnt(6)
	s_delay_alu instid0(VALU_DEP_1) | instskip(SKIP_1) | instid1(VALU_DEP_2)
	v_fmac_f32_e32 v10, v40, v39
	s_waitcnt vmcnt(4)
	v_fmac_f32_e32 v9, v41, v19
	s_waitcnt vmcnt(3)
	s_delay_alu instid0(VALU_DEP_2) | instskip(SKIP_1) | instid1(VALU_DEP_2)
	v_fmac_f32_e32 v10, v20, v19
	s_waitcnt vmcnt(0)
	v_fmac_f32_e32 v9, v12, v5
	s_delay_alu instid0(VALU_DEP_2)
	v_fmac_f32_e32 v10, v17, v5
	s_and_not1_b32 exec_lo, exec_lo, s2
	s_cbranch_execnz .LBB36_15
; %bb.16:
	s_or_b32 exec_lo, exec_lo, s2
.LBB36_17:
	s_delay_alu instid0(SALU_CYCLE_1)
	s_or_b32 exec_lo, exec_lo, s3
.LBB36_18:
	v_mbcnt_lo_u32_b32 v2, -1, 0
	s_mov_b32 s2, -1
	s_delay_alu instid0(VALU_DEP_1) | instskip(SKIP_2) | instid1(VALU_DEP_3)
	v_xor_b32_e32 v3, 4, v2
	v_xor_b32_e32 v5, 2, v2
	;; [unrolled: 1-line block ×3, first 2 shown]
	v_cmp_gt_i32_e32 vcc_lo, 32, v3
	v_cndmask_b32_e32 v3, v2, v3, vcc_lo
	s_delay_alu instid0(VALU_DEP_4) | instskip(NEXT) | instid1(VALU_DEP_2)
	v_cmp_gt_i32_e32 vcc_lo, 32, v5
	v_lshlrev_b32_e32 v3, 2, v3
	v_cndmask_b32_e32 v5, v2, v5, vcc_lo
	v_cmp_gt_i32_e32 vcc_lo, 32, v7
	ds_bpermute_b32 v4, v3, v9
	v_dual_cndmask_b32 v2, v2, v7 :: v_dual_lshlrev_b32 v5, 2, v5
	v_cmp_eq_u32_e32 vcc_lo, 7, v0
	s_waitcnt lgkmcnt(0)
	s_delay_alu instid0(VALU_DEP_2)
	v_dual_add_f32 v4, v9, v4 :: v_dual_lshlrev_b32 v7, 2, v2
	ds_bpermute_b32 v6, v5, v4
	s_waitcnt lgkmcnt(0)
	v_add_f32_e32 v2, v4, v6
	ds_bpermute_b32 v3, v3, v10
	ds_bpermute_b32 v4, v7, v2
	s_waitcnt lgkmcnt(1)
	v_add_f32_e32 v3, v10, v3
	ds_bpermute_b32 v5, v5, v3
	s_waitcnt lgkmcnt(0)
	v_add_f32_e32 v3, v3, v5
	ds_bpermute_b32 v5, v7, v3
	s_and_b32 exec_lo, exec_lo, vcc_lo
	s_cbranch_execz .LBB36_23
; %bb.19:
	s_load_b64 s[0:1], s[0:1], 0x38
	s_waitcnt lgkmcnt(0)
	v_dual_add_f32 v0, v2, v4 :: v_dual_add_f32 v3, v3, v5
	v_cmp_eq_f32_e64 s3, s12, 0
	s_delay_alu instid0(VALU_DEP_2) | instskip(SKIP_1) | instid1(VALU_DEP_3)
	v_dual_mul_f32 v2, s16, v0 :: v_dual_mul_f32 v3, s16, v3
	v_lshlrev_b32_e32 v0, 1, v1
	s_and_b32 vcc_lo, exec_lo, s3
	s_cbranch_vccz .LBB36_21
; %bb.20:
	s_delay_alu instid0(VALU_DEP_1) | instskip(SKIP_1) | instid1(VALU_DEP_1)
	v_ashrrev_i32_e32 v1, 31, v0
	s_mov_b32 s2, 0
	v_lshlrev_b64 v[4:5], 2, v[0:1]
	s_delay_alu instid0(VALU_DEP_1) | instskip(NEXT) | instid1(VALU_DEP_2)
	v_add_co_u32 v4, vcc_lo, s0, v4
	v_add_co_ci_u32_e32 v5, vcc_lo, s1, v5, vcc_lo
	global_store_b64 v[4:5], v[2:3], off
.LBB36_21:
	s_and_not1_b32 vcc_lo, exec_lo, s2
	s_cbranch_vccnz .LBB36_23
; %bb.22:
	v_ashrrev_i32_e32 v1, 31, v0
	s_delay_alu instid0(VALU_DEP_1) | instskip(NEXT) | instid1(VALU_DEP_1)
	v_lshlrev_b64 v[0:1], 2, v[0:1]
	v_add_co_u32 v0, vcc_lo, s0, v0
	s_delay_alu instid0(VALU_DEP_2)
	v_add_co_ci_u32_e32 v1, vcc_lo, s1, v1, vcc_lo
	global_load_b64 v[4:5], v[0:1], off
	s_waitcnt vmcnt(0)
	v_dual_fmac_f32 v2, s12, v4 :: v_dual_fmac_f32 v3, s12, v5
	global_store_b64 v[0:1], v[2:3], off
.LBB36_23:
	s_nop 0
	s_sendmsg sendmsg(MSG_DEALLOC_VGPRS)
	s_endpgm
	.section	.rodata,"a",@progbits
	.p2align	6, 0x0
	.amdhsa_kernel _ZN9rocsparseL19gebsrmvn_2xn_kernelILj128ELj9ELj8EfEEvi20rocsparse_direction_NS_24const_host_device_scalarIT2_EEPKiS6_PKS3_S8_S4_PS3_21rocsparse_index_base_b
		.amdhsa_group_segment_fixed_size 0
		.amdhsa_private_segment_fixed_size 0
		.amdhsa_kernarg_size 72
		.amdhsa_user_sgpr_count 15
		.amdhsa_user_sgpr_dispatch_ptr 0
		.amdhsa_user_sgpr_queue_ptr 0
		.amdhsa_user_sgpr_kernarg_segment_ptr 1
		.amdhsa_user_sgpr_dispatch_id 0
		.amdhsa_user_sgpr_private_segment_size 0
		.amdhsa_wavefront_size32 1
		.amdhsa_uses_dynamic_stack 0
		.amdhsa_enable_private_segment 0
		.amdhsa_system_sgpr_workgroup_id_x 1
		.amdhsa_system_sgpr_workgroup_id_y 0
		.amdhsa_system_sgpr_workgroup_id_z 0
		.amdhsa_system_sgpr_workgroup_info 0
		.amdhsa_system_vgpr_workitem_id 0
		.amdhsa_next_free_vgpr 42
		.amdhsa_next_free_sgpr 20
		.amdhsa_reserve_vcc 1
		.amdhsa_float_round_mode_32 0
		.amdhsa_float_round_mode_16_64 0
		.amdhsa_float_denorm_mode_32 3
		.amdhsa_float_denorm_mode_16_64 3
		.amdhsa_dx10_clamp 1
		.amdhsa_ieee_mode 1
		.amdhsa_fp16_overflow 0
		.amdhsa_workgroup_processor_mode 1
		.amdhsa_memory_ordered 1
		.amdhsa_forward_progress 0
		.amdhsa_shared_vgpr_count 0
		.amdhsa_exception_fp_ieee_invalid_op 0
		.amdhsa_exception_fp_denorm_src 0
		.amdhsa_exception_fp_ieee_div_zero 0
		.amdhsa_exception_fp_ieee_overflow 0
		.amdhsa_exception_fp_ieee_underflow 0
		.amdhsa_exception_fp_ieee_inexact 0
		.amdhsa_exception_int_div_zero 0
	.end_amdhsa_kernel
	.section	.text._ZN9rocsparseL19gebsrmvn_2xn_kernelILj128ELj9ELj8EfEEvi20rocsparse_direction_NS_24const_host_device_scalarIT2_EEPKiS6_PKS3_S8_S4_PS3_21rocsparse_index_base_b,"axG",@progbits,_ZN9rocsparseL19gebsrmvn_2xn_kernelILj128ELj9ELj8EfEEvi20rocsparse_direction_NS_24const_host_device_scalarIT2_EEPKiS6_PKS3_S8_S4_PS3_21rocsparse_index_base_b,comdat
.Lfunc_end36:
	.size	_ZN9rocsparseL19gebsrmvn_2xn_kernelILj128ELj9ELj8EfEEvi20rocsparse_direction_NS_24const_host_device_scalarIT2_EEPKiS6_PKS3_S8_S4_PS3_21rocsparse_index_base_b, .Lfunc_end36-_ZN9rocsparseL19gebsrmvn_2xn_kernelILj128ELj9ELj8EfEEvi20rocsparse_direction_NS_24const_host_device_scalarIT2_EEPKiS6_PKS3_S8_S4_PS3_21rocsparse_index_base_b
                                        ; -- End function
	.section	.AMDGPU.csdata,"",@progbits
; Kernel info:
; codeLenInByte = 2696
; NumSgprs: 22
; NumVgprs: 42
; ScratchSize: 0
; MemoryBound: 0
; FloatMode: 240
; IeeeMode: 1
; LDSByteSize: 0 bytes/workgroup (compile time only)
; SGPRBlocks: 2
; VGPRBlocks: 5
; NumSGPRsForWavesPerEU: 22
; NumVGPRsForWavesPerEU: 42
; Occupancy: 16
; WaveLimiterHint : 1
; COMPUTE_PGM_RSRC2:SCRATCH_EN: 0
; COMPUTE_PGM_RSRC2:USER_SGPR: 15
; COMPUTE_PGM_RSRC2:TRAP_HANDLER: 0
; COMPUTE_PGM_RSRC2:TGID_X_EN: 1
; COMPUTE_PGM_RSRC2:TGID_Y_EN: 0
; COMPUTE_PGM_RSRC2:TGID_Z_EN: 0
; COMPUTE_PGM_RSRC2:TIDIG_COMP_CNT: 0
	.section	.text._ZN9rocsparseL19gebsrmvn_2xn_kernelILj128ELj9ELj16EfEEvi20rocsparse_direction_NS_24const_host_device_scalarIT2_EEPKiS6_PKS3_S8_S4_PS3_21rocsparse_index_base_b,"axG",@progbits,_ZN9rocsparseL19gebsrmvn_2xn_kernelILj128ELj9ELj16EfEEvi20rocsparse_direction_NS_24const_host_device_scalarIT2_EEPKiS6_PKS3_S8_S4_PS3_21rocsparse_index_base_b,comdat
	.globl	_ZN9rocsparseL19gebsrmvn_2xn_kernelILj128ELj9ELj16EfEEvi20rocsparse_direction_NS_24const_host_device_scalarIT2_EEPKiS6_PKS3_S8_S4_PS3_21rocsparse_index_base_b ; -- Begin function _ZN9rocsparseL19gebsrmvn_2xn_kernelILj128ELj9ELj16EfEEvi20rocsparse_direction_NS_24const_host_device_scalarIT2_EEPKiS6_PKS3_S8_S4_PS3_21rocsparse_index_base_b
	.p2align	8
	.type	_ZN9rocsparseL19gebsrmvn_2xn_kernelILj128ELj9ELj16EfEEvi20rocsparse_direction_NS_24const_host_device_scalarIT2_EEPKiS6_PKS3_S8_S4_PS3_21rocsparse_index_base_b,@function
_ZN9rocsparseL19gebsrmvn_2xn_kernelILj128ELj9ELj16EfEEvi20rocsparse_direction_NS_24const_host_device_scalarIT2_EEPKiS6_PKS3_S8_S4_PS3_21rocsparse_index_base_b: ; @_ZN9rocsparseL19gebsrmvn_2xn_kernelILj128ELj9ELj16EfEEvi20rocsparse_direction_NS_24const_host_device_scalarIT2_EEPKiS6_PKS3_S8_S4_PS3_21rocsparse_index_base_b
; %bb.0:
	s_clause 0x2
	s_load_b64 s[18:19], s[0:1], 0x40
	s_load_b64 s[16:17], s[0:1], 0x8
	s_load_b64 s[12:13], s[0:1], 0x30
	s_waitcnt lgkmcnt(0)
	s_bitcmp1_b32 s19, 0
	s_cselect_b32 s2, -1, 0
	s_delay_alu instid0(SALU_CYCLE_1)
	s_and_b32 vcc_lo, exec_lo, s2
	s_xor_b32 s2, s2, -1
	s_cbranch_vccnz .LBB37_2
; %bb.1:
	s_load_b32 s16, s[16:17], 0x0
.LBB37_2:
	s_and_not1_b32 vcc_lo, exec_lo, s2
	s_cbranch_vccnz .LBB37_4
; %bb.3:
	s_load_b32 s12, s[12:13], 0x0
.LBB37_4:
	s_waitcnt lgkmcnt(0)
	v_cmp_eq_f32_e64 s2, s16, 0
	v_cmp_eq_f32_e64 s3, s12, 1.0
	s_delay_alu instid0(VALU_DEP_1) | instskip(NEXT) | instid1(SALU_CYCLE_1)
	s_and_b32 s2, s2, s3
	s_and_b32 vcc_lo, exec_lo, s2
	s_cbranch_vccnz .LBB37_23
; %bb.5:
	s_load_b64 s[2:3], s[0:1], 0x0
	v_lshrrev_b32_e32 v1, 4, v0
	s_delay_alu instid0(VALU_DEP_1) | instskip(SKIP_1) | instid1(VALU_DEP_1)
	v_lshl_or_b32 v1, s15, 3, v1
	s_waitcnt lgkmcnt(0)
	v_cmp_gt_i32_e32 vcc_lo, s2, v1
	s_and_saveexec_b32 s2, vcc_lo
	s_cbranch_execz .LBB37_23
; %bb.6:
	s_load_b256 s[4:11], s[0:1], 0x10
	v_ashrrev_i32_e32 v2, 31, v1
	v_and_b32_e32 v0, 15, v0
	s_cmp_lg_u32 s3, 0
	s_delay_alu instid0(VALU_DEP_2) | instskip(SKIP_1) | instid1(VALU_DEP_1)
	v_lshlrev_b64 v[2:3], 2, v[1:2]
	s_waitcnt lgkmcnt(0)
	v_add_co_u32 v2, vcc_lo, s4, v2
	s_delay_alu instid0(VALU_DEP_2) | instskip(SKIP_4) | instid1(VALU_DEP_2)
	v_add_co_ci_u32_e32 v3, vcc_lo, s5, v3, vcc_lo
	global_load_b64 v[2:3], v[2:3], off
	s_waitcnt vmcnt(0)
	v_subrev_nc_u32_e32 v2, s18, v2
	v_subrev_nc_u32_e32 v11, s18, v3
	v_add_nc_u32_e32 v2, v2, v0
	s_delay_alu instid0(VALU_DEP_1)
	v_cmp_lt_i32_e64 s2, v2, v11
	s_cbranch_scc0 .LBB37_12
; %bb.7:
	v_dual_mov_b32 v9, 0 :: v_dual_mov_b32 v10, 0
	s_mov_b32 s3, 0
	s_delay_alu instid0(VALU_DEP_2)
	s_and_saveexec_b32 s4, s2
	s_cbranch_execz .LBB37_11
; %bb.8:
	v_mad_u64_u32 v[3:4], null, v2, 18, 16
	v_dual_mov_b32 v6, 0 :: v_dual_mov_b32 v7, v2
	v_dual_mov_b32 v9, 0 :: v_dual_mov_b32 v10, 0
	s_mov_b32 s5, 0
.LBB37_9:                               ; =>This Inner Loop Header: Depth=1
	s_delay_alu instid0(VALU_DEP_2) | instskip(NEXT) | instid1(VALU_DEP_1)
	v_ashrrev_i32_e32 v8, 31, v7
	v_lshlrev_b64 v[4:5], 2, v[7:8]
	v_add_nc_u32_e32 v7, 16, v7
	s_delay_alu instid0(VALU_DEP_2) | instskip(NEXT) | instid1(VALU_DEP_3)
	v_add_co_u32 v4, vcc_lo, s6, v4
	v_add_co_ci_u32_e32 v5, vcc_lo, s7, v5, vcc_lo
	global_load_b32 v8, v[4:5], off
	v_dual_mov_b32 v4, v6 :: v_dual_add_nc_u32 v5, -16, v3
	s_delay_alu instid0(VALU_DEP_1) | instskip(SKIP_1) | instid1(VALU_DEP_3)
	v_lshlrev_b64 v[14:15], 2, v[5:6]
	v_add_nc_u32_e32 v5, -14, v3
	v_lshlrev_b64 v[16:17], 2, v[3:4]
	s_delay_alu instid0(VALU_DEP_2) | instskip(NEXT) | instid1(VALU_DEP_4)
	v_lshlrev_b64 v[4:5], 2, v[5:6]
	v_add_co_u32 v14, vcc_lo, s8, v14
	v_add_co_ci_u32_e32 v15, vcc_lo, s9, v15, vcc_lo
	s_delay_alu instid0(VALU_DEP_4)
	v_add_co_u32 v16, vcc_lo, s8, v16
	v_add_co_ci_u32_e32 v17, vcc_lo, s9, v17, vcc_lo
	v_add_co_u32 v4, vcc_lo, s8, v4
	v_add_co_ci_u32_e32 v5, vcc_lo, s9, v5, vcc_lo
	s_clause 0x1
	global_load_b64 v[14:15], v[14:15], off
	global_load_b64 v[18:19], v[4:5], off
	v_mov_b32_e32 v13, v6
	s_waitcnt vmcnt(2)
	v_subrev_nc_u32_e32 v4, s18, v8
	s_delay_alu instid0(VALU_DEP_1) | instskip(NEXT) | instid1(VALU_DEP_1)
	v_lshl_add_u32 v12, v4, 3, v4
	v_add_nc_u32_e32 v5, 1, v12
	v_lshlrev_b64 v[20:21], 2, v[12:13]
	s_delay_alu instid0(VALU_DEP_2) | instskip(SKIP_1) | instid1(VALU_DEP_3)
	v_lshlrev_b64 v[22:23], 2, v[5:6]
	v_add_nc_u32_e32 v5, -12, v3
	v_add_co_u32 v20, vcc_lo, s10, v20
	s_delay_alu instid0(VALU_DEP_4) | instskip(NEXT) | instid1(VALU_DEP_4)
	v_add_co_ci_u32_e32 v21, vcc_lo, s11, v21, vcc_lo
	v_add_co_u32 v22, vcc_lo, s10, v22
	s_delay_alu instid0(VALU_DEP_4)
	v_lshlrev_b64 v[24:25], 2, v[5:6]
	v_add_nc_u32_e32 v5, 2, v12
	v_add_co_ci_u32_e32 v23, vcc_lo, s11, v23, vcc_lo
	s_clause 0x1
	global_load_b32 v8, v[20:21], off
	global_load_b32 v36, v[22:23], off
	v_lshlrev_b64 v[20:21], 2, v[5:6]
	v_add_nc_u32_e32 v5, -10, v3
	v_add_co_u32 v22, vcc_lo, s8, v24
	v_add_co_ci_u32_e32 v23, vcc_lo, s9, v25, vcc_lo
	s_delay_alu instid0(VALU_DEP_3) | instskip(SKIP_3) | instid1(VALU_DEP_3)
	v_lshlrev_b64 v[24:25], 2, v[5:6]
	v_add_nc_u32_e32 v5, 3, v12
	v_add_co_u32 v20, vcc_lo, s10, v20
	v_add_co_ci_u32_e32 v21, vcc_lo, s11, v21, vcc_lo
	v_lshlrev_b64 v[26:27], 2, v[5:6]
	v_add_nc_u32_e32 v5, -8, v3
	global_load_b64 v[22:23], v[22:23], off
	global_load_b32 v37, v[20:21], off
	v_add_co_u32 v20, vcc_lo, s8, v24
	v_add_co_ci_u32_e32 v21, vcc_lo, s9, v25, vcc_lo
	v_lshlrev_b64 v[24:25], 2, v[5:6]
	v_add_nc_u32_e32 v5, 4, v12
	v_add_co_u32 v26, vcc_lo, s10, v26
	v_add_co_ci_u32_e32 v27, vcc_lo, s11, v27, vcc_lo
	s_delay_alu instid0(VALU_DEP_3) | instskip(SKIP_3) | instid1(VALU_DEP_4)
	v_lshlrev_b64 v[28:29], 2, v[5:6]
	v_add_co_u32 v24, vcc_lo, s8, v24
	v_add_co_ci_u32_e32 v25, vcc_lo, s9, v25, vcc_lo
	v_add_nc_u32_e32 v5, -6, v3
	v_add_co_u32 v28, vcc_lo, s10, v28
	v_add_co_ci_u32_e32 v29, vcc_lo, s11, v29, vcc_lo
	global_load_b32 v38, v[26:27], off
	s_clause 0x1
	global_load_b64 v[24:25], v[24:25], off
	global_load_b64 v[20:21], v[20:21], off
	global_load_b32 v39, v[28:29], off
	v_lshlrev_b64 v[26:27], 2, v[5:6]
	v_add_nc_u32_e32 v5, 5, v12
	s_delay_alu instid0(VALU_DEP_1) | instskip(SKIP_1) | instid1(VALU_DEP_4)
	v_lshlrev_b64 v[30:31], 2, v[5:6]
	v_add_nc_u32_e32 v5, -4, v3
	v_add_co_u32 v26, vcc_lo, s8, v26
	v_add_co_ci_u32_e32 v27, vcc_lo, s9, v27, vcc_lo
	s_delay_alu instid0(VALU_DEP_3) | instskip(SKIP_3) | instid1(VALU_DEP_3)
	v_lshlrev_b64 v[28:29], 2, v[5:6]
	v_add_nc_u32_e32 v5, 6, v12
	v_add_co_u32 v30, vcc_lo, s10, v30
	v_add_co_ci_u32_e32 v31, vcc_lo, s11, v31, vcc_lo
	v_lshlrev_b64 v[32:33], 2, v[5:6]
	v_add_co_u32 v28, vcc_lo, s8, v28
	v_add_co_ci_u32_e32 v29, vcc_lo, s9, v29, vcc_lo
	v_add_nc_u32_e32 v5, -2, v3
	s_delay_alu instid0(VALU_DEP_4)
	v_add_co_u32 v32, vcc_lo, s10, v32
	v_add_co_ci_u32_e32 v33, vcc_lo, s11, v33, vcc_lo
	global_load_b32 v40, v[30:31], off
	s_clause 0x1
	global_load_b64 v[26:27], v[26:27], off
	global_load_b64 v[28:29], v[28:29], off
	global_load_b32 v32, v[32:33], off
	v_lshlrev_b64 v[30:31], 2, v[5:6]
	v_add_nc_u32_e32 v5, 7, v12
	v_add_nc_u32_e32 v3, 0x120, v3
	s_delay_alu instid0(VALU_DEP_2) | instskip(SKIP_3) | instid1(VALU_DEP_3)
	v_lshlrev_b64 v[34:35], 2, v[5:6]
	v_add_nc_u32_e32 v5, 8, v12
	v_add_co_u32 v12, vcc_lo, s8, v30
	v_add_co_ci_u32_e32 v13, vcc_lo, s9, v31, vcc_lo
	v_lshlrev_b64 v[4:5], 2, v[5:6]
	v_add_co_u32 v30, vcc_lo, s10, v34
	v_add_co_ci_u32_e32 v31, vcc_lo, s11, v35, vcc_lo
	global_load_b64 v[12:13], v[12:13], off
	global_load_b32 v30, v[30:31], off
	v_add_co_u32 v4, vcc_lo, s10, v4
	v_add_co_ci_u32_e32 v5, vcc_lo, s11, v5, vcc_lo
	global_load_b64 v[16:17], v[16:17], off
	global_load_b32 v4, v[4:5], off
	v_cmp_ge_i32_e32 vcc_lo, v7, v11
	s_or_b32 s5, vcc_lo, s5
	s_waitcnt vmcnt(15)
	v_fmac_f32_e32 v9, v14, v8
	v_fmac_f32_e32 v10, v15, v8
	s_waitcnt vmcnt(14)
	s_delay_alu instid0(VALU_DEP_2) | instskip(SKIP_1) | instid1(VALU_DEP_1)
	v_fmac_f32_e32 v9, v18, v36
	s_waitcnt vmcnt(12)
	v_dual_fmac_f32 v10, v19, v36 :: v_dual_fmac_f32 v9, v22, v37
	s_waitcnt vmcnt(9)
	s_delay_alu instid0(VALU_DEP_1) | instskip(SKIP_1) | instid1(VALU_DEP_1)
	v_dual_fmac_f32 v10, v23, v37 :: v_dual_fmac_f32 v9, v20, v38
	s_waitcnt vmcnt(8)
	v_dual_fmac_f32 v10, v21, v38 :: v_dual_fmac_f32 v9, v24, v39
	s_waitcnt vmcnt(6)
	s_delay_alu instid0(VALU_DEP_1) | instskip(NEXT) | instid1(VALU_DEP_1)
	v_dual_fmac_f32 v10, v25, v39 :: v_dual_fmac_f32 v9, v26, v40
	v_fmac_f32_e32 v10, v27, v40
	s_waitcnt vmcnt(4)
	s_delay_alu instid0(VALU_DEP_2) | instskip(SKIP_1) | instid1(VALU_DEP_1)
	v_fmac_f32_e32 v9, v28, v32
	s_waitcnt vmcnt(2)
	v_dual_fmac_f32 v10, v29, v32 :: v_dual_fmac_f32 v9, v12, v30
	s_waitcnt vmcnt(0)
	s_delay_alu instid0(VALU_DEP_1) | instskip(NEXT) | instid1(VALU_DEP_1)
	v_dual_fmac_f32 v10, v13, v30 :: v_dual_fmac_f32 v9, v16, v4
	v_fmac_f32_e32 v10, v17, v4
	s_and_not1_b32 exec_lo, exec_lo, s5
	s_cbranch_execnz .LBB37_9
; %bb.10:
	s_or_b32 exec_lo, exec_lo, s5
.LBB37_11:
	s_delay_alu instid0(SALU_CYCLE_1) | instskip(NEXT) | instid1(SALU_CYCLE_1)
	s_or_b32 exec_lo, exec_lo, s4
	s_and_not1_b32 vcc_lo, exec_lo, s3
	s_cbranch_vccz .LBB37_13
	s_branch .LBB37_18
.LBB37_12:
                                        ; implicit-def: $vgpr9
                                        ; implicit-def: $vgpr10
.LBB37_13:
	v_dual_mov_b32 v9, 0 :: v_dual_mov_b32 v10, 0
	s_delay_alu instid0(VALU_DEP_2)
	s_and_saveexec_b32 s3, s2
	s_cbranch_execz .LBB37_17
; %bb.14:
	v_mad_u64_u32 v[4:5], null, v2, 18, 17
	v_dual_mov_b32 v7, 0 :: v_dual_mov_b32 v10, 0
	v_mov_b32_e32 v9, 0
	s_mov_b32 s2, 0
.LBB37_15:                              ; =>This Inner Loop Header: Depth=1
	v_ashrrev_i32_e32 v3, 31, v2
	s_delay_alu instid0(VALU_DEP_3) | instskip(SKIP_1) | instid1(VALU_DEP_3)
	v_dual_mov_b32 v13, v7 :: v_dual_add_nc_u32 v12, -8, v4
	v_mov_b32_e32 v14, v7
	v_lshlrev_b64 v[5:6], 2, v[2:3]
	v_add_nc_u32_e32 v2, 16, v2
	s_delay_alu instid0(VALU_DEP_4) | instskip(NEXT) | instid1(VALU_DEP_3)
	v_lshlrev_b64 v[12:13], 2, v[12:13]
	v_add_co_u32 v5, vcc_lo, s6, v5
	s_delay_alu instid0(VALU_DEP_4) | instskip(SKIP_2) | instid1(VALU_DEP_1)
	v_add_co_ci_u32_e32 v6, vcc_lo, s7, v6, vcc_lo
	global_load_b32 v3, v[5:6], off
	v_subrev_nc_u32_e32 v6, 17, v4
	v_lshlrev_b64 v[15:16], 2, v[6:7]
	s_delay_alu instid0(VALU_DEP_1) | instskip(NEXT) | instid1(VALU_DEP_2)
	v_add_co_u32 v15, vcc_lo, s8, v15
	v_add_co_ci_u32_e32 v16, vcc_lo, s9, v16, vcc_lo
	v_add_co_u32 v12, vcc_lo, s8, v12
	v_add_co_ci_u32_e32 v13, vcc_lo, s9, v13, vcc_lo
	s_clause 0x1
	global_load_b64 v[15:16], v[15:16], off
	global_load_b32 v8, v[12:13], off
	s_waitcnt vmcnt(2)
	v_subrev_nc_u32_e32 v3, s18, v3
	s_delay_alu instid0(VALU_DEP_1) | instskip(SKIP_1) | instid1(VALU_DEP_2)
	v_lshl_add_u32 v13, v3, 3, v3
	v_mov_b32_e32 v5, v7
	v_lshlrev_b64 v[19:20], 2, v[13:14]
	s_delay_alu instid0(VALU_DEP_2) | instskip(NEXT) | instid1(VALU_DEP_1)
	v_lshlrev_b64 v[5:6], 2, v[4:5]
	v_add_co_u32 v17, vcc_lo, s8, v5
	s_delay_alu instid0(VALU_DEP_2) | instskip(SKIP_3) | instid1(VALU_DEP_3)
	v_add_co_ci_u32_e32 v18, vcc_lo, s9, v6, vcc_lo
	v_add_nc_u32_e32 v6, 1, v13
	v_add_co_u32 v19, vcc_lo, s10, v19
	v_add_co_ci_u32_e32 v20, vcc_lo, s11, v20, vcc_lo
	v_lshlrev_b64 v[21:22], 2, v[6:7]
	global_load_b32 v3, v[19:20], off
	v_add_nc_u32_e32 v6, -7, v4
	v_add_co_u32 v19, vcc_lo, s10, v21
	v_add_co_ci_u32_e32 v20, vcc_lo, s11, v22, vcc_lo
	global_load_b32 v14, v[19:20], off
	s_waitcnt vmcnt(1)
	v_fmac_f32_e32 v9, v15, v3
	v_lshlrev_b64 v[23:24], 2, v[6:7]
	v_add_nc_u32_e32 v6, -15, v4
	v_fmac_f32_e32 v10, v8, v3
	s_delay_alu instid0(VALU_DEP_3) | instskip(NEXT) | instid1(VALU_DEP_4)
	v_add_co_u32 v23, vcc_lo, s8, v23
	v_add_co_ci_u32_e32 v24, vcc_lo, s9, v24, vcc_lo
	s_waitcnt vmcnt(0)
	v_fmac_f32_e32 v9, v16, v14
	v_lshlrev_b64 v[21:22], 2, v[6:7]
	v_add_nc_u32_e32 v6, 2, v13
	global_load_b32 v25, v[23:24], off
	v_lshlrev_b64 v[19:20], 2, v[6:7]
	v_add_co_u32 v21, vcc_lo, s8, v21
	v_add_nc_u32_e32 v6, -6, v4
	v_add_co_ci_u32_e32 v22, vcc_lo, s9, v22, vcc_lo
	s_delay_alu instid0(VALU_DEP_4)
	v_add_co_u32 v19, vcc_lo, s10, v19
	v_add_co_ci_u32_e32 v20, vcc_lo, s11, v20, vcc_lo
	global_load_b32 v26, v[21:22], off
	v_lshlrev_b64 v[23:24], 2, v[6:7]
	v_add_nc_u32_e32 v6, -14, v4
	global_load_b32 v27, v[19:20], off
	v_add_co_u32 v19, vcc_lo, s8, v23
	v_add_co_ci_u32_e32 v20, vcc_lo, s9, v24, vcc_lo
	global_load_b32 v28, v[19:20], off
	v_lshlrev_b64 v[21:22], 2, v[6:7]
	v_add_nc_u32_e32 v6, 3, v13
	s_delay_alu instid0(VALU_DEP_1) | instskip(SKIP_1) | instid1(VALU_DEP_4)
	v_lshlrev_b64 v[23:24], 2, v[6:7]
	v_add_nc_u32_e32 v6, -5, v4
	v_add_co_u32 v21, vcc_lo, s8, v21
	v_add_co_ci_u32_e32 v22, vcc_lo, s9, v22, vcc_lo
	s_delay_alu instid0(VALU_DEP_3)
	v_lshlrev_b64 v[19:20], 2, v[6:7]
	v_add_nc_u32_e32 v6, -13, v4
	global_load_b32 v29, v[21:22], off
	v_add_co_u32 v21, vcc_lo, s10, v23
	v_add_co_ci_u32_e32 v22, vcc_lo, s11, v24, vcc_lo
	v_lshlrev_b64 v[23:24], 2, v[6:7]
	v_add_nc_u32_e32 v6, 4, v13
	v_add_co_u32 v19, vcc_lo, s8, v19
	v_add_co_ci_u32_e32 v20, vcc_lo, s9, v20, vcc_lo
	global_load_b32 v30, v[21:22], off
	v_lshlrev_b64 v[21:22], 2, v[6:7]
	v_add_nc_u32_e32 v6, -4, v4
	global_load_b32 v31, v[19:20], off
	v_add_co_u32 v19, vcc_lo, s8, v23
	v_add_co_ci_u32_e32 v20, vcc_lo, s9, v24, vcc_lo
	v_lshlrev_b64 v[23:24], 2, v[6:7]
	v_add_nc_u32_e32 v6, -12, v4
	v_add_co_u32 v21, vcc_lo, s10, v21
	v_add_co_ci_u32_e32 v22, vcc_lo, s11, v22, vcc_lo
	global_load_b32 v32, v[19:20], off
	v_lshlrev_b64 v[19:20], 2, v[6:7]
	v_add_nc_u32_e32 v6, 5, v13
	global_load_b32 v33, v[21:22], off
	v_add_co_u32 v21, vcc_lo, s8, v23
	v_add_co_ci_u32_e32 v22, vcc_lo, s9, v24, vcc_lo
	v_add_co_u32 v19, vcc_lo, s8, v19
	v_lshlrev_b64 v[23:24], 2, v[6:7]
	v_add_nc_u32_e32 v6, -3, v4
	v_add_co_ci_u32_e32 v20, vcc_lo, s9, v20, vcc_lo
	s_clause 0x1
	global_load_b32 v34, v[21:22], off
	global_load_b32 v35, v[19:20], off
	v_lshlrev_b64 v[21:22], 2, v[6:7]
	v_add_nc_u32_e32 v6, -11, v4
	v_add_co_u32 v19, vcc_lo, s10, v23
	v_add_co_ci_u32_e32 v20, vcc_lo, s11, v24, vcc_lo
	s_delay_alu instid0(VALU_DEP_3)
	v_lshlrev_b64 v[23:24], 2, v[6:7]
	v_add_nc_u32_e32 v6, 6, v13
	v_add_co_u32 v21, vcc_lo, s8, v21
	v_add_co_ci_u32_e32 v22, vcc_lo, s9, v22, vcc_lo
	global_load_b32 v36, v[19:20], off
	v_lshlrev_b64 v[19:20], 2, v[6:7]
	v_add_nc_u32_e32 v6, -2, v4
	global_load_b32 v37, v[21:22], off
	v_add_co_u32 v21, vcc_lo, s8, v23
	v_add_co_ci_u32_e32 v22, vcc_lo, s9, v24, vcc_lo
	v_add_co_u32 v19, vcc_lo, s10, v19
	v_lshlrev_b64 v[23:24], 2, v[6:7]
	v_add_co_ci_u32_e32 v20, vcc_lo, s11, v20, vcc_lo
	v_add_nc_u32_e32 v6, -10, v4
	global_load_b32 v38, v[21:22], off
	global_load_b32 v39, v[19:20], off
	v_add_co_u32 v19, vcc_lo, s8, v23
	v_add_co_ci_u32_e32 v20, vcc_lo, s9, v24, vcc_lo
	global_load_b32 v40, v[19:20], off
	v_lshlrev_b64 v[21:22], 2, v[6:7]
	v_add_nc_u32_e32 v6, 7, v13
	s_delay_alu instid0(VALU_DEP_1) | instskip(SKIP_1) | instid1(VALU_DEP_4)
	v_lshlrev_b64 v[23:24], 2, v[6:7]
	v_add_nc_u32_e32 v6, -1, v4
	v_add_co_u32 v21, vcc_lo, s8, v21
	v_add_co_ci_u32_e32 v22, vcc_lo, s9, v22, vcc_lo
	s_delay_alu instid0(VALU_DEP_3)
	v_lshlrev_b64 v[19:20], 2, v[6:7]
	v_add_nc_u32_e32 v6, -9, v4
	v_add_nc_u32_e32 v4, 0x120, v4
	global_load_b32 v41, v[21:22], off
	v_add_co_u32 v21, vcc_lo, s10, v23
	v_add_co_ci_u32_e32 v22, vcc_lo, s11, v24, vcc_lo
	v_lshlrev_b64 v[23:24], 2, v[6:7]
	v_add_nc_u32_e32 v6, 8, v13
	v_add_co_u32 v12, vcc_lo, s8, v19
	v_add_co_ci_u32_e32 v13, vcc_lo, s9, v20, vcc_lo
	s_delay_alu instid0(VALU_DEP_3)
	v_lshlrev_b64 v[5:6], 2, v[6:7]
	global_load_b32 v19, v[21:22], off
	global_load_b32 v20, v[12:13], off
	v_add_co_u32 v12, vcc_lo, s8, v23
	v_add_co_ci_u32_e32 v13, vcc_lo, s9, v24, vcc_lo
	v_add_co_u32 v5, vcc_lo, s10, v5
	v_add_co_ci_u32_e32 v6, vcc_lo, s11, v6, vcc_lo
	s_clause 0x1
	global_load_b32 v17, v[17:18], off
	global_load_b32 v12, v[12:13], off
	;; [unrolled: 1-line block ×3, first 2 shown]
	v_cmp_ge_i32_e32 vcc_lo, v2, v11
	s_or_b32 s2, vcc_lo, s2
	s_waitcnt vmcnt(19)
	v_dual_fmac_f32 v10, v25, v14 :: v_dual_fmac_f32 v9, v26, v27
	s_waitcnt vmcnt(16)
	s_delay_alu instid0(VALU_DEP_1) | instskip(SKIP_1) | instid1(VALU_DEP_1)
	v_dual_fmac_f32 v10, v28, v27 :: v_dual_fmac_f32 v9, v29, v30
	s_waitcnt vmcnt(13)
	v_dual_fmac_f32 v10, v31, v30 :: v_dual_fmac_f32 v9, v32, v33
	s_waitcnt vmcnt(10)
	s_delay_alu instid0(VALU_DEP_1) | instskip(SKIP_1) | instid1(VALU_DEP_1)
	v_dual_fmac_f32 v10, v34, v33 :: v_dual_fmac_f32 v9, v35, v36
	s_waitcnt vmcnt(7)
	v_dual_fmac_f32 v10, v37, v36 :: v_dual_fmac_f32 v9, v38, v39
	s_waitcnt vmcnt(6)
	s_delay_alu instid0(VALU_DEP_1) | instskip(SKIP_1) | instid1(VALU_DEP_2)
	v_fmac_f32_e32 v10, v40, v39
	s_waitcnt vmcnt(4)
	v_fmac_f32_e32 v9, v41, v19
	s_waitcnt vmcnt(3)
	s_delay_alu instid0(VALU_DEP_2) | instskip(SKIP_1) | instid1(VALU_DEP_2)
	v_fmac_f32_e32 v10, v20, v19
	s_waitcnt vmcnt(0)
	v_fmac_f32_e32 v9, v12, v5
	s_delay_alu instid0(VALU_DEP_2)
	v_fmac_f32_e32 v10, v17, v5
	s_and_not1_b32 exec_lo, exec_lo, s2
	s_cbranch_execnz .LBB37_15
; %bb.16:
	s_or_b32 exec_lo, exec_lo, s2
.LBB37_17:
	s_delay_alu instid0(SALU_CYCLE_1)
	s_or_b32 exec_lo, exec_lo, s3
.LBB37_18:
	v_mbcnt_lo_u32_b32 v2, -1, 0
	s_mov_b32 s2, -1
	s_delay_alu instid0(VALU_DEP_1) | instskip(SKIP_2) | instid1(VALU_DEP_3)
	v_xor_b32_e32 v3, 8, v2
	v_xor_b32_e32 v5, 4, v2
	v_xor_b32_e32 v7, 2, v2
	v_cmp_gt_i32_e32 vcc_lo, 32, v3
	v_cndmask_b32_e32 v3, v2, v3, vcc_lo
	s_delay_alu instid0(VALU_DEP_4) | instskip(NEXT) | instid1(VALU_DEP_2)
	v_cmp_gt_i32_e32 vcc_lo, 32, v5
	v_lshlrev_b32_e32 v3, 2, v3
	v_cndmask_b32_e32 v5, v2, v5, vcc_lo
	v_cmp_gt_i32_e32 vcc_lo, 32, v7
	ds_bpermute_b32 v4, v3, v9
	v_lshlrev_b32_e32 v5, 2, v5
	v_cndmask_b32_e32 v7, v2, v7, vcc_lo
	s_waitcnt lgkmcnt(0)
	s_delay_alu instid0(VALU_DEP_1)
	v_dual_add_f32 v4, v9, v4 :: v_dual_lshlrev_b32 v7, 2, v7
	ds_bpermute_b32 v6, v5, v4
	s_waitcnt lgkmcnt(0)
	v_add_f32_e32 v4, v4, v6
	ds_bpermute_b32 v3, v3, v10
	s_waitcnt lgkmcnt(0)
	v_add_f32_e32 v3, v10, v3
	;; [unrolled: 3-line block ×3, first 2 shown]
	ds_bpermute_b32 v5, v7, v4
	ds_bpermute_b32 v6, v7, v3
	v_xor_b32_e32 v7, 1, v2
	s_delay_alu instid0(VALU_DEP_1) | instskip(SKIP_3) | instid1(VALU_DEP_2)
	v_cmp_gt_i32_e32 vcc_lo, 32, v7
	v_cndmask_b32_e32 v2, v2, v7, vcc_lo
	v_cmp_eq_u32_e32 vcc_lo, 15, v0
	s_waitcnt lgkmcnt(1)
	v_dual_add_f32 v2, v4, v5 :: v_dual_lshlrev_b32 v7, 2, v2
	s_waitcnt lgkmcnt(0)
	v_add_f32_e32 v3, v3, v6
	ds_bpermute_b32 v4, v7, v2
	ds_bpermute_b32 v5, v7, v3
	s_and_b32 exec_lo, exec_lo, vcc_lo
	s_cbranch_execz .LBB37_23
; %bb.19:
	s_load_b64 s[0:1], s[0:1], 0x38
	s_waitcnt lgkmcnt(0)
	v_dual_add_f32 v0, v2, v4 :: v_dual_add_f32 v3, v3, v5
	v_cmp_eq_f32_e64 s3, s12, 0
	s_delay_alu instid0(VALU_DEP_2) | instskip(SKIP_1) | instid1(VALU_DEP_3)
	v_dual_mul_f32 v2, s16, v0 :: v_dual_mul_f32 v3, s16, v3
	v_lshlrev_b32_e32 v0, 1, v1
	s_and_b32 vcc_lo, exec_lo, s3
	s_cbranch_vccz .LBB37_21
; %bb.20:
	s_delay_alu instid0(VALU_DEP_1) | instskip(SKIP_1) | instid1(VALU_DEP_1)
	v_ashrrev_i32_e32 v1, 31, v0
	s_mov_b32 s2, 0
	v_lshlrev_b64 v[4:5], 2, v[0:1]
	s_delay_alu instid0(VALU_DEP_1) | instskip(NEXT) | instid1(VALU_DEP_2)
	v_add_co_u32 v4, vcc_lo, s0, v4
	v_add_co_ci_u32_e32 v5, vcc_lo, s1, v5, vcc_lo
	global_store_b64 v[4:5], v[2:3], off
.LBB37_21:
	s_and_not1_b32 vcc_lo, exec_lo, s2
	s_cbranch_vccnz .LBB37_23
; %bb.22:
	v_ashrrev_i32_e32 v1, 31, v0
	s_delay_alu instid0(VALU_DEP_1) | instskip(NEXT) | instid1(VALU_DEP_1)
	v_lshlrev_b64 v[0:1], 2, v[0:1]
	v_add_co_u32 v0, vcc_lo, s0, v0
	s_delay_alu instid0(VALU_DEP_2)
	v_add_co_ci_u32_e32 v1, vcc_lo, s1, v1, vcc_lo
	global_load_b64 v[4:5], v[0:1], off
	s_waitcnt vmcnt(0)
	v_dual_fmac_f32 v2, s12, v4 :: v_dual_fmac_f32 v3, s12, v5
	global_store_b64 v[0:1], v[2:3], off
.LBB37_23:
	s_nop 0
	s_sendmsg sendmsg(MSG_DEALLOC_VGPRS)
	s_endpgm
	.section	.rodata,"a",@progbits
	.p2align	6, 0x0
	.amdhsa_kernel _ZN9rocsparseL19gebsrmvn_2xn_kernelILj128ELj9ELj16EfEEvi20rocsparse_direction_NS_24const_host_device_scalarIT2_EEPKiS6_PKS3_S8_S4_PS3_21rocsparse_index_base_b
		.amdhsa_group_segment_fixed_size 0
		.amdhsa_private_segment_fixed_size 0
		.amdhsa_kernarg_size 72
		.amdhsa_user_sgpr_count 15
		.amdhsa_user_sgpr_dispatch_ptr 0
		.amdhsa_user_sgpr_queue_ptr 0
		.amdhsa_user_sgpr_kernarg_segment_ptr 1
		.amdhsa_user_sgpr_dispatch_id 0
		.amdhsa_user_sgpr_private_segment_size 0
		.amdhsa_wavefront_size32 1
		.amdhsa_uses_dynamic_stack 0
		.amdhsa_enable_private_segment 0
		.amdhsa_system_sgpr_workgroup_id_x 1
		.amdhsa_system_sgpr_workgroup_id_y 0
		.amdhsa_system_sgpr_workgroup_id_z 0
		.amdhsa_system_sgpr_workgroup_info 0
		.amdhsa_system_vgpr_workitem_id 0
		.amdhsa_next_free_vgpr 42
		.amdhsa_next_free_sgpr 20
		.amdhsa_reserve_vcc 1
		.amdhsa_float_round_mode_32 0
		.amdhsa_float_round_mode_16_64 0
		.amdhsa_float_denorm_mode_32 3
		.amdhsa_float_denorm_mode_16_64 3
		.amdhsa_dx10_clamp 1
		.amdhsa_ieee_mode 1
		.amdhsa_fp16_overflow 0
		.amdhsa_workgroup_processor_mode 1
		.amdhsa_memory_ordered 1
		.amdhsa_forward_progress 0
		.amdhsa_shared_vgpr_count 0
		.amdhsa_exception_fp_ieee_invalid_op 0
		.amdhsa_exception_fp_denorm_src 0
		.amdhsa_exception_fp_ieee_div_zero 0
		.amdhsa_exception_fp_ieee_overflow 0
		.amdhsa_exception_fp_ieee_underflow 0
		.amdhsa_exception_fp_ieee_inexact 0
		.amdhsa_exception_int_div_zero 0
	.end_amdhsa_kernel
	.section	.text._ZN9rocsparseL19gebsrmvn_2xn_kernelILj128ELj9ELj16EfEEvi20rocsparse_direction_NS_24const_host_device_scalarIT2_EEPKiS6_PKS3_S8_S4_PS3_21rocsparse_index_base_b,"axG",@progbits,_ZN9rocsparseL19gebsrmvn_2xn_kernelILj128ELj9ELj16EfEEvi20rocsparse_direction_NS_24const_host_device_scalarIT2_EEPKiS6_PKS3_S8_S4_PS3_21rocsparse_index_base_b,comdat
.Lfunc_end37:
	.size	_ZN9rocsparseL19gebsrmvn_2xn_kernelILj128ELj9ELj16EfEEvi20rocsparse_direction_NS_24const_host_device_scalarIT2_EEPKiS6_PKS3_S8_S4_PS3_21rocsparse_index_base_b, .Lfunc_end37-_ZN9rocsparseL19gebsrmvn_2xn_kernelILj128ELj9ELj16EfEEvi20rocsparse_direction_NS_24const_host_device_scalarIT2_EEPKiS6_PKS3_S8_S4_PS3_21rocsparse_index_base_b
                                        ; -- End function
	.section	.AMDGPU.csdata,"",@progbits
; Kernel info:
; codeLenInByte = 2748
; NumSgprs: 22
; NumVgprs: 42
; ScratchSize: 0
; MemoryBound: 0
; FloatMode: 240
; IeeeMode: 1
; LDSByteSize: 0 bytes/workgroup (compile time only)
; SGPRBlocks: 2
; VGPRBlocks: 5
; NumSGPRsForWavesPerEU: 22
; NumVGPRsForWavesPerEU: 42
; Occupancy: 16
; WaveLimiterHint : 1
; COMPUTE_PGM_RSRC2:SCRATCH_EN: 0
; COMPUTE_PGM_RSRC2:USER_SGPR: 15
; COMPUTE_PGM_RSRC2:TRAP_HANDLER: 0
; COMPUTE_PGM_RSRC2:TGID_X_EN: 1
; COMPUTE_PGM_RSRC2:TGID_Y_EN: 0
; COMPUTE_PGM_RSRC2:TGID_Z_EN: 0
; COMPUTE_PGM_RSRC2:TIDIG_COMP_CNT: 0
	.section	.text._ZN9rocsparseL19gebsrmvn_2xn_kernelILj128ELj9ELj32EfEEvi20rocsparse_direction_NS_24const_host_device_scalarIT2_EEPKiS6_PKS3_S8_S4_PS3_21rocsparse_index_base_b,"axG",@progbits,_ZN9rocsparseL19gebsrmvn_2xn_kernelILj128ELj9ELj32EfEEvi20rocsparse_direction_NS_24const_host_device_scalarIT2_EEPKiS6_PKS3_S8_S4_PS3_21rocsparse_index_base_b,comdat
	.globl	_ZN9rocsparseL19gebsrmvn_2xn_kernelILj128ELj9ELj32EfEEvi20rocsparse_direction_NS_24const_host_device_scalarIT2_EEPKiS6_PKS3_S8_S4_PS3_21rocsparse_index_base_b ; -- Begin function _ZN9rocsparseL19gebsrmvn_2xn_kernelILj128ELj9ELj32EfEEvi20rocsparse_direction_NS_24const_host_device_scalarIT2_EEPKiS6_PKS3_S8_S4_PS3_21rocsparse_index_base_b
	.p2align	8
	.type	_ZN9rocsparseL19gebsrmvn_2xn_kernelILj128ELj9ELj32EfEEvi20rocsparse_direction_NS_24const_host_device_scalarIT2_EEPKiS6_PKS3_S8_S4_PS3_21rocsparse_index_base_b,@function
_ZN9rocsparseL19gebsrmvn_2xn_kernelILj128ELj9ELj32EfEEvi20rocsparse_direction_NS_24const_host_device_scalarIT2_EEPKiS6_PKS3_S8_S4_PS3_21rocsparse_index_base_b: ; @_ZN9rocsparseL19gebsrmvn_2xn_kernelILj128ELj9ELj32EfEEvi20rocsparse_direction_NS_24const_host_device_scalarIT2_EEPKiS6_PKS3_S8_S4_PS3_21rocsparse_index_base_b
; %bb.0:
	s_clause 0x2
	s_load_b64 s[18:19], s[0:1], 0x40
	s_load_b64 s[16:17], s[0:1], 0x8
	;; [unrolled: 1-line block ×3, first 2 shown]
	s_waitcnt lgkmcnt(0)
	s_bitcmp1_b32 s19, 0
	s_cselect_b32 s2, -1, 0
	s_delay_alu instid0(SALU_CYCLE_1)
	s_and_b32 vcc_lo, exec_lo, s2
	s_xor_b32 s2, s2, -1
	s_cbranch_vccnz .LBB38_2
; %bb.1:
	s_load_b32 s16, s[16:17], 0x0
.LBB38_2:
	s_and_not1_b32 vcc_lo, exec_lo, s2
	s_cbranch_vccnz .LBB38_4
; %bb.3:
	s_load_b32 s12, s[12:13], 0x0
.LBB38_4:
	s_waitcnt lgkmcnt(0)
	v_cmp_eq_f32_e64 s2, s16, 0
	v_cmp_eq_f32_e64 s3, s12, 1.0
	s_delay_alu instid0(VALU_DEP_1) | instskip(NEXT) | instid1(SALU_CYCLE_1)
	s_and_b32 s2, s2, s3
	s_and_b32 vcc_lo, exec_lo, s2
	s_cbranch_vccnz .LBB38_23
; %bb.5:
	s_load_b64 s[2:3], s[0:1], 0x0
	v_lshrrev_b32_e32 v1, 5, v0
	s_delay_alu instid0(VALU_DEP_1) | instskip(SKIP_1) | instid1(VALU_DEP_1)
	v_lshl_or_b32 v1, s15, 2, v1
	s_waitcnt lgkmcnt(0)
	v_cmp_gt_i32_e32 vcc_lo, s2, v1
	s_and_saveexec_b32 s2, vcc_lo
	s_cbranch_execz .LBB38_23
; %bb.6:
	s_load_b256 s[4:11], s[0:1], 0x10
	v_ashrrev_i32_e32 v2, 31, v1
	v_and_b32_e32 v0, 31, v0
	s_cmp_lg_u32 s3, 0
	s_delay_alu instid0(VALU_DEP_2) | instskip(SKIP_1) | instid1(VALU_DEP_1)
	v_lshlrev_b64 v[2:3], 2, v[1:2]
	s_waitcnt lgkmcnt(0)
	v_add_co_u32 v2, vcc_lo, s4, v2
	s_delay_alu instid0(VALU_DEP_2) | instskip(SKIP_4) | instid1(VALU_DEP_2)
	v_add_co_ci_u32_e32 v3, vcc_lo, s5, v3, vcc_lo
	global_load_b64 v[2:3], v[2:3], off
	s_waitcnt vmcnt(0)
	v_subrev_nc_u32_e32 v2, s18, v2
	v_subrev_nc_u32_e32 v11, s18, v3
	v_add_nc_u32_e32 v2, v2, v0
	s_delay_alu instid0(VALU_DEP_1)
	v_cmp_lt_i32_e64 s2, v2, v11
	s_cbranch_scc0 .LBB38_12
; %bb.7:
	v_dual_mov_b32 v9, 0 :: v_dual_mov_b32 v10, 0
	s_mov_b32 s3, 0
	s_delay_alu instid0(VALU_DEP_2)
	s_and_saveexec_b32 s4, s2
	s_cbranch_execz .LBB38_11
; %bb.8:
	v_mad_u64_u32 v[3:4], null, v2, 18, 16
	v_dual_mov_b32 v6, 0 :: v_dual_mov_b32 v7, v2
	v_dual_mov_b32 v9, 0 :: v_dual_mov_b32 v10, 0
	s_mov_b32 s5, 0
.LBB38_9:                               ; =>This Inner Loop Header: Depth=1
	s_delay_alu instid0(VALU_DEP_2) | instskip(NEXT) | instid1(VALU_DEP_1)
	v_ashrrev_i32_e32 v8, 31, v7
	v_lshlrev_b64 v[4:5], 2, v[7:8]
	v_add_nc_u32_e32 v7, 32, v7
	s_delay_alu instid0(VALU_DEP_2) | instskip(NEXT) | instid1(VALU_DEP_3)
	v_add_co_u32 v4, vcc_lo, s6, v4
	v_add_co_ci_u32_e32 v5, vcc_lo, s7, v5, vcc_lo
	global_load_b32 v8, v[4:5], off
	v_dual_mov_b32 v4, v6 :: v_dual_add_nc_u32 v5, -16, v3
	s_delay_alu instid0(VALU_DEP_1) | instskip(SKIP_1) | instid1(VALU_DEP_3)
	v_lshlrev_b64 v[14:15], 2, v[5:6]
	v_add_nc_u32_e32 v5, -14, v3
	v_lshlrev_b64 v[16:17], 2, v[3:4]
	s_delay_alu instid0(VALU_DEP_2) | instskip(NEXT) | instid1(VALU_DEP_4)
	v_lshlrev_b64 v[4:5], 2, v[5:6]
	v_add_co_u32 v14, vcc_lo, s8, v14
	v_add_co_ci_u32_e32 v15, vcc_lo, s9, v15, vcc_lo
	s_delay_alu instid0(VALU_DEP_4)
	v_add_co_u32 v16, vcc_lo, s8, v16
	v_add_co_ci_u32_e32 v17, vcc_lo, s9, v17, vcc_lo
	v_add_co_u32 v4, vcc_lo, s8, v4
	v_add_co_ci_u32_e32 v5, vcc_lo, s9, v5, vcc_lo
	s_clause 0x1
	global_load_b64 v[14:15], v[14:15], off
	global_load_b64 v[18:19], v[4:5], off
	v_mov_b32_e32 v13, v6
	s_waitcnt vmcnt(2)
	v_subrev_nc_u32_e32 v4, s18, v8
	s_delay_alu instid0(VALU_DEP_1) | instskip(NEXT) | instid1(VALU_DEP_1)
	v_lshl_add_u32 v12, v4, 3, v4
	v_add_nc_u32_e32 v5, 1, v12
	v_lshlrev_b64 v[20:21], 2, v[12:13]
	s_delay_alu instid0(VALU_DEP_2) | instskip(SKIP_1) | instid1(VALU_DEP_3)
	v_lshlrev_b64 v[22:23], 2, v[5:6]
	v_add_nc_u32_e32 v5, -12, v3
	v_add_co_u32 v20, vcc_lo, s10, v20
	s_delay_alu instid0(VALU_DEP_4) | instskip(NEXT) | instid1(VALU_DEP_4)
	v_add_co_ci_u32_e32 v21, vcc_lo, s11, v21, vcc_lo
	v_add_co_u32 v22, vcc_lo, s10, v22
	s_delay_alu instid0(VALU_DEP_4)
	v_lshlrev_b64 v[24:25], 2, v[5:6]
	v_add_nc_u32_e32 v5, 2, v12
	v_add_co_ci_u32_e32 v23, vcc_lo, s11, v23, vcc_lo
	s_clause 0x1
	global_load_b32 v8, v[20:21], off
	global_load_b32 v36, v[22:23], off
	v_lshlrev_b64 v[20:21], 2, v[5:6]
	v_add_nc_u32_e32 v5, -10, v3
	v_add_co_u32 v22, vcc_lo, s8, v24
	v_add_co_ci_u32_e32 v23, vcc_lo, s9, v25, vcc_lo
	s_delay_alu instid0(VALU_DEP_3) | instskip(SKIP_3) | instid1(VALU_DEP_3)
	v_lshlrev_b64 v[24:25], 2, v[5:6]
	v_add_nc_u32_e32 v5, 3, v12
	v_add_co_u32 v20, vcc_lo, s10, v20
	v_add_co_ci_u32_e32 v21, vcc_lo, s11, v21, vcc_lo
	v_lshlrev_b64 v[26:27], 2, v[5:6]
	v_add_nc_u32_e32 v5, -8, v3
	global_load_b64 v[22:23], v[22:23], off
	global_load_b32 v37, v[20:21], off
	v_add_co_u32 v20, vcc_lo, s8, v24
	v_add_co_ci_u32_e32 v21, vcc_lo, s9, v25, vcc_lo
	v_lshlrev_b64 v[24:25], 2, v[5:6]
	v_add_nc_u32_e32 v5, 4, v12
	v_add_co_u32 v26, vcc_lo, s10, v26
	v_add_co_ci_u32_e32 v27, vcc_lo, s11, v27, vcc_lo
	s_delay_alu instid0(VALU_DEP_3) | instskip(SKIP_3) | instid1(VALU_DEP_4)
	v_lshlrev_b64 v[28:29], 2, v[5:6]
	v_add_co_u32 v24, vcc_lo, s8, v24
	v_add_co_ci_u32_e32 v25, vcc_lo, s9, v25, vcc_lo
	v_add_nc_u32_e32 v5, -6, v3
	v_add_co_u32 v28, vcc_lo, s10, v28
	v_add_co_ci_u32_e32 v29, vcc_lo, s11, v29, vcc_lo
	global_load_b32 v38, v[26:27], off
	s_clause 0x1
	global_load_b64 v[24:25], v[24:25], off
	global_load_b64 v[20:21], v[20:21], off
	global_load_b32 v39, v[28:29], off
	v_lshlrev_b64 v[26:27], 2, v[5:6]
	v_add_nc_u32_e32 v5, 5, v12
	s_delay_alu instid0(VALU_DEP_1) | instskip(SKIP_1) | instid1(VALU_DEP_4)
	v_lshlrev_b64 v[30:31], 2, v[5:6]
	v_add_nc_u32_e32 v5, -4, v3
	v_add_co_u32 v26, vcc_lo, s8, v26
	v_add_co_ci_u32_e32 v27, vcc_lo, s9, v27, vcc_lo
	s_delay_alu instid0(VALU_DEP_3) | instskip(SKIP_3) | instid1(VALU_DEP_3)
	v_lshlrev_b64 v[28:29], 2, v[5:6]
	v_add_nc_u32_e32 v5, 6, v12
	v_add_co_u32 v30, vcc_lo, s10, v30
	v_add_co_ci_u32_e32 v31, vcc_lo, s11, v31, vcc_lo
	v_lshlrev_b64 v[32:33], 2, v[5:6]
	v_add_co_u32 v28, vcc_lo, s8, v28
	v_add_co_ci_u32_e32 v29, vcc_lo, s9, v29, vcc_lo
	v_add_nc_u32_e32 v5, -2, v3
	s_delay_alu instid0(VALU_DEP_4)
	v_add_co_u32 v32, vcc_lo, s10, v32
	v_add_co_ci_u32_e32 v33, vcc_lo, s11, v33, vcc_lo
	global_load_b32 v40, v[30:31], off
	s_clause 0x1
	global_load_b64 v[26:27], v[26:27], off
	global_load_b64 v[28:29], v[28:29], off
	global_load_b32 v32, v[32:33], off
	v_lshlrev_b64 v[30:31], 2, v[5:6]
	v_add_nc_u32_e32 v5, 7, v12
	v_add_nc_u32_e32 v3, 0x240, v3
	s_delay_alu instid0(VALU_DEP_2) | instskip(SKIP_3) | instid1(VALU_DEP_3)
	v_lshlrev_b64 v[34:35], 2, v[5:6]
	v_add_nc_u32_e32 v5, 8, v12
	v_add_co_u32 v12, vcc_lo, s8, v30
	v_add_co_ci_u32_e32 v13, vcc_lo, s9, v31, vcc_lo
	v_lshlrev_b64 v[4:5], 2, v[5:6]
	v_add_co_u32 v30, vcc_lo, s10, v34
	v_add_co_ci_u32_e32 v31, vcc_lo, s11, v35, vcc_lo
	global_load_b64 v[12:13], v[12:13], off
	global_load_b32 v30, v[30:31], off
	v_add_co_u32 v4, vcc_lo, s10, v4
	v_add_co_ci_u32_e32 v5, vcc_lo, s11, v5, vcc_lo
	global_load_b64 v[16:17], v[16:17], off
	global_load_b32 v4, v[4:5], off
	v_cmp_ge_i32_e32 vcc_lo, v7, v11
	s_or_b32 s5, vcc_lo, s5
	s_waitcnt vmcnt(15)
	v_fmac_f32_e32 v9, v14, v8
	v_fmac_f32_e32 v10, v15, v8
	s_waitcnt vmcnt(14)
	s_delay_alu instid0(VALU_DEP_2) | instskip(SKIP_1) | instid1(VALU_DEP_1)
	v_fmac_f32_e32 v9, v18, v36
	s_waitcnt vmcnt(12)
	v_dual_fmac_f32 v10, v19, v36 :: v_dual_fmac_f32 v9, v22, v37
	s_waitcnt vmcnt(9)
	s_delay_alu instid0(VALU_DEP_1) | instskip(SKIP_1) | instid1(VALU_DEP_1)
	v_dual_fmac_f32 v10, v23, v37 :: v_dual_fmac_f32 v9, v20, v38
	s_waitcnt vmcnt(8)
	v_dual_fmac_f32 v10, v21, v38 :: v_dual_fmac_f32 v9, v24, v39
	s_waitcnt vmcnt(6)
	s_delay_alu instid0(VALU_DEP_1) | instskip(NEXT) | instid1(VALU_DEP_1)
	v_dual_fmac_f32 v10, v25, v39 :: v_dual_fmac_f32 v9, v26, v40
	v_fmac_f32_e32 v10, v27, v40
	s_waitcnt vmcnt(4)
	s_delay_alu instid0(VALU_DEP_2) | instskip(SKIP_1) | instid1(VALU_DEP_1)
	v_fmac_f32_e32 v9, v28, v32
	s_waitcnt vmcnt(2)
	v_dual_fmac_f32 v10, v29, v32 :: v_dual_fmac_f32 v9, v12, v30
	s_waitcnt vmcnt(0)
	s_delay_alu instid0(VALU_DEP_1) | instskip(NEXT) | instid1(VALU_DEP_1)
	v_dual_fmac_f32 v10, v13, v30 :: v_dual_fmac_f32 v9, v16, v4
	v_fmac_f32_e32 v10, v17, v4
	s_and_not1_b32 exec_lo, exec_lo, s5
	s_cbranch_execnz .LBB38_9
; %bb.10:
	s_or_b32 exec_lo, exec_lo, s5
.LBB38_11:
	s_delay_alu instid0(SALU_CYCLE_1) | instskip(NEXT) | instid1(SALU_CYCLE_1)
	s_or_b32 exec_lo, exec_lo, s4
	s_and_not1_b32 vcc_lo, exec_lo, s3
	s_cbranch_vccz .LBB38_13
	s_branch .LBB38_18
.LBB38_12:
                                        ; implicit-def: $vgpr9
                                        ; implicit-def: $vgpr10
.LBB38_13:
	v_dual_mov_b32 v9, 0 :: v_dual_mov_b32 v10, 0
	s_delay_alu instid0(VALU_DEP_2)
	s_and_saveexec_b32 s3, s2
	s_cbranch_execz .LBB38_17
; %bb.14:
	v_mad_u64_u32 v[4:5], null, v2, 18, 17
	v_dual_mov_b32 v7, 0 :: v_dual_mov_b32 v10, 0
	v_mov_b32_e32 v9, 0
	s_mov_b32 s2, 0
.LBB38_15:                              ; =>This Inner Loop Header: Depth=1
	v_ashrrev_i32_e32 v3, 31, v2
	s_delay_alu instid0(VALU_DEP_3) | instskip(SKIP_1) | instid1(VALU_DEP_3)
	v_dual_mov_b32 v13, v7 :: v_dual_add_nc_u32 v12, -8, v4
	v_mov_b32_e32 v14, v7
	v_lshlrev_b64 v[5:6], 2, v[2:3]
	v_add_nc_u32_e32 v2, 32, v2
	s_delay_alu instid0(VALU_DEP_4) | instskip(NEXT) | instid1(VALU_DEP_3)
	v_lshlrev_b64 v[12:13], 2, v[12:13]
	v_add_co_u32 v5, vcc_lo, s6, v5
	s_delay_alu instid0(VALU_DEP_4) | instskip(SKIP_2) | instid1(VALU_DEP_1)
	v_add_co_ci_u32_e32 v6, vcc_lo, s7, v6, vcc_lo
	global_load_b32 v3, v[5:6], off
	v_subrev_nc_u32_e32 v6, 17, v4
	v_lshlrev_b64 v[15:16], 2, v[6:7]
	s_delay_alu instid0(VALU_DEP_1) | instskip(NEXT) | instid1(VALU_DEP_2)
	v_add_co_u32 v15, vcc_lo, s8, v15
	v_add_co_ci_u32_e32 v16, vcc_lo, s9, v16, vcc_lo
	v_add_co_u32 v12, vcc_lo, s8, v12
	v_add_co_ci_u32_e32 v13, vcc_lo, s9, v13, vcc_lo
	s_clause 0x1
	global_load_b64 v[15:16], v[15:16], off
	global_load_b32 v8, v[12:13], off
	s_waitcnt vmcnt(2)
	v_subrev_nc_u32_e32 v3, s18, v3
	s_delay_alu instid0(VALU_DEP_1) | instskip(SKIP_1) | instid1(VALU_DEP_2)
	v_lshl_add_u32 v13, v3, 3, v3
	v_mov_b32_e32 v5, v7
	v_lshlrev_b64 v[19:20], 2, v[13:14]
	s_delay_alu instid0(VALU_DEP_2) | instskip(NEXT) | instid1(VALU_DEP_1)
	v_lshlrev_b64 v[5:6], 2, v[4:5]
	v_add_co_u32 v17, vcc_lo, s8, v5
	s_delay_alu instid0(VALU_DEP_2) | instskip(SKIP_3) | instid1(VALU_DEP_3)
	v_add_co_ci_u32_e32 v18, vcc_lo, s9, v6, vcc_lo
	v_add_nc_u32_e32 v6, 1, v13
	v_add_co_u32 v19, vcc_lo, s10, v19
	v_add_co_ci_u32_e32 v20, vcc_lo, s11, v20, vcc_lo
	v_lshlrev_b64 v[21:22], 2, v[6:7]
	global_load_b32 v3, v[19:20], off
	v_add_nc_u32_e32 v6, -7, v4
	v_add_co_u32 v19, vcc_lo, s10, v21
	v_add_co_ci_u32_e32 v20, vcc_lo, s11, v22, vcc_lo
	global_load_b32 v14, v[19:20], off
	s_waitcnt vmcnt(1)
	v_fmac_f32_e32 v9, v15, v3
	v_lshlrev_b64 v[23:24], 2, v[6:7]
	v_add_nc_u32_e32 v6, -15, v4
	v_fmac_f32_e32 v10, v8, v3
	s_delay_alu instid0(VALU_DEP_3) | instskip(NEXT) | instid1(VALU_DEP_4)
	v_add_co_u32 v23, vcc_lo, s8, v23
	v_add_co_ci_u32_e32 v24, vcc_lo, s9, v24, vcc_lo
	s_waitcnt vmcnt(0)
	v_fmac_f32_e32 v9, v16, v14
	v_lshlrev_b64 v[21:22], 2, v[6:7]
	v_add_nc_u32_e32 v6, 2, v13
	global_load_b32 v25, v[23:24], off
	v_lshlrev_b64 v[19:20], 2, v[6:7]
	v_add_co_u32 v21, vcc_lo, s8, v21
	v_add_nc_u32_e32 v6, -6, v4
	v_add_co_ci_u32_e32 v22, vcc_lo, s9, v22, vcc_lo
	s_delay_alu instid0(VALU_DEP_4)
	v_add_co_u32 v19, vcc_lo, s10, v19
	v_add_co_ci_u32_e32 v20, vcc_lo, s11, v20, vcc_lo
	global_load_b32 v26, v[21:22], off
	v_lshlrev_b64 v[23:24], 2, v[6:7]
	v_add_nc_u32_e32 v6, -14, v4
	global_load_b32 v27, v[19:20], off
	v_add_co_u32 v19, vcc_lo, s8, v23
	v_add_co_ci_u32_e32 v20, vcc_lo, s9, v24, vcc_lo
	global_load_b32 v28, v[19:20], off
	v_lshlrev_b64 v[21:22], 2, v[6:7]
	v_add_nc_u32_e32 v6, 3, v13
	s_delay_alu instid0(VALU_DEP_1) | instskip(SKIP_1) | instid1(VALU_DEP_4)
	v_lshlrev_b64 v[23:24], 2, v[6:7]
	v_add_nc_u32_e32 v6, -5, v4
	v_add_co_u32 v21, vcc_lo, s8, v21
	v_add_co_ci_u32_e32 v22, vcc_lo, s9, v22, vcc_lo
	s_delay_alu instid0(VALU_DEP_3)
	v_lshlrev_b64 v[19:20], 2, v[6:7]
	v_add_nc_u32_e32 v6, -13, v4
	global_load_b32 v29, v[21:22], off
	v_add_co_u32 v21, vcc_lo, s10, v23
	v_add_co_ci_u32_e32 v22, vcc_lo, s11, v24, vcc_lo
	v_lshlrev_b64 v[23:24], 2, v[6:7]
	v_add_nc_u32_e32 v6, 4, v13
	v_add_co_u32 v19, vcc_lo, s8, v19
	v_add_co_ci_u32_e32 v20, vcc_lo, s9, v20, vcc_lo
	global_load_b32 v30, v[21:22], off
	v_lshlrev_b64 v[21:22], 2, v[6:7]
	v_add_nc_u32_e32 v6, -4, v4
	global_load_b32 v31, v[19:20], off
	v_add_co_u32 v19, vcc_lo, s8, v23
	v_add_co_ci_u32_e32 v20, vcc_lo, s9, v24, vcc_lo
	v_lshlrev_b64 v[23:24], 2, v[6:7]
	v_add_nc_u32_e32 v6, -12, v4
	v_add_co_u32 v21, vcc_lo, s10, v21
	v_add_co_ci_u32_e32 v22, vcc_lo, s11, v22, vcc_lo
	global_load_b32 v32, v[19:20], off
	v_lshlrev_b64 v[19:20], 2, v[6:7]
	v_add_nc_u32_e32 v6, 5, v13
	global_load_b32 v33, v[21:22], off
	v_add_co_u32 v21, vcc_lo, s8, v23
	v_add_co_ci_u32_e32 v22, vcc_lo, s9, v24, vcc_lo
	v_add_co_u32 v19, vcc_lo, s8, v19
	v_lshlrev_b64 v[23:24], 2, v[6:7]
	v_add_nc_u32_e32 v6, -3, v4
	v_add_co_ci_u32_e32 v20, vcc_lo, s9, v20, vcc_lo
	s_clause 0x1
	global_load_b32 v34, v[21:22], off
	global_load_b32 v35, v[19:20], off
	v_lshlrev_b64 v[21:22], 2, v[6:7]
	v_add_nc_u32_e32 v6, -11, v4
	v_add_co_u32 v19, vcc_lo, s10, v23
	v_add_co_ci_u32_e32 v20, vcc_lo, s11, v24, vcc_lo
	s_delay_alu instid0(VALU_DEP_3)
	v_lshlrev_b64 v[23:24], 2, v[6:7]
	v_add_nc_u32_e32 v6, 6, v13
	v_add_co_u32 v21, vcc_lo, s8, v21
	v_add_co_ci_u32_e32 v22, vcc_lo, s9, v22, vcc_lo
	global_load_b32 v36, v[19:20], off
	v_lshlrev_b64 v[19:20], 2, v[6:7]
	v_add_nc_u32_e32 v6, -2, v4
	global_load_b32 v37, v[21:22], off
	v_add_co_u32 v21, vcc_lo, s8, v23
	v_add_co_ci_u32_e32 v22, vcc_lo, s9, v24, vcc_lo
	v_add_co_u32 v19, vcc_lo, s10, v19
	v_lshlrev_b64 v[23:24], 2, v[6:7]
	v_add_co_ci_u32_e32 v20, vcc_lo, s11, v20, vcc_lo
	v_add_nc_u32_e32 v6, -10, v4
	global_load_b32 v38, v[21:22], off
	global_load_b32 v39, v[19:20], off
	v_add_co_u32 v19, vcc_lo, s8, v23
	v_add_co_ci_u32_e32 v20, vcc_lo, s9, v24, vcc_lo
	global_load_b32 v40, v[19:20], off
	v_lshlrev_b64 v[21:22], 2, v[6:7]
	v_add_nc_u32_e32 v6, 7, v13
	s_delay_alu instid0(VALU_DEP_1) | instskip(SKIP_1) | instid1(VALU_DEP_4)
	v_lshlrev_b64 v[23:24], 2, v[6:7]
	v_add_nc_u32_e32 v6, -1, v4
	v_add_co_u32 v21, vcc_lo, s8, v21
	v_add_co_ci_u32_e32 v22, vcc_lo, s9, v22, vcc_lo
	s_delay_alu instid0(VALU_DEP_3)
	v_lshlrev_b64 v[19:20], 2, v[6:7]
	v_add_nc_u32_e32 v6, -9, v4
	v_add_nc_u32_e32 v4, 0x240, v4
	global_load_b32 v41, v[21:22], off
	v_add_co_u32 v21, vcc_lo, s10, v23
	v_add_co_ci_u32_e32 v22, vcc_lo, s11, v24, vcc_lo
	v_lshlrev_b64 v[23:24], 2, v[6:7]
	v_add_nc_u32_e32 v6, 8, v13
	v_add_co_u32 v12, vcc_lo, s8, v19
	v_add_co_ci_u32_e32 v13, vcc_lo, s9, v20, vcc_lo
	s_delay_alu instid0(VALU_DEP_3)
	v_lshlrev_b64 v[5:6], 2, v[6:7]
	global_load_b32 v19, v[21:22], off
	global_load_b32 v20, v[12:13], off
	v_add_co_u32 v12, vcc_lo, s8, v23
	v_add_co_ci_u32_e32 v13, vcc_lo, s9, v24, vcc_lo
	v_add_co_u32 v5, vcc_lo, s10, v5
	v_add_co_ci_u32_e32 v6, vcc_lo, s11, v6, vcc_lo
	s_clause 0x1
	global_load_b32 v17, v[17:18], off
	global_load_b32 v12, v[12:13], off
	;; [unrolled: 1-line block ×3, first 2 shown]
	v_cmp_ge_i32_e32 vcc_lo, v2, v11
	s_or_b32 s2, vcc_lo, s2
	s_waitcnt vmcnt(19)
	v_dual_fmac_f32 v10, v25, v14 :: v_dual_fmac_f32 v9, v26, v27
	s_waitcnt vmcnt(16)
	s_delay_alu instid0(VALU_DEP_1) | instskip(SKIP_1) | instid1(VALU_DEP_1)
	v_dual_fmac_f32 v10, v28, v27 :: v_dual_fmac_f32 v9, v29, v30
	s_waitcnt vmcnt(13)
	v_dual_fmac_f32 v10, v31, v30 :: v_dual_fmac_f32 v9, v32, v33
	s_waitcnt vmcnt(10)
	s_delay_alu instid0(VALU_DEP_1) | instskip(SKIP_1) | instid1(VALU_DEP_1)
	v_dual_fmac_f32 v10, v34, v33 :: v_dual_fmac_f32 v9, v35, v36
	s_waitcnt vmcnt(7)
	v_dual_fmac_f32 v10, v37, v36 :: v_dual_fmac_f32 v9, v38, v39
	s_waitcnt vmcnt(6)
	s_delay_alu instid0(VALU_DEP_1) | instskip(SKIP_1) | instid1(VALU_DEP_2)
	v_fmac_f32_e32 v10, v40, v39
	s_waitcnt vmcnt(4)
	v_fmac_f32_e32 v9, v41, v19
	s_waitcnt vmcnt(3)
	s_delay_alu instid0(VALU_DEP_2) | instskip(SKIP_1) | instid1(VALU_DEP_2)
	v_fmac_f32_e32 v10, v20, v19
	s_waitcnt vmcnt(0)
	v_fmac_f32_e32 v9, v12, v5
	s_delay_alu instid0(VALU_DEP_2)
	v_fmac_f32_e32 v10, v17, v5
	s_and_not1_b32 exec_lo, exec_lo, s2
	s_cbranch_execnz .LBB38_15
; %bb.16:
	s_or_b32 exec_lo, exec_lo, s2
.LBB38_17:
	s_delay_alu instid0(SALU_CYCLE_1)
	s_or_b32 exec_lo, exec_lo, s3
.LBB38_18:
	v_mbcnt_lo_u32_b32 v2, -1, 0
	s_mov_b32 s2, -1
	s_delay_alu instid0(VALU_DEP_1) | instskip(SKIP_2) | instid1(VALU_DEP_3)
	v_xor_b32_e32 v3, 16, v2
	v_xor_b32_e32 v5, 8, v2
	;; [unrolled: 1-line block ×3, first 2 shown]
	v_cmp_gt_i32_e32 vcc_lo, 32, v3
	v_cndmask_b32_e32 v3, v2, v3, vcc_lo
	s_delay_alu instid0(VALU_DEP_4) | instskip(NEXT) | instid1(VALU_DEP_2)
	v_cmp_gt_i32_e32 vcc_lo, 32, v5
	v_lshlrev_b32_e32 v3, 2, v3
	v_cndmask_b32_e32 v5, v2, v5, vcc_lo
	v_cmp_gt_i32_e32 vcc_lo, 32, v7
	ds_bpermute_b32 v4, v3, v9
	v_lshlrev_b32_e32 v5, 2, v5
	v_cndmask_b32_e32 v7, v2, v7, vcc_lo
	s_waitcnt lgkmcnt(0)
	s_delay_alu instid0(VALU_DEP_1)
	v_dual_add_f32 v4, v9, v4 :: v_dual_lshlrev_b32 v7, 2, v7
	ds_bpermute_b32 v6, v5, v4
	s_waitcnt lgkmcnt(0)
	v_add_f32_e32 v4, v4, v6
	ds_bpermute_b32 v3, v3, v10
	s_waitcnt lgkmcnt(0)
	v_add_f32_e32 v3, v10, v3
	;; [unrolled: 3-line block ×3, first 2 shown]
	ds_bpermute_b32 v5, v7, v4
	ds_bpermute_b32 v6, v7, v3
	v_xor_b32_e32 v7, 2, v2
	s_delay_alu instid0(VALU_DEP_1) | instskip(SKIP_2) | instid1(VALU_DEP_1)
	v_cmp_gt_i32_e32 vcc_lo, 32, v7
	s_waitcnt lgkmcnt(1)
	v_dual_cndmask_b32 v7, v2, v7 :: v_dual_add_f32 v4, v4, v5
	v_lshlrev_b32_e32 v7, 2, v7
	s_waitcnt lgkmcnt(0)
	v_add_f32_e32 v3, v3, v6
	ds_bpermute_b32 v5, v7, v4
	ds_bpermute_b32 v6, v7, v3
	v_xor_b32_e32 v7, 1, v2
	s_delay_alu instid0(VALU_DEP_1) | instskip(SKIP_3) | instid1(VALU_DEP_2)
	v_cmp_gt_i32_e32 vcc_lo, 32, v7
	v_cndmask_b32_e32 v2, v2, v7, vcc_lo
	v_cmp_eq_u32_e32 vcc_lo, 31, v0
	s_waitcnt lgkmcnt(1)
	v_dual_add_f32 v2, v4, v5 :: v_dual_lshlrev_b32 v7, 2, v2
	s_waitcnt lgkmcnt(0)
	v_add_f32_e32 v3, v3, v6
	ds_bpermute_b32 v4, v7, v2
	ds_bpermute_b32 v5, v7, v3
	s_and_b32 exec_lo, exec_lo, vcc_lo
	s_cbranch_execz .LBB38_23
; %bb.19:
	s_load_b64 s[0:1], s[0:1], 0x38
	s_waitcnt lgkmcnt(0)
	v_dual_add_f32 v0, v2, v4 :: v_dual_add_f32 v3, v3, v5
	v_cmp_eq_f32_e64 s3, s12, 0
	s_delay_alu instid0(VALU_DEP_2) | instskip(SKIP_1) | instid1(VALU_DEP_3)
	v_dual_mul_f32 v2, s16, v0 :: v_dual_mul_f32 v3, s16, v3
	v_lshlrev_b32_e32 v0, 1, v1
	s_and_b32 vcc_lo, exec_lo, s3
	s_cbranch_vccz .LBB38_21
; %bb.20:
	s_delay_alu instid0(VALU_DEP_1) | instskip(SKIP_1) | instid1(VALU_DEP_1)
	v_ashrrev_i32_e32 v1, 31, v0
	s_mov_b32 s2, 0
	v_lshlrev_b64 v[4:5], 2, v[0:1]
	s_delay_alu instid0(VALU_DEP_1) | instskip(NEXT) | instid1(VALU_DEP_2)
	v_add_co_u32 v4, vcc_lo, s0, v4
	v_add_co_ci_u32_e32 v5, vcc_lo, s1, v5, vcc_lo
	global_store_b64 v[4:5], v[2:3], off
.LBB38_21:
	s_and_not1_b32 vcc_lo, exec_lo, s2
	s_cbranch_vccnz .LBB38_23
; %bb.22:
	v_ashrrev_i32_e32 v1, 31, v0
	s_delay_alu instid0(VALU_DEP_1) | instskip(NEXT) | instid1(VALU_DEP_1)
	v_lshlrev_b64 v[0:1], 2, v[0:1]
	v_add_co_u32 v0, vcc_lo, s0, v0
	s_delay_alu instid0(VALU_DEP_2)
	v_add_co_ci_u32_e32 v1, vcc_lo, s1, v1, vcc_lo
	global_load_b64 v[4:5], v[0:1], off
	s_waitcnt vmcnt(0)
	v_dual_fmac_f32 v2, s12, v4 :: v_dual_fmac_f32 v3, s12, v5
	global_store_b64 v[0:1], v[2:3], off
.LBB38_23:
	s_nop 0
	s_sendmsg sendmsg(MSG_DEALLOC_VGPRS)
	s_endpgm
	.section	.rodata,"a",@progbits
	.p2align	6, 0x0
	.amdhsa_kernel _ZN9rocsparseL19gebsrmvn_2xn_kernelILj128ELj9ELj32EfEEvi20rocsparse_direction_NS_24const_host_device_scalarIT2_EEPKiS6_PKS3_S8_S4_PS3_21rocsparse_index_base_b
		.amdhsa_group_segment_fixed_size 0
		.amdhsa_private_segment_fixed_size 0
		.amdhsa_kernarg_size 72
		.amdhsa_user_sgpr_count 15
		.amdhsa_user_sgpr_dispatch_ptr 0
		.amdhsa_user_sgpr_queue_ptr 0
		.amdhsa_user_sgpr_kernarg_segment_ptr 1
		.amdhsa_user_sgpr_dispatch_id 0
		.amdhsa_user_sgpr_private_segment_size 0
		.amdhsa_wavefront_size32 1
		.amdhsa_uses_dynamic_stack 0
		.amdhsa_enable_private_segment 0
		.amdhsa_system_sgpr_workgroup_id_x 1
		.amdhsa_system_sgpr_workgroup_id_y 0
		.amdhsa_system_sgpr_workgroup_id_z 0
		.amdhsa_system_sgpr_workgroup_info 0
		.amdhsa_system_vgpr_workitem_id 0
		.amdhsa_next_free_vgpr 42
		.amdhsa_next_free_sgpr 20
		.amdhsa_reserve_vcc 1
		.amdhsa_float_round_mode_32 0
		.amdhsa_float_round_mode_16_64 0
		.amdhsa_float_denorm_mode_32 3
		.amdhsa_float_denorm_mode_16_64 3
		.amdhsa_dx10_clamp 1
		.amdhsa_ieee_mode 1
		.amdhsa_fp16_overflow 0
		.amdhsa_workgroup_processor_mode 1
		.amdhsa_memory_ordered 1
		.amdhsa_forward_progress 0
		.amdhsa_shared_vgpr_count 0
		.amdhsa_exception_fp_ieee_invalid_op 0
		.amdhsa_exception_fp_denorm_src 0
		.amdhsa_exception_fp_ieee_div_zero 0
		.amdhsa_exception_fp_ieee_overflow 0
		.amdhsa_exception_fp_ieee_underflow 0
		.amdhsa_exception_fp_ieee_inexact 0
		.amdhsa_exception_int_div_zero 0
	.end_amdhsa_kernel
	.section	.text._ZN9rocsparseL19gebsrmvn_2xn_kernelILj128ELj9ELj32EfEEvi20rocsparse_direction_NS_24const_host_device_scalarIT2_EEPKiS6_PKS3_S8_S4_PS3_21rocsparse_index_base_b,"axG",@progbits,_ZN9rocsparseL19gebsrmvn_2xn_kernelILj128ELj9ELj32EfEEvi20rocsparse_direction_NS_24const_host_device_scalarIT2_EEPKiS6_PKS3_S8_S4_PS3_21rocsparse_index_base_b,comdat
.Lfunc_end38:
	.size	_ZN9rocsparseL19gebsrmvn_2xn_kernelILj128ELj9ELj32EfEEvi20rocsparse_direction_NS_24const_host_device_scalarIT2_EEPKiS6_PKS3_S8_S4_PS3_21rocsparse_index_base_b, .Lfunc_end38-_ZN9rocsparseL19gebsrmvn_2xn_kernelILj128ELj9ELj32EfEEvi20rocsparse_direction_NS_24const_host_device_scalarIT2_EEPKiS6_PKS3_S8_S4_PS3_21rocsparse_index_base_b
                                        ; -- End function
	.section	.AMDGPU.csdata,"",@progbits
; Kernel info:
; codeLenInByte = 2800
; NumSgprs: 22
; NumVgprs: 42
; ScratchSize: 0
; MemoryBound: 0
; FloatMode: 240
; IeeeMode: 1
; LDSByteSize: 0 bytes/workgroup (compile time only)
; SGPRBlocks: 2
; VGPRBlocks: 5
; NumSGPRsForWavesPerEU: 22
; NumVGPRsForWavesPerEU: 42
; Occupancy: 16
; WaveLimiterHint : 1
; COMPUTE_PGM_RSRC2:SCRATCH_EN: 0
; COMPUTE_PGM_RSRC2:USER_SGPR: 15
; COMPUTE_PGM_RSRC2:TRAP_HANDLER: 0
; COMPUTE_PGM_RSRC2:TGID_X_EN: 1
; COMPUTE_PGM_RSRC2:TGID_Y_EN: 0
; COMPUTE_PGM_RSRC2:TGID_Z_EN: 0
; COMPUTE_PGM_RSRC2:TIDIG_COMP_CNT: 0
	.section	.text._ZN9rocsparseL19gebsrmvn_2xn_kernelILj128ELj9ELj64EfEEvi20rocsparse_direction_NS_24const_host_device_scalarIT2_EEPKiS6_PKS3_S8_S4_PS3_21rocsparse_index_base_b,"axG",@progbits,_ZN9rocsparseL19gebsrmvn_2xn_kernelILj128ELj9ELj64EfEEvi20rocsparse_direction_NS_24const_host_device_scalarIT2_EEPKiS6_PKS3_S8_S4_PS3_21rocsparse_index_base_b,comdat
	.globl	_ZN9rocsparseL19gebsrmvn_2xn_kernelILj128ELj9ELj64EfEEvi20rocsparse_direction_NS_24const_host_device_scalarIT2_EEPKiS6_PKS3_S8_S4_PS3_21rocsparse_index_base_b ; -- Begin function _ZN9rocsparseL19gebsrmvn_2xn_kernelILj128ELj9ELj64EfEEvi20rocsparse_direction_NS_24const_host_device_scalarIT2_EEPKiS6_PKS3_S8_S4_PS3_21rocsparse_index_base_b
	.p2align	8
	.type	_ZN9rocsparseL19gebsrmvn_2xn_kernelILj128ELj9ELj64EfEEvi20rocsparse_direction_NS_24const_host_device_scalarIT2_EEPKiS6_PKS3_S8_S4_PS3_21rocsparse_index_base_b,@function
_ZN9rocsparseL19gebsrmvn_2xn_kernelILj128ELj9ELj64EfEEvi20rocsparse_direction_NS_24const_host_device_scalarIT2_EEPKiS6_PKS3_S8_S4_PS3_21rocsparse_index_base_b: ; @_ZN9rocsparseL19gebsrmvn_2xn_kernelILj128ELj9ELj64EfEEvi20rocsparse_direction_NS_24const_host_device_scalarIT2_EEPKiS6_PKS3_S8_S4_PS3_21rocsparse_index_base_b
; %bb.0:
	s_clause 0x2
	s_load_b64 s[18:19], s[0:1], 0x40
	s_load_b64 s[16:17], s[0:1], 0x8
	;; [unrolled: 1-line block ×3, first 2 shown]
	s_waitcnt lgkmcnt(0)
	s_bitcmp1_b32 s19, 0
	s_cselect_b32 s2, -1, 0
	s_delay_alu instid0(SALU_CYCLE_1)
	s_and_b32 vcc_lo, exec_lo, s2
	s_xor_b32 s2, s2, -1
	s_cbranch_vccnz .LBB39_2
; %bb.1:
	s_load_b32 s16, s[16:17], 0x0
.LBB39_2:
	s_and_not1_b32 vcc_lo, exec_lo, s2
	s_cbranch_vccnz .LBB39_4
; %bb.3:
	s_load_b32 s12, s[12:13], 0x0
.LBB39_4:
	s_waitcnt lgkmcnt(0)
	v_cmp_eq_f32_e64 s2, s16, 0
	v_cmp_eq_f32_e64 s3, s12, 1.0
	s_delay_alu instid0(VALU_DEP_1) | instskip(NEXT) | instid1(SALU_CYCLE_1)
	s_and_b32 s2, s2, s3
	s_and_b32 vcc_lo, exec_lo, s2
	s_cbranch_vccnz .LBB39_23
; %bb.5:
	s_load_b64 s[2:3], s[0:1], 0x0
	v_lshrrev_b32_e32 v1, 6, v0
	s_delay_alu instid0(VALU_DEP_1) | instskip(SKIP_1) | instid1(VALU_DEP_1)
	v_lshl_or_b32 v1, s15, 1, v1
	s_waitcnt lgkmcnt(0)
	v_cmp_gt_i32_e32 vcc_lo, s2, v1
	s_and_saveexec_b32 s2, vcc_lo
	s_cbranch_execz .LBB39_23
; %bb.6:
	s_load_b256 s[4:11], s[0:1], 0x10
	v_ashrrev_i32_e32 v2, 31, v1
	v_and_b32_e32 v0, 63, v0
	s_cmp_lg_u32 s3, 0
	s_delay_alu instid0(VALU_DEP_2) | instskip(SKIP_1) | instid1(VALU_DEP_1)
	v_lshlrev_b64 v[2:3], 2, v[1:2]
	s_waitcnt lgkmcnt(0)
	v_add_co_u32 v2, vcc_lo, s4, v2
	s_delay_alu instid0(VALU_DEP_2) | instskip(SKIP_4) | instid1(VALU_DEP_2)
	v_add_co_ci_u32_e32 v3, vcc_lo, s5, v3, vcc_lo
	global_load_b64 v[2:3], v[2:3], off
	s_waitcnt vmcnt(0)
	v_subrev_nc_u32_e32 v2, s18, v2
	v_subrev_nc_u32_e32 v11, s18, v3
	v_add_nc_u32_e32 v2, v2, v0
	s_delay_alu instid0(VALU_DEP_1)
	v_cmp_lt_i32_e64 s2, v2, v11
	s_cbranch_scc0 .LBB39_12
; %bb.7:
	v_dual_mov_b32 v9, 0 :: v_dual_mov_b32 v10, 0
	s_mov_b32 s3, 0
	s_delay_alu instid0(VALU_DEP_2)
	s_and_saveexec_b32 s4, s2
	s_cbranch_execz .LBB39_11
; %bb.8:
	v_mad_u64_u32 v[3:4], null, v2, 18, 16
	v_dual_mov_b32 v6, 0 :: v_dual_mov_b32 v7, v2
	v_dual_mov_b32 v9, 0 :: v_dual_mov_b32 v10, 0
	s_mov_b32 s5, 0
.LBB39_9:                               ; =>This Inner Loop Header: Depth=1
	s_delay_alu instid0(VALU_DEP_2) | instskip(NEXT) | instid1(VALU_DEP_1)
	v_ashrrev_i32_e32 v8, 31, v7
	v_lshlrev_b64 v[4:5], 2, v[7:8]
	v_add_nc_u32_e32 v7, 64, v7
	s_delay_alu instid0(VALU_DEP_2) | instskip(NEXT) | instid1(VALU_DEP_3)
	v_add_co_u32 v4, vcc_lo, s6, v4
	v_add_co_ci_u32_e32 v5, vcc_lo, s7, v5, vcc_lo
	global_load_b32 v8, v[4:5], off
	v_dual_mov_b32 v4, v6 :: v_dual_add_nc_u32 v5, -16, v3
	s_delay_alu instid0(VALU_DEP_1) | instskip(SKIP_1) | instid1(VALU_DEP_3)
	v_lshlrev_b64 v[14:15], 2, v[5:6]
	v_add_nc_u32_e32 v5, -14, v3
	v_lshlrev_b64 v[16:17], 2, v[3:4]
	s_delay_alu instid0(VALU_DEP_2) | instskip(NEXT) | instid1(VALU_DEP_4)
	v_lshlrev_b64 v[4:5], 2, v[5:6]
	v_add_co_u32 v14, vcc_lo, s8, v14
	v_add_co_ci_u32_e32 v15, vcc_lo, s9, v15, vcc_lo
	s_delay_alu instid0(VALU_DEP_4)
	v_add_co_u32 v16, vcc_lo, s8, v16
	v_add_co_ci_u32_e32 v17, vcc_lo, s9, v17, vcc_lo
	v_add_co_u32 v4, vcc_lo, s8, v4
	v_add_co_ci_u32_e32 v5, vcc_lo, s9, v5, vcc_lo
	s_clause 0x1
	global_load_b64 v[14:15], v[14:15], off
	global_load_b64 v[18:19], v[4:5], off
	v_mov_b32_e32 v13, v6
	s_waitcnt vmcnt(2)
	v_subrev_nc_u32_e32 v4, s18, v8
	s_delay_alu instid0(VALU_DEP_1) | instskip(NEXT) | instid1(VALU_DEP_1)
	v_lshl_add_u32 v12, v4, 3, v4
	v_add_nc_u32_e32 v5, 1, v12
	v_lshlrev_b64 v[20:21], 2, v[12:13]
	s_delay_alu instid0(VALU_DEP_2) | instskip(SKIP_1) | instid1(VALU_DEP_3)
	v_lshlrev_b64 v[22:23], 2, v[5:6]
	v_add_nc_u32_e32 v5, -12, v3
	v_add_co_u32 v20, vcc_lo, s10, v20
	s_delay_alu instid0(VALU_DEP_4) | instskip(NEXT) | instid1(VALU_DEP_4)
	v_add_co_ci_u32_e32 v21, vcc_lo, s11, v21, vcc_lo
	v_add_co_u32 v22, vcc_lo, s10, v22
	s_delay_alu instid0(VALU_DEP_4)
	v_lshlrev_b64 v[24:25], 2, v[5:6]
	v_add_nc_u32_e32 v5, 2, v12
	v_add_co_ci_u32_e32 v23, vcc_lo, s11, v23, vcc_lo
	s_clause 0x1
	global_load_b32 v8, v[20:21], off
	global_load_b32 v36, v[22:23], off
	v_lshlrev_b64 v[20:21], 2, v[5:6]
	v_add_nc_u32_e32 v5, -10, v3
	v_add_co_u32 v22, vcc_lo, s8, v24
	v_add_co_ci_u32_e32 v23, vcc_lo, s9, v25, vcc_lo
	s_delay_alu instid0(VALU_DEP_3) | instskip(SKIP_3) | instid1(VALU_DEP_3)
	v_lshlrev_b64 v[24:25], 2, v[5:6]
	v_add_nc_u32_e32 v5, 3, v12
	v_add_co_u32 v20, vcc_lo, s10, v20
	v_add_co_ci_u32_e32 v21, vcc_lo, s11, v21, vcc_lo
	v_lshlrev_b64 v[26:27], 2, v[5:6]
	v_add_nc_u32_e32 v5, -8, v3
	global_load_b64 v[22:23], v[22:23], off
	global_load_b32 v37, v[20:21], off
	v_add_co_u32 v20, vcc_lo, s8, v24
	v_add_co_ci_u32_e32 v21, vcc_lo, s9, v25, vcc_lo
	v_lshlrev_b64 v[24:25], 2, v[5:6]
	v_add_nc_u32_e32 v5, 4, v12
	v_add_co_u32 v26, vcc_lo, s10, v26
	v_add_co_ci_u32_e32 v27, vcc_lo, s11, v27, vcc_lo
	s_delay_alu instid0(VALU_DEP_3) | instskip(SKIP_3) | instid1(VALU_DEP_4)
	v_lshlrev_b64 v[28:29], 2, v[5:6]
	v_add_co_u32 v24, vcc_lo, s8, v24
	v_add_co_ci_u32_e32 v25, vcc_lo, s9, v25, vcc_lo
	v_add_nc_u32_e32 v5, -6, v3
	v_add_co_u32 v28, vcc_lo, s10, v28
	v_add_co_ci_u32_e32 v29, vcc_lo, s11, v29, vcc_lo
	global_load_b32 v38, v[26:27], off
	s_clause 0x1
	global_load_b64 v[24:25], v[24:25], off
	global_load_b64 v[20:21], v[20:21], off
	global_load_b32 v39, v[28:29], off
	v_lshlrev_b64 v[26:27], 2, v[5:6]
	v_add_nc_u32_e32 v5, 5, v12
	s_delay_alu instid0(VALU_DEP_1) | instskip(SKIP_1) | instid1(VALU_DEP_4)
	v_lshlrev_b64 v[30:31], 2, v[5:6]
	v_add_nc_u32_e32 v5, -4, v3
	v_add_co_u32 v26, vcc_lo, s8, v26
	v_add_co_ci_u32_e32 v27, vcc_lo, s9, v27, vcc_lo
	s_delay_alu instid0(VALU_DEP_3) | instskip(SKIP_3) | instid1(VALU_DEP_3)
	v_lshlrev_b64 v[28:29], 2, v[5:6]
	v_add_nc_u32_e32 v5, 6, v12
	v_add_co_u32 v30, vcc_lo, s10, v30
	v_add_co_ci_u32_e32 v31, vcc_lo, s11, v31, vcc_lo
	v_lshlrev_b64 v[32:33], 2, v[5:6]
	v_add_co_u32 v28, vcc_lo, s8, v28
	v_add_co_ci_u32_e32 v29, vcc_lo, s9, v29, vcc_lo
	v_add_nc_u32_e32 v5, -2, v3
	s_delay_alu instid0(VALU_DEP_4)
	v_add_co_u32 v32, vcc_lo, s10, v32
	v_add_co_ci_u32_e32 v33, vcc_lo, s11, v33, vcc_lo
	global_load_b32 v40, v[30:31], off
	s_clause 0x1
	global_load_b64 v[26:27], v[26:27], off
	global_load_b64 v[28:29], v[28:29], off
	global_load_b32 v32, v[32:33], off
	v_lshlrev_b64 v[30:31], 2, v[5:6]
	v_add_nc_u32_e32 v5, 7, v12
	v_add_nc_u32_e32 v3, 0x480, v3
	s_delay_alu instid0(VALU_DEP_2) | instskip(SKIP_3) | instid1(VALU_DEP_3)
	v_lshlrev_b64 v[34:35], 2, v[5:6]
	v_add_nc_u32_e32 v5, 8, v12
	v_add_co_u32 v12, vcc_lo, s8, v30
	v_add_co_ci_u32_e32 v13, vcc_lo, s9, v31, vcc_lo
	v_lshlrev_b64 v[4:5], 2, v[5:6]
	v_add_co_u32 v30, vcc_lo, s10, v34
	v_add_co_ci_u32_e32 v31, vcc_lo, s11, v35, vcc_lo
	global_load_b64 v[12:13], v[12:13], off
	global_load_b32 v30, v[30:31], off
	v_add_co_u32 v4, vcc_lo, s10, v4
	v_add_co_ci_u32_e32 v5, vcc_lo, s11, v5, vcc_lo
	global_load_b64 v[16:17], v[16:17], off
	global_load_b32 v4, v[4:5], off
	v_cmp_ge_i32_e32 vcc_lo, v7, v11
	s_or_b32 s5, vcc_lo, s5
	s_waitcnt vmcnt(15)
	v_fmac_f32_e32 v9, v14, v8
	v_fmac_f32_e32 v10, v15, v8
	s_waitcnt vmcnt(14)
	s_delay_alu instid0(VALU_DEP_2) | instskip(SKIP_1) | instid1(VALU_DEP_1)
	v_fmac_f32_e32 v9, v18, v36
	s_waitcnt vmcnt(12)
	v_dual_fmac_f32 v10, v19, v36 :: v_dual_fmac_f32 v9, v22, v37
	s_waitcnt vmcnt(9)
	s_delay_alu instid0(VALU_DEP_1) | instskip(SKIP_1) | instid1(VALU_DEP_1)
	v_dual_fmac_f32 v10, v23, v37 :: v_dual_fmac_f32 v9, v20, v38
	s_waitcnt vmcnt(8)
	v_dual_fmac_f32 v10, v21, v38 :: v_dual_fmac_f32 v9, v24, v39
	s_waitcnt vmcnt(6)
	s_delay_alu instid0(VALU_DEP_1) | instskip(NEXT) | instid1(VALU_DEP_1)
	v_dual_fmac_f32 v10, v25, v39 :: v_dual_fmac_f32 v9, v26, v40
	v_fmac_f32_e32 v10, v27, v40
	s_waitcnt vmcnt(4)
	s_delay_alu instid0(VALU_DEP_2) | instskip(SKIP_1) | instid1(VALU_DEP_1)
	v_fmac_f32_e32 v9, v28, v32
	s_waitcnt vmcnt(2)
	v_dual_fmac_f32 v10, v29, v32 :: v_dual_fmac_f32 v9, v12, v30
	s_waitcnt vmcnt(0)
	s_delay_alu instid0(VALU_DEP_1) | instskip(NEXT) | instid1(VALU_DEP_1)
	v_dual_fmac_f32 v10, v13, v30 :: v_dual_fmac_f32 v9, v16, v4
	v_fmac_f32_e32 v10, v17, v4
	s_and_not1_b32 exec_lo, exec_lo, s5
	s_cbranch_execnz .LBB39_9
; %bb.10:
	s_or_b32 exec_lo, exec_lo, s5
.LBB39_11:
	s_delay_alu instid0(SALU_CYCLE_1) | instskip(NEXT) | instid1(SALU_CYCLE_1)
	s_or_b32 exec_lo, exec_lo, s4
	s_and_not1_b32 vcc_lo, exec_lo, s3
	s_cbranch_vccz .LBB39_13
	s_branch .LBB39_18
.LBB39_12:
                                        ; implicit-def: $vgpr9
                                        ; implicit-def: $vgpr10
.LBB39_13:
	v_dual_mov_b32 v9, 0 :: v_dual_mov_b32 v10, 0
	s_delay_alu instid0(VALU_DEP_2)
	s_and_saveexec_b32 s3, s2
	s_cbranch_execz .LBB39_17
; %bb.14:
	v_mad_u64_u32 v[4:5], null, v2, 18, 17
	v_dual_mov_b32 v7, 0 :: v_dual_mov_b32 v10, 0
	v_mov_b32_e32 v9, 0
	s_mov_b32 s2, 0
.LBB39_15:                              ; =>This Inner Loop Header: Depth=1
	v_ashrrev_i32_e32 v3, 31, v2
	s_delay_alu instid0(VALU_DEP_3) | instskip(SKIP_1) | instid1(VALU_DEP_3)
	v_dual_mov_b32 v13, v7 :: v_dual_add_nc_u32 v12, -8, v4
	v_mov_b32_e32 v14, v7
	v_lshlrev_b64 v[5:6], 2, v[2:3]
	v_add_nc_u32_e32 v2, 64, v2
	s_delay_alu instid0(VALU_DEP_4) | instskip(NEXT) | instid1(VALU_DEP_3)
	v_lshlrev_b64 v[12:13], 2, v[12:13]
	v_add_co_u32 v5, vcc_lo, s6, v5
	s_delay_alu instid0(VALU_DEP_4) | instskip(SKIP_2) | instid1(VALU_DEP_1)
	v_add_co_ci_u32_e32 v6, vcc_lo, s7, v6, vcc_lo
	global_load_b32 v3, v[5:6], off
	v_subrev_nc_u32_e32 v6, 17, v4
	v_lshlrev_b64 v[15:16], 2, v[6:7]
	s_delay_alu instid0(VALU_DEP_1) | instskip(NEXT) | instid1(VALU_DEP_2)
	v_add_co_u32 v15, vcc_lo, s8, v15
	v_add_co_ci_u32_e32 v16, vcc_lo, s9, v16, vcc_lo
	v_add_co_u32 v12, vcc_lo, s8, v12
	v_add_co_ci_u32_e32 v13, vcc_lo, s9, v13, vcc_lo
	s_clause 0x1
	global_load_b64 v[15:16], v[15:16], off
	global_load_b32 v8, v[12:13], off
	s_waitcnt vmcnt(2)
	v_subrev_nc_u32_e32 v3, s18, v3
	s_delay_alu instid0(VALU_DEP_1) | instskip(SKIP_1) | instid1(VALU_DEP_2)
	v_lshl_add_u32 v13, v3, 3, v3
	v_mov_b32_e32 v5, v7
	v_lshlrev_b64 v[19:20], 2, v[13:14]
	s_delay_alu instid0(VALU_DEP_2) | instskip(NEXT) | instid1(VALU_DEP_1)
	v_lshlrev_b64 v[5:6], 2, v[4:5]
	v_add_co_u32 v17, vcc_lo, s8, v5
	s_delay_alu instid0(VALU_DEP_2) | instskip(SKIP_3) | instid1(VALU_DEP_3)
	v_add_co_ci_u32_e32 v18, vcc_lo, s9, v6, vcc_lo
	v_add_nc_u32_e32 v6, 1, v13
	v_add_co_u32 v19, vcc_lo, s10, v19
	v_add_co_ci_u32_e32 v20, vcc_lo, s11, v20, vcc_lo
	v_lshlrev_b64 v[21:22], 2, v[6:7]
	global_load_b32 v3, v[19:20], off
	v_add_nc_u32_e32 v6, -7, v4
	v_add_co_u32 v19, vcc_lo, s10, v21
	v_add_co_ci_u32_e32 v20, vcc_lo, s11, v22, vcc_lo
	global_load_b32 v14, v[19:20], off
	s_waitcnt vmcnt(1)
	v_fmac_f32_e32 v9, v15, v3
	v_lshlrev_b64 v[23:24], 2, v[6:7]
	v_add_nc_u32_e32 v6, -15, v4
	v_fmac_f32_e32 v10, v8, v3
	s_delay_alu instid0(VALU_DEP_3) | instskip(NEXT) | instid1(VALU_DEP_4)
	v_add_co_u32 v23, vcc_lo, s8, v23
	v_add_co_ci_u32_e32 v24, vcc_lo, s9, v24, vcc_lo
	s_waitcnt vmcnt(0)
	v_fmac_f32_e32 v9, v16, v14
	v_lshlrev_b64 v[21:22], 2, v[6:7]
	v_add_nc_u32_e32 v6, 2, v13
	global_load_b32 v25, v[23:24], off
	v_lshlrev_b64 v[19:20], 2, v[6:7]
	v_add_co_u32 v21, vcc_lo, s8, v21
	v_add_nc_u32_e32 v6, -6, v4
	v_add_co_ci_u32_e32 v22, vcc_lo, s9, v22, vcc_lo
	s_delay_alu instid0(VALU_DEP_4)
	v_add_co_u32 v19, vcc_lo, s10, v19
	v_add_co_ci_u32_e32 v20, vcc_lo, s11, v20, vcc_lo
	global_load_b32 v26, v[21:22], off
	v_lshlrev_b64 v[23:24], 2, v[6:7]
	v_add_nc_u32_e32 v6, -14, v4
	global_load_b32 v27, v[19:20], off
	v_add_co_u32 v19, vcc_lo, s8, v23
	v_add_co_ci_u32_e32 v20, vcc_lo, s9, v24, vcc_lo
	global_load_b32 v28, v[19:20], off
	v_lshlrev_b64 v[21:22], 2, v[6:7]
	v_add_nc_u32_e32 v6, 3, v13
	s_delay_alu instid0(VALU_DEP_1) | instskip(SKIP_1) | instid1(VALU_DEP_4)
	v_lshlrev_b64 v[23:24], 2, v[6:7]
	v_add_nc_u32_e32 v6, -5, v4
	v_add_co_u32 v21, vcc_lo, s8, v21
	v_add_co_ci_u32_e32 v22, vcc_lo, s9, v22, vcc_lo
	s_delay_alu instid0(VALU_DEP_3)
	v_lshlrev_b64 v[19:20], 2, v[6:7]
	v_add_nc_u32_e32 v6, -13, v4
	global_load_b32 v29, v[21:22], off
	v_add_co_u32 v21, vcc_lo, s10, v23
	v_add_co_ci_u32_e32 v22, vcc_lo, s11, v24, vcc_lo
	v_lshlrev_b64 v[23:24], 2, v[6:7]
	v_add_nc_u32_e32 v6, 4, v13
	v_add_co_u32 v19, vcc_lo, s8, v19
	v_add_co_ci_u32_e32 v20, vcc_lo, s9, v20, vcc_lo
	global_load_b32 v30, v[21:22], off
	v_lshlrev_b64 v[21:22], 2, v[6:7]
	v_add_nc_u32_e32 v6, -4, v4
	global_load_b32 v31, v[19:20], off
	v_add_co_u32 v19, vcc_lo, s8, v23
	v_add_co_ci_u32_e32 v20, vcc_lo, s9, v24, vcc_lo
	v_lshlrev_b64 v[23:24], 2, v[6:7]
	v_add_nc_u32_e32 v6, -12, v4
	v_add_co_u32 v21, vcc_lo, s10, v21
	v_add_co_ci_u32_e32 v22, vcc_lo, s11, v22, vcc_lo
	global_load_b32 v32, v[19:20], off
	v_lshlrev_b64 v[19:20], 2, v[6:7]
	v_add_nc_u32_e32 v6, 5, v13
	global_load_b32 v33, v[21:22], off
	v_add_co_u32 v21, vcc_lo, s8, v23
	v_add_co_ci_u32_e32 v22, vcc_lo, s9, v24, vcc_lo
	v_add_co_u32 v19, vcc_lo, s8, v19
	v_lshlrev_b64 v[23:24], 2, v[6:7]
	v_add_nc_u32_e32 v6, -3, v4
	v_add_co_ci_u32_e32 v20, vcc_lo, s9, v20, vcc_lo
	s_clause 0x1
	global_load_b32 v34, v[21:22], off
	global_load_b32 v35, v[19:20], off
	v_lshlrev_b64 v[21:22], 2, v[6:7]
	v_add_nc_u32_e32 v6, -11, v4
	v_add_co_u32 v19, vcc_lo, s10, v23
	v_add_co_ci_u32_e32 v20, vcc_lo, s11, v24, vcc_lo
	s_delay_alu instid0(VALU_DEP_3)
	v_lshlrev_b64 v[23:24], 2, v[6:7]
	v_add_nc_u32_e32 v6, 6, v13
	v_add_co_u32 v21, vcc_lo, s8, v21
	v_add_co_ci_u32_e32 v22, vcc_lo, s9, v22, vcc_lo
	global_load_b32 v36, v[19:20], off
	v_lshlrev_b64 v[19:20], 2, v[6:7]
	v_add_nc_u32_e32 v6, -2, v4
	global_load_b32 v37, v[21:22], off
	v_add_co_u32 v21, vcc_lo, s8, v23
	v_add_co_ci_u32_e32 v22, vcc_lo, s9, v24, vcc_lo
	v_add_co_u32 v19, vcc_lo, s10, v19
	v_lshlrev_b64 v[23:24], 2, v[6:7]
	v_add_co_ci_u32_e32 v20, vcc_lo, s11, v20, vcc_lo
	v_add_nc_u32_e32 v6, -10, v4
	global_load_b32 v38, v[21:22], off
	global_load_b32 v39, v[19:20], off
	v_add_co_u32 v19, vcc_lo, s8, v23
	v_add_co_ci_u32_e32 v20, vcc_lo, s9, v24, vcc_lo
	global_load_b32 v40, v[19:20], off
	v_lshlrev_b64 v[21:22], 2, v[6:7]
	v_add_nc_u32_e32 v6, 7, v13
	s_delay_alu instid0(VALU_DEP_1) | instskip(SKIP_1) | instid1(VALU_DEP_4)
	v_lshlrev_b64 v[23:24], 2, v[6:7]
	v_add_nc_u32_e32 v6, -1, v4
	v_add_co_u32 v21, vcc_lo, s8, v21
	v_add_co_ci_u32_e32 v22, vcc_lo, s9, v22, vcc_lo
	s_delay_alu instid0(VALU_DEP_3)
	v_lshlrev_b64 v[19:20], 2, v[6:7]
	v_add_nc_u32_e32 v6, -9, v4
	v_add_nc_u32_e32 v4, 0x480, v4
	global_load_b32 v41, v[21:22], off
	v_add_co_u32 v21, vcc_lo, s10, v23
	v_add_co_ci_u32_e32 v22, vcc_lo, s11, v24, vcc_lo
	v_lshlrev_b64 v[23:24], 2, v[6:7]
	v_add_nc_u32_e32 v6, 8, v13
	v_add_co_u32 v12, vcc_lo, s8, v19
	v_add_co_ci_u32_e32 v13, vcc_lo, s9, v20, vcc_lo
	s_delay_alu instid0(VALU_DEP_3)
	v_lshlrev_b64 v[5:6], 2, v[6:7]
	global_load_b32 v19, v[21:22], off
	global_load_b32 v20, v[12:13], off
	v_add_co_u32 v12, vcc_lo, s8, v23
	v_add_co_ci_u32_e32 v13, vcc_lo, s9, v24, vcc_lo
	v_add_co_u32 v5, vcc_lo, s10, v5
	v_add_co_ci_u32_e32 v6, vcc_lo, s11, v6, vcc_lo
	s_clause 0x1
	global_load_b32 v17, v[17:18], off
	global_load_b32 v12, v[12:13], off
	;; [unrolled: 1-line block ×3, first 2 shown]
	v_cmp_ge_i32_e32 vcc_lo, v2, v11
	s_or_b32 s2, vcc_lo, s2
	s_waitcnt vmcnt(19)
	v_dual_fmac_f32 v10, v25, v14 :: v_dual_fmac_f32 v9, v26, v27
	s_waitcnt vmcnt(16)
	s_delay_alu instid0(VALU_DEP_1) | instskip(SKIP_1) | instid1(VALU_DEP_1)
	v_dual_fmac_f32 v10, v28, v27 :: v_dual_fmac_f32 v9, v29, v30
	s_waitcnt vmcnt(13)
	v_dual_fmac_f32 v10, v31, v30 :: v_dual_fmac_f32 v9, v32, v33
	s_waitcnt vmcnt(10)
	s_delay_alu instid0(VALU_DEP_1) | instskip(SKIP_1) | instid1(VALU_DEP_1)
	v_dual_fmac_f32 v10, v34, v33 :: v_dual_fmac_f32 v9, v35, v36
	s_waitcnt vmcnt(7)
	v_dual_fmac_f32 v10, v37, v36 :: v_dual_fmac_f32 v9, v38, v39
	s_waitcnt vmcnt(6)
	s_delay_alu instid0(VALU_DEP_1) | instskip(SKIP_1) | instid1(VALU_DEP_2)
	v_fmac_f32_e32 v10, v40, v39
	s_waitcnt vmcnt(4)
	v_fmac_f32_e32 v9, v41, v19
	s_waitcnt vmcnt(3)
	s_delay_alu instid0(VALU_DEP_2) | instskip(SKIP_1) | instid1(VALU_DEP_2)
	v_fmac_f32_e32 v10, v20, v19
	s_waitcnt vmcnt(0)
	v_fmac_f32_e32 v9, v12, v5
	s_delay_alu instid0(VALU_DEP_2)
	v_fmac_f32_e32 v10, v17, v5
	s_and_not1_b32 exec_lo, exec_lo, s2
	s_cbranch_execnz .LBB39_15
; %bb.16:
	s_or_b32 exec_lo, exec_lo, s2
.LBB39_17:
	s_delay_alu instid0(SALU_CYCLE_1)
	s_or_b32 exec_lo, exec_lo, s3
.LBB39_18:
	v_mbcnt_lo_u32_b32 v2, -1, 0
	s_mov_b32 s2, -1
	s_delay_alu instid0(VALU_DEP_1) | instskip(SKIP_2) | instid1(VALU_DEP_3)
	v_or_b32_e32 v3, 32, v2
	v_xor_b32_e32 v5, 16, v2
	v_xor_b32_e32 v7, 8, v2
	v_cmp_gt_i32_e32 vcc_lo, 32, v3
	v_cndmask_b32_e32 v3, v2, v3, vcc_lo
	s_delay_alu instid0(VALU_DEP_4) | instskip(NEXT) | instid1(VALU_DEP_2)
	v_cmp_gt_i32_e32 vcc_lo, 32, v5
	v_lshlrev_b32_e32 v3, 2, v3
	v_cndmask_b32_e32 v5, v2, v5, vcc_lo
	v_cmp_gt_i32_e32 vcc_lo, 32, v7
	ds_bpermute_b32 v4, v3, v9
	v_lshlrev_b32_e32 v5, 2, v5
	v_cndmask_b32_e32 v7, v2, v7, vcc_lo
	s_waitcnt lgkmcnt(0)
	s_delay_alu instid0(VALU_DEP_1)
	v_dual_add_f32 v4, v9, v4 :: v_dual_lshlrev_b32 v7, 2, v7
	ds_bpermute_b32 v6, v5, v4
	s_waitcnt lgkmcnt(0)
	v_add_f32_e32 v4, v4, v6
	ds_bpermute_b32 v3, v3, v10
	s_waitcnt lgkmcnt(0)
	v_add_f32_e32 v3, v10, v3
	;; [unrolled: 3-line block ×3, first 2 shown]
	ds_bpermute_b32 v5, v7, v4
	ds_bpermute_b32 v6, v7, v3
	v_xor_b32_e32 v7, 4, v2
	s_delay_alu instid0(VALU_DEP_1) | instskip(SKIP_2) | instid1(VALU_DEP_1)
	v_cmp_gt_i32_e32 vcc_lo, 32, v7
	s_waitcnt lgkmcnt(1)
	v_dual_cndmask_b32 v7, v2, v7 :: v_dual_add_f32 v4, v4, v5
	v_lshlrev_b32_e32 v7, 2, v7
	s_waitcnt lgkmcnt(0)
	v_add_f32_e32 v3, v3, v6
	ds_bpermute_b32 v5, v7, v4
	ds_bpermute_b32 v6, v7, v3
	v_xor_b32_e32 v7, 2, v2
	s_delay_alu instid0(VALU_DEP_1) | instskip(SKIP_2) | instid1(VALU_DEP_1)
	v_cmp_gt_i32_e32 vcc_lo, 32, v7
	v_cndmask_b32_e32 v7, v2, v7, vcc_lo
	s_waitcnt lgkmcnt(1)
	v_dual_add_f32 v4, v4, v5 :: v_dual_lshlrev_b32 v7, 2, v7
	s_waitcnt lgkmcnt(0)
	v_add_f32_e32 v3, v3, v6
	ds_bpermute_b32 v5, v7, v4
	ds_bpermute_b32 v6, v7, v3
	v_xor_b32_e32 v7, 1, v2
	s_delay_alu instid0(VALU_DEP_1) | instskip(SKIP_3) | instid1(VALU_DEP_2)
	v_cmp_gt_i32_e32 vcc_lo, 32, v7
	v_cndmask_b32_e32 v2, v2, v7, vcc_lo
	v_cmp_eq_u32_e32 vcc_lo, 63, v0
	s_waitcnt lgkmcnt(1)
	v_dual_add_f32 v2, v4, v5 :: v_dual_lshlrev_b32 v7, 2, v2
	s_waitcnt lgkmcnt(0)
	v_add_f32_e32 v3, v3, v6
	ds_bpermute_b32 v4, v7, v2
	ds_bpermute_b32 v5, v7, v3
	s_and_b32 exec_lo, exec_lo, vcc_lo
	s_cbranch_execz .LBB39_23
; %bb.19:
	s_load_b64 s[0:1], s[0:1], 0x38
	s_waitcnt lgkmcnt(0)
	v_dual_add_f32 v0, v2, v4 :: v_dual_add_f32 v3, v3, v5
	v_cmp_eq_f32_e64 s3, s12, 0
	s_delay_alu instid0(VALU_DEP_2) | instskip(SKIP_1) | instid1(VALU_DEP_3)
	v_dual_mul_f32 v2, s16, v0 :: v_dual_mul_f32 v3, s16, v3
	v_lshlrev_b32_e32 v0, 1, v1
	s_and_b32 vcc_lo, exec_lo, s3
	s_cbranch_vccz .LBB39_21
; %bb.20:
	s_delay_alu instid0(VALU_DEP_1) | instskip(SKIP_1) | instid1(VALU_DEP_1)
	v_ashrrev_i32_e32 v1, 31, v0
	s_mov_b32 s2, 0
	v_lshlrev_b64 v[4:5], 2, v[0:1]
	s_delay_alu instid0(VALU_DEP_1) | instskip(NEXT) | instid1(VALU_DEP_2)
	v_add_co_u32 v4, vcc_lo, s0, v4
	v_add_co_ci_u32_e32 v5, vcc_lo, s1, v5, vcc_lo
	global_store_b64 v[4:5], v[2:3], off
.LBB39_21:
	s_and_not1_b32 vcc_lo, exec_lo, s2
	s_cbranch_vccnz .LBB39_23
; %bb.22:
	v_ashrrev_i32_e32 v1, 31, v0
	s_delay_alu instid0(VALU_DEP_1) | instskip(NEXT) | instid1(VALU_DEP_1)
	v_lshlrev_b64 v[0:1], 2, v[0:1]
	v_add_co_u32 v0, vcc_lo, s0, v0
	s_delay_alu instid0(VALU_DEP_2)
	v_add_co_ci_u32_e32 v1, vcc_lo, s1, v1, vcc_lo
	global_load_b64 v[4:5], v[0:1], off
	s_waitcnt vmcnt(0)
	v_dual_fmac_f32 v2, s12, v4 :: v_dual_fmac_f32 v3, s12, v5
	global_store_b64 v[0:1], v[2:3], off
.LBB39_23:
	s_nop 0
	s_sendmsg sendmsg(MSG_DEALLOC_VGPRS)
	s_endpgm
	.section	.rodata,"a",@progbits
	.p2align	6, 0x0
	.amdhsa_kernel _ZN9rocsparseL19gebsrmvn_2xn_kernelILj128ELj9ELj64EfEEvi20rocsparse_direction_NS_24const_host_device_scalarIT2_EEPKiS6_PKS3_S8_S4_PS3_21rocsparse_index_base_b
		.amdhsa_group_segment_fixed_size 0
		.amdhsa_private_segment_fixed_size 0
		.amdhsa_kernarg_size 72
		.amdhsa_user_sgpr_count 15
		.amdhsa_user_sgpr_dispatch_ptr 0
		.amdhsa_user_sgpr_queue_ptr 0
		.amdhsa_user_sgpr_kernarg_segment_ptr 1
		.amdhsa_user_sgpr_dispatch_id 0
		.amdhsa_user_sgpr_private_segment_size 0
		.amdhsa_wavefront_size32 1
		.amdhsa_uses_dynamic_stack 0
		.amdhsa_enable_private_segment 0
		.amdhsa_system_sgpr_workgroup_id_x 1
		.amdhsa_system_sgpr_workgroup_id_y 0
		.amdhsa_system_sgpr_workgroup_id_z 0
		.amdhsa_system_sgpr_workgroup_info 0
		.amdhsa_system_vgpr_workitem_id 0
		.amdhsa_next_free_vgpr 42
		.amdhsa_next_free_sgpr 20
		.amdhsa_reserve_vcc 1
		.amdhsa_float_round_mode_32 0
		.amdhsa_float_round_mode_16_64 0
		.amdhsa_float_denorm_mode_32 3
		.amdhsa_float_denorm_mode_16_64 3
		.amdhsa_dx10_clamp 1
		.amdhsa_ieee_mode 1
		.amdhsa_fp16_overflow 0
		.amdhsa_workgroup_processor_mode 1
		.amdhsa_memory_ordered 1
		.amdhsa_forward_progress 0
		.amdhsa_shared_vgpr_count 0
		.amdhsa_exception_fp_ieee_invalid_op 0
		.amdhsa_exception_fp_denorm_src 0
		.amdhsa_exception_fp_ieee_div_zero 0
		.amdhsa_exception_fp_ieee_overflow 0
		.amdhsa_exception_fp_ieee_underflow 0
		.amdhsa_exception_fp_ieee_inexact 0
		.amdhsa_exception_int_div_zero 0
	.end_amdhsa_kernel
	.section	.text._ZN9rocsparseL19gebsrmvn_2xn_kernelILj128ELj9ELj64EfEEvi20rocsparse_direction_NS_24const_host_device_scalarIT2_EEPKiS6_PKS3_S8_S4_PS3_21rocsparse_index_base_b,"axG",@progbits,_ZN9rocsparseL19gebsrmvn_2xn_kernelILj128ELj9ELj64EfEEvi20rocsparse_direction_NS_24const_host_device_scalarIT2_EEPKiS6_PKS3_S8_S4_PS3_21rocsparse_index_base_b,comdat
.Lfunc_end39:
	.size	_ZN9rocsparseL19gebsrmvn_2xn_kernelILj128ELj9ELj64EfEEvi20rocsparse_direction_NS_24const_host_device_scalarIT2_EEPKiS6_PKS3_S8_S4_PS3_21rocsparse_index_base_b, .Lfunc_end39-_ZN9rocsparseL19gebsrmvn_2xn_kernelILj128ELj9ELj64EfEEvi20rocsparse_direction_NS_24const_host_device_scalarIT2_EEPKiS6_PKS3_S8_S4_PS3_21rocsparse_index_base_b
                                        ; -- End function
	.section	.AMDGPU.csdata,"",@progbits
; Kernel info:
; codeLenInByte = 2852
; NumSgprs: 22
; NumVgprs: 42
; ScratchSize: 0
; MemoryBound: 0
; FloatMode: 240
; IeeeMode: 1
; LDSByteSize: 0 bytes/workgroup (compile time only)
; SGPRBlocks: 2
; VGPRBlocks: 5
; NumSGPRsForWavesPerEU: 22
; NumVGPRsForWavesPerEU: 42
; Occupancy: 16
; WaveLimiterHint : 1
; COMPUTE_PGM_RSRC2:SCRATCH_EN: 0
; COMPUTE_PGM_RSRC2:USER_SGPR: 15
; COMPUTE_PGM_RSRC2:TRAP_HANDLER: 0
; COMPUTE_PGM_RSRC2:TGID_X_EN: 1
; COMPUTE_PGM_RSRC2:TGID_Y_EN: 0
; COMPUTE_PGM_RSRC2:TGID_Z_EN: 0
; COMPUTE_PGM_RSRC2:TIDIG_COMP_CNT: 0
	.section	.text._ZN9rocsparseL19gebsrmvn_2xn_kernelILj128ELj10ELj4EfEEvi20rocsparse_direction_NS_24const_host_device_scalarIT2_EEPKiS6_PKS3_S8_S4_PS3_21rocsparse_index_base_b,"axG",@progbits,_ZN9rocsparseL19gebsrmvn_2xn_kernelILj128ELj10ELj4EfEEvi20rocsparse_direction_NS_24const_host_device_scalarIT2_EEPKiS6_PKS3_S8_S4_PS3_21rocsparse_index_base_b,comdat
	.globl	_ZN9rocsparseL19gebsrmvn_2xn_kernelILj128ELj10ELj4EfEEvi20rocsparse_direction_NS_24const_host_device_scalarIT2_EEPKiS6_PKS3_S8_S4_PS3_21rocsparse_index_base_b ; -- Begin function _ZN9rocsparseL19gebsrmvn_2xn_kernelILj128ELj10ELj4EfEEvi20rocsparse_direction_NS_24const_host_device_scalarIT2_EEPKiS6_PKS3_S8_S4_PS3_21rocsparse_index_base_b
	.p2align	8
	.type	_ZN9rocsparseL19gebsrmvn_2xn_kernelILj128ELj10ELj4EfEEvi20rocsparse_direction_NS_24const_host_device_scalarIT2_EEPKiS6_PKS3_S8_S4_PS3_21rocsparse_index_base_b,@function
_ZN9rocsparseL19gebsrmvn_2xn_kernelILj128ELj10ELj4EfEEvi20rocsparse_direction_NS_24const_host_device_scalarIT2_EEPKiS6_PKS3_S8_S4_PS3_21rocsparse_index_base_b: ; @_ZN9rocsparseL19gebsrmvn_2xn_kernelILj128ELj10ELj4EfEEvi20rocsparse_direction_NS_24const_host_device_scalarIT2_EEPKiS6_PKS3_S8_S4_PS3_21rocsparse_index_base_b
; %bb.0:
	s_clause 0x2
	s_load_b64 s[18:19], s[0:1], 0x40
	s_load_b64 s[16:17], s[0:1], 0x8
	;; [unrolled: 1-line block ×3, first 2 shown]
	s_waitcnt lgkmcnt(0)
	s_bitcmp1_b32 s19, 0
	s_cselect_b32 s2, -1, 0
	s_delay_alu instid0(SALU_CYCLE_1)
	s_and_b32 vcc_lo, exec_lo, s2
	s_xor_b32 s2, s2, -1
	s_cbranch_vccnz .LBB40_2
; %bb.1:
	s_load_b32 s16, s[16:17], 0x0
.LBB40_2:
	s_and_not1_b32 vcc_lo, exec_lo, s2
	s_cbranch_vccnz .LBB40_4
; %bb.3:
	s_load_b32 s12, s[12:13], 0x0
.LBB40_4:
	s_waitcnt lgkmcnt(0)
	v_cmp_eq_f32_e64 s2, s16, 0
	v_cmp_eq_f32_e64 s3, s12, 1.0
	s_delay_alu instid0(VALU_DEP_1) | instskip(NEXT) | instid1(SALU_CYCLE_1)
	s_and_b32 s2, s2, s3
	s_and_b32 vcc_lo, exec_lo, s2
	s_cbranch_vccnz .LBB40_23
; %bb.5:
	s_load_b64 s[2:3], s[0:1], 0x0
	v_lshrrev_b32_e32 v1, 2, v0
	s_delay_alu instid0(VALU_DEP_1) | instskip(SKIP_1) | instid1(VALU_DEP_1)
	v_lshl_or_b32 v1, s15, 5, v1
	s_waitcnt lgkmcnt(0)
	v_cmp_gt_i32_e32 vcc_lo, s2, v1
	s_and_saveexec_b32 s2, vcc_lo
	s_cbranch_execz .LBB40_23
; %bb.6:
	s_load_b256 s[4:11], s[0:1], 0x10
	v_ashrrev_i32_e32 v2, 31, v1
	v_and_b32_e32 v0, 3, v0
	s_cmp_lg_u32 s3, 0
	s_delay_alu instid0(VALU_DEP_2) | instskip(SKIP_1) | instid1(VALU_DEP_1)
	v_lshlrev_b64 v[2:3], 2, v[1:2]
	s_waitcnt lgkmcnt(0)
	v_add_co_u32 v2, vcc_lo, s4, v2
	s_delay_alu instid0(VALU_DEP_2) | instskip(SKIP_4) | instid1(VALU_DEP_2)
	v_add_co_ci_u32_e32 v3, vcc_lo, s5, v3, vcc_lo
	global_load_b64 v[2:3], v[2:3], off
	s_waitcnt vmcnt(0)
	v_subrev_nc_u32_e32 v2, s18, v2
	v_subrev_nc_u32_e32 v10, s18, v3
	v_add_nc_u32_e32 v2, v2, v0
	s_delay_alu instid0(VALU_DEP_1)
	v_cmp_lt_i32_e64 s2, v2, v10
	s_cbranch_scc0 .LBB40_12
; %bb.7:
	v_mov_b32_e32 v9, 0
	v_mov_b32_e32 v11, 0
	s_mov_b32 s4, 0
	s_and_saveexec_b32 s5, s2
	s_cbranch_execz .LBB40_11
; %bb.8:
	v_mad_u64_u32 v[3:4], null, v2, 20, 18
	v_dual_mov_b32 v6, 0 :: v_dual_mov_b32 v7, v2
	v_mov_b32_e32 v9, 0
	v_mov_b32_e32 v11, 0
	s_mov_b32 s13, 0
.LBB40_9:                               ; =>This Inner Loop Header: Depth=1
	s_delay_alu instid0(VALU_DEP_3) | instskip(SKIP_1) | instid1(VALU_DEP_2)
	v_ashrrev_i32_e32 v8, 31, v7
	v_mov_b32_e32 v17, v6
	v_lshlrev_b64 v[4:5], 2, v[7:8]
	v_add_nc_u32_e32 v7, 4, v7
	s_delay_alu instid0(VALU_DEP_2) | instskip(NEXT) | instid1(VALU_DEP_3)
	v_add_co_u32 v4, vcc_lo, s6, v4
	v_add_co_ci_u32_e32 v5, vcc_lo, s7, v5, vcc_lo
	global_load_b32 v8, v[4:5], off
	v_subrev_nc_u32_e32 v5, 18, v3
	v_mov_b32_e32 v4, v6
	s_delay_alu instid0(VALU_DEP_2) | instskip(SKIP_1) | instid1(VALU_DEP_3)
	v_lshlrev_b64 v[12:13], 2, v[5:6]
	v_add_nc_u32_e32 v5, -14, v3
	v_lshlrev_b64 v[18:19], 2, v[3:4]
	s_delay_alu instid0(VALU_DEP_2) | instskip(NEXT) | instid1(VALU_DEP_4)
	v_lshlrev_b64 v[4:5], 2, v[5:6]
	v_add_co_u32 v12, vcc_lo, s8, v12
	v_add_co_ci_u32_e32 v13, vcc_lo, s9, v13, vcc_lo
	s_delay_alu instid0(VALU_DEP_4) | instskip(NEXT) | instid1(VALU_DEP_4)
	v_add_co_u32 v18, vcc_lo, s8, v18
	v_add_co_u32 v4, s3, s8, v4
	s_delay_alu instid0(VALU_DEP_1)
	v_add_co_ci_u32_e64 v5, s3, s9, v5, s3
	s_clause 0x1
	global_load_b128 v[12:15], v[12:13], off
	global_load_b64 v[20:21], v[4:5], off
	v_add_co_ci_u32_e32 v19, vcc_lo, s9, v19, vcc_lo
	v_cmp_ge_i32_e32 vcc_lo, v7, v10
	s_or_b32 s13, vcc_lo, s13
	s_waitcnt vmcnt(2)
	v_subrev_nc_u32_e32 v4, s18, v8
	s_delay_alu instid0(VALU_DEP_1) | instskip(NEXT) | instid1(VALU_DEP_1)
	v_mul_lo_u32 v16, v4, 10
	v_add_nc_u32_e32 v5, 2, v16
	v_lshlrev_b64 v[22:23], 2, v[16:17]
	s_delay_alu instid0(VALU_DEP_2) | instskip(SKIP_1) | instid1(VALU_DEP_3)
	v_lshlrev_b64 v[24:25], 2, v[5:6]
	v_add_nc_u32_e32 v5, -12, v3
	v_add_co_u32 v22, s3, s10, v22
	s_delay_alu instid0(VALU_DEP_1) | instskip(NEXT) | instid1(VALU_DEP_3)
	v_add_co_ci_u32_e64 v23, s3, s11, v23, s3
	v_lshlrev_b64 v[26:27], 2, v[5:6]
	v_add_nc_u32_e32 v5, -10, v3
	v_add_co_u32 v24, s3, s10, v24
	global_load_b64 v[22:23], v[22:23], off
	v_add_co_ci_u32_e64 v25, s3, s11, v25, s3
	v_lshlrev_b64 v[28:29], 2, v[5:6]
	v_add_nc_u32_e32 v5, 4, v16
	v_add_co_u32 v26, s3, s8, v26
	global_load_b64 v[24:25], v[24:25], off
	v_add_co_ci_u32_e64 v27, s3, s9, v27, s3
	v_lshlrev_b64 v[30:31], 2, v[5:6]
	v_add_nc_u32_e32 v5, -8, v3
	v_add_co_u32 v28, s3, s8, v28
	s_delay_alu instid0(VALU_DEP_1) | instskip(NEXT) | instid1(VALU_DEP_3)
	v_add_co_ci_u32_e64 v29, s3, s9, v29, s3
	v_lshlrev_b64 v[32:33], 2, v[5:6]
	v_add_nc_u32_e32 v5, -6, v3
	v_add_co_u32 v30, s3, s10, v30
	s_clause 0x1
	global_load_b64 v[26:27], v[26:27], off
	global_load_b64 v[28:29], v[28:29], off
	v_lshlrev_b64 v[34:35], 2, v[5:6]
	v_add_nc_u32_e32 v5, 6, v16
	v_add_co_ci_u32_e64 v31, s3, s11, v31, s3
	v_add_co_u32 v32, s3, s8, v32
	s_delay_alu instid0(VALU_DEP_3)
	v_lshlrev_b64 v[36:37], 2, v[5:6]
	v_add_nc_u32_e32 v5, -4, v3
	v_add_co_ci_u32_e64 v33, s3, s9, v33, s3
	global_load_b64 v[30:31], v[30:31], off
	v_add_co_u32 v34, s3, s8, v34
	v_lshlrev_b64 v[38:39], 2, v[5:6]
	v_add_nc_u32_e32 v5, -2, v3
	v_add_co_ci_u32_e64 v35, s3, s9, v35, s3
	v_add_co_u32 v36, s3, s10, v36
	s_delay_alu instid0(VALU_DEP_3)
	v_lshlrev_b64 v[40:41], 2, v[5:6]
	v_add_nc_u32_e32 v5, 8, v16
	s_clause 0x1
	global_load_b64 v[32:33], v[32:33], off
	global_load_b64 v[34:35], v[34:35], off
	v_add_co_ci_u32_e64 v37, s3, s11, v37, s3
	v_add_co_u32 v16, s3, s8, v38
	v_lshlrev_b64 v[4:5], 2, v[5:6]
	v_add_co_ci_u32_e64 v17, s3, s9, v39, s3
	global_load_b64 v[36:37], v[36:37], off
	v_add_co_u32 v38, s3, s8, v40
	s_delay_alu instid0(VALU_DEP_1) | instskip(SKIP_2) | instid1(VALU_DEP_1)
	v_add_co_ci_u32_e64 v39, s3, s9, v41, s3
	global_load_b64 v[16:17], v[16:17], off
	v_add_co_u32 v4, s3, s10, v4
	v_add_co_ci_u32_e64 v5, s3, s11, v5, s3
	global_load_b64 v[38:39], v[38:39], off
	global_load_b64 v[4:5], v[4:5], off
	;; [unrolled: 1-line block ×3, first 2 shown]
	v_add_nc_u32_e32 v3, 0x50, v3
	s_waitcnt vmcnt(11)
	v_fmac_f32_e32 v9, v12, v22
	v_fmac_f32_e32 v11, v13, v22
	s_delay_alu instid0(VALU_DEP_2) | instskip(NEXT) | instid1(VALU_DEP_2)
	v_fmac_f32_e32 v9, v14, v23
	v_fmac_f32_e32 v11, v15, v23
	s_waitcnt vmcnt(10)
	s_delay_alu instid0(VALU_DEP_2) | instskip(NEXT) | instid1(VALU_DEP_2)
	v_fmac_f32_e32 v9, v20, v24
	v_fmac_f32_e32 v11, v21, v24
	s_waitcnt vmcnt(9)
	;; [unrolled: 4-line block ×8, first 2 shown]
	s_delay_alu instid0(VALU_DEP_2) | instskip(NEXT) | instid1(VALU_DEP_2)
	v_fmac_f32_e32 v9, v18, v5
	v_fmac_f32_e32 v11, v19, v5
	s_and_not1_b32 exec_lo, exec_lo, s13
	s_cbranch_execnz .LBB40_9
; %bb.10:
	s_or_b32 exec_lo, exec_lo, s13
.LBB40_11:
	s_delay_alu instid0(SALU_CYCLE_1) | instskip(NEXT) | instid1(SALU_CYCLE_1)
	s_or_b32 exec_lo, exec_lo, s5
	s_and_not1_b32 vcc_lo, exec_lo, s4
	s_cbranch_vccz .LBB40_13
	s_branch .LBB40_18
.LBB40_12:
                                        ; implicit-def: $vgpr9
                                        ; implicit-def: $vgpr11
.LBB40_13:
	v_mov_b32_e32 v9, 0
	v_mov_b32_e32 v11, 0
	s_delay_alu instid0(VALU_DEP_3)
	s_and_saveexec_b32 s3, s2
	s_cbranch_execz .LBB40_17
; %bb.14:
	v_mad_u64_u32 v[4:5], null, v2, 20, 19
	v_mov_b32_e32 v7, 0
	v_mov_b32_e32 v9, 0
	;; [unrolled: 1-line block ×3, first 2 shown]
	s_mov_b32 s2, 0
.LBB40_15:                              ; =>This Inner Loop Header: Depth=1
	v_ashrrev_i32_e32 v3, 31, v2
	v_dual_mov_b32 v17, v7 :: v_dual_add_nc_u32 v12, -9, v4
	v_mov_b32_e32 v13, v7
	s_delay_alu instid0(VALU_DEP_3) | instskip(SKIP_1) | instid1(VALU_DEP_2)
	v_lshlrev_b64 v[5:6], 2, v[2:3]
	v_add_nc_u32_e32 v2, 4, v2
	v_add_co_u32 v5, vcc_lo, s6, v5
	s_delay_alu instid0(VALU_DEP_3) | instskip(SKIP_2) | instid1(VALU_DEP_1)
	v_add_co_ci_u32_e32 v6, vcc_lo, s7, v6, vcc_lo
	global_load_b32 v3, v[5:6], off
	v_subrev_nc_u32_e32 v6, 19, v4
	v_lshlrev_b64 v[14:15], 2, v[6:7]
	v_add_nc_u32_e32 v6, -8, v4
	v_lshlrev_b64 v[12:13], 2, v[12:13]
	s_delay_alu instid0(VALU_DEP_3) | instskip(NEXT) | instid1(VALU_DEP_4)
	v_add_co_u32 v14, vcc_lo, s8, v14
	v_add_co_ci_u32_e32 v15, vcc_lo, s9, v15, vcc_lo
	s_delay_alu instid0(VALU_DEP_3) | instskip(NEXT) | instid1(VALU_DEP_4)
	v_add_co_u32 v20, vcc_lo, s8, v12
	v_add_co_ci_u32_e32 v21, vcc_lo, s9, v13, vcc_lo
	s_waitcnt vmcnt(0)
	v_subrev_nc_u32_e32 v3, s18, v3
	s_delay_alu instid0(VALU_DEP_1) | instskip(SKIP_1) | instid1(VALU_DEP_1)
	v_mul_lo_u32 v16, v3, 10
	v_mov_b32_e32 v5, v7
	v_lshlrev_b64 v[18:19], 2, v[4:5]
	v_lshlrev_b64 v[5:6], 2, v[6:7]
	s_delay_alu instid0(VALU_DEP_2) | instskip(NEXT) | instid1(VALU_DEP_3)
	v_add_co_u32 v18, vcc_lo, s8, v18
	v_add_co_ci_u32_e32 v19, vcc_lo, s9, v19, vcc_lo
	s_delay_alu instid0(VALU_DEP_3) | instskip(NEXT) | instid1(VALU_DEP_4)
	v_add_co_u32 v5, vcc_lo, s8, v5
	v_add_co_ci_u32_e32 v6, vcc_lo, s9, v6, vcc_lo
	s_clause 0x2
	global_load_b128 v[12:15], v[14:15], off
	global_load_b32 v8, v[20:21], off
	global_load_b32 v34, v[5:6], off
	v_add_nc_u32_e32 v6, 2, v16
	v_lshlrev_b64 v[20:21], 2, v[16:17]
	s_delay_alu instid0(VALU_DEP_2) | instskip(NEXT) | instid1(VALU_DEP_2)
	v_lshlrev_b64 v[22:23], 2, v[6:7]
	v_add_co_u32 v20, vcc_lo, s10, v20
	s_delay_alu instid0(VALU_DEP_3) | instskip(NEXT) | instid1(VALU_DEP_3)
	v_add_co_ci_u32_e32 v21, vcc_lo, s11, v21, vcc_lo
	v_add_co_u32 v22, vcc_lo, s10, v22
	s_delay_alu instid0(VALU_DEP_4)
	v_add_co_ci_u32_e32 v23, vcc_lo, s11, v23, vcc_lo
	s_clause 0x1
	global_load_b64 v[20:21], v[20:21], off
	global_load_b64 v[22:23], v[22:23], off
	s_waitcnt vmcnt(1)
	v_fmac_f32_e32 v9, v12, v20
	v_add_nc_u32_e32 v6, -7, v4
	v_fmac_f32_e32 v11, v8, v20
	s_delay_alu instid0(VALU_DEP_3) | instskip(NEXT) | instid1(VALU_DEP_3)
	v_fmac_f32_e32 v9, v13, v21
	v_lshlrev_b64 v[24:25], 2, v[6:7]
	s_delay_alu instid0(VALU_DEP_3) | instskip(SKIP_1) | instid1(VALU_DEP_3)
	v_dual_fmac_f32 v11, v34, v21 :: v_dual_add_nc_u32 v6, -6, v4
	s_waitcnt vmcnt(0)
	v_fmac_f32_e32 v9, v14, v22
	s_delay_alu instid0(VALU_DEP_3) | instskip(NEXT) | instid1(VALU_DEP_4)
	v_add_co_u32 v24, vcc_lo, s8, v24
	v_add_co_ci_u32_e32 v25, vcc_lo, s9, v25, vcc_lo
	v_lshlrev_b64 v[26:27], 2, v[6:7]
	s_delay_alu instid0(VALU_DEP_4)
	v_dual_fmac_f32 v9, v15, v23 :: v_dual_add_nc_u32 v6, -15, v4
	global_load_b32 v3, v[24:25], off
	v_add_co_u32 v26, vcc_lo, s8, v26
	v_add_co_ci_u32_e32 v27, vcc_lo, s9, v27, vcc_lo
	v_lshlrev_b64 v[28:29], 2, v[6:7]
	global_load_b32 v35, v[26:27], off
	v_add_nc_u32_e32 v6, 4, v16
	v_add_co_u32 v26, vcc_lo, s8, v28
	v_add_co_ci_u32_e32 v27, vcc_lo, s9, v29, vcc_lo
	global_load_b32 v36, v[26:27], off
	s_waitcnt vmcnt(2)
	v_fmac_f32_e32 v11, v3, v22
	v_lshlrev_b64 v[24:25], 2, v[6:7]
	v_add_nc_u32_e32 v6, -5, v4
	s_delay_alu instid0(VALU_DEP_1) | instskip(NEXT) | instid1(VALU_DEP_3)
	v_lshlrev_b64 v[28:29], 2, v[6:7]
	v_add_co_u32 v24, vcc_lo, s10, v24
	s_delay_alu instid0(VALU_DEP_4) | instskip(SKIP_2) | instid1(VALU_DEP_4)
	v_add_co_ci_u32_e32 v25, vcc_lo, s11, v25, vcc_lo
	s_waitcnt vmcnt(1)
	v_dual_fmac_f32 v11, v35, v23 :: v_dual_add_nc_u32 v6, -14, v4
	v_add_co_u32 v28, vcc_lo, s8, v28
	v_add_co_ci_u32_e32 v29, vcc_lo, s9, v29, vcc_lo
	global_load_b64 v[24:25], v[24:25], off
	global_load_b32 v37, v[28:29], off
	v_lshlrev_b64 v[26:27], 2, v[6:7]
	s_delay_alu instid0(VALU_DEP_1) | instskip(NEXT) | instid1(VALU_DEP_2)
	v_add_co_u32 v26, vcc_lo, s8, v26
	v_add_co_ci_u32_e32 v27, vcc_lo, s9, v27, vcc_lo
	global_load_b32 v38, v[26:27], off
	s_waitcnt vmcnt(2)
	v_fmac_f32_e32 v9, v36, v24
	v_add_nc_u32_e32 v6, -4, v4
	s_waitcnt vmcnt(1)
	v_fmac_f32_e32 v11, v37, v24
	s_waitcnt vmcnt(0)
	v_fmac_f32_e32 v9, v38, v25
	v_lshlrev_b64 v[30:31], 2, v[6:7]
	s_delay_alu instid0(VALU_DEP_1) | instskip(NEXT) | instid1(VALU_DEP_2)
	v_add_co_u32 v26, vcc_lo, s8, v30
	v_add_co_ci_u32_e32 v27, vcc_lo, s9, v31, vcc_lo
	global_load_b32 v39, v[26:27], off
	v_add_nc_u32_e32 v6, -13, v4
	s_delay_alu instid0(VALU_DEP_1) | instskip(SKIP_1) | instid1(VALU_DEP_2)
	v_lshlrev_b64 v[28:29], 2, v[6:7]
	v_add_nc_u32_e32 v6, 6, v16
	v_add_co_u32 v28, vcc_lo, s8, v28
	s_delay_alu instid0(VALU_DEP_2) | instskip(NEXT) | instid1(VALU_DEP_4)
	v_lshlrev_b64 v[30:31], 2, v[6:7]
	v_add_co_ci_u32_e32 v29, vcc_lo, s9, v29, vcc_lo
	global_load_b32 v40, v[28:29], off
	v_add_co_u32 v28, vcc_lo, s10, v30
	v_add_co_ci_u32_e32 v29, vcc_lo, s11, v31, vcc_lo
	global_load_b64 v[28:29], v[28:29], off
	v_add_nc_u32_e32 v6, -3, v4
	s_delay_alu instid0(VALU_DEP_1) | instskip(SKIP_1) | instid1(VALU_DEP_1)
	v_lshlrev_b64 v[26:27], 2, v[6:7]
	v_add_nc_u32_e32 v6, -12, v4
	v_lshlrev_b64 v[30:31], 2, v[6:7]
	v_add_nc_u32_e32 v6, -2, v4
	s_delay_alu instid0(VALU_DEP_4) | instskip(SKIP_1) | instid1(VALU_DEP_3)
	v_add_co_u32 v26, vcc_lo, s8, v26
	v_add_co_ci_u32_e32 v27, vcc_lo, s9, v27, vcc_lo
	v_lshlrev_b64 v[32:33], 2, v[6:7]
	v_add_nc_u32_e32 v6, -11, v4
	global_load_b32 v41, v[26:27], off
	v_add_co_u32 v26, vcc_lo, s8, v30
	v_add_co_ci_u32_e32 v27, vcc_lo, s9, v31, vcc_lo
	v_lshlrev_b64 v[30:31], 2, v[6:7]
	v_add_nc_u32_e32 v6, 8, v16
	v_add_co_u32 v16, vcc_lo, s8, v32
	v_add_co_ci_u32_e32 v17, vcc_lo, s9, v33, vcc_lo
	global_load_b32 v32, v[26:27], off
	v_lshlrev_b64 v[26:27], 2, v[6:7]
	v_add_nc_u32_e32 v6, -1, v4
	global_load_b32 v33, v[16:17], off
	v_add_co_u32 v16, vcc_lo, s8, v30
	v_add_co_ci_u32_e32 v17, vcc_lo, s9, v31, vcc_lo
	v_lshlrev_b64 v[30:31], 2, v[6:7]
	v_add_nc_u32_e32 v6, -10, v4
	v_add_co_u32 v26, vcc_lo, s10, v26
	v_add_co_ci_u32_e32 v27, vcc_lo, s11, v27, vcc_lo
	s_delay_alu instid0(VALU_DEP_3)
	v_lshlrev_b64 v[5:6], 2, v[6:7]
	global_load_b32 v42, v[16:17], off
	global_load_b64 v[16:17], v[26:27], off
	v_add_co_u32 v26, vcc_lo, s8, v30
	v_add_co_ci_u32_e32 v27, vcc_lo, s9, v31, vcc_lo
	v_add_co_u32 v5, vcc_lo, s8, v5
	v_add_co_ci_u32_e32 v6, vcc_lo, s9, v6, vcc_lo
	s_clause 0x2
	global_load_b32 v26, v[26:27], off
	global_load_b32 v5, v[5:6], off
	;; [unrolled: 1-line block ×3, first 2 shown]
	v_cmp_ge_i32_e32 vcc_lo, v2, v10
	s_or_b32 s2, vcc_lo, s2
	s_waitcnt vmcnt(10)
	v_fmac_f32_e32 v11, v39, v25
	s_waitcnt vmcnt(8)
	v_fmac_f32_e32 v9, v40, v28
	s_waitcnt vmcnt(7)
	s_delay_alu instid0(VALU_DEP_2) | instskip(SKIP_1) | instid1(VALU_DEP_2)
	v_fmac_f32_e32 v11, v41, v28
	s_waitcnt vmcnt(6)
	v_fmac_f32_e32 v9, v32, v29
	s_waitcnt vmcnt(5)
	s_delay_alu instid0(VALU_DEP_2) | instskip(SKIP_1) | instid1(VALU_DEP_2)
	;; [unrolled: 5-line block ×3, first 2 shown]
	v_fmac_f32_e32 v11, v26, v16
	s_waitcnt vmcnt(1)
	v_dual_fmac_f32 v9, v5, v17 :: v_dual_add_nc_u32 v4, 0x50, v4
	s_waitcnt vmcnt(0)
	s_delay_alu instid0(VALU_DEP_2)
	v_fmac_f32_e32 v11, v6, v17
	s_and_not1_b32 exec_lo, exec_lo, s2
	s_cbranch_execnz .LBB40_15
; %bb.16:
	s_or_b32 exec_lo, exec_lo, s2
.LBB40_17:
	s_delay_alu instid0(SALU_CYCLE_1)
	s_or_b32 exec_lo, exec_lo, s3
.LBB40_18:
	v_mbcnt_lo_u32_b32 v2, -1, 0
	s_mov_b32 s2, -1
	s_delay_alu instid0(VALU_DEP_1) | instskip(SKIP_1) | instid1(VALU_DEP_2)
	v_xor_b32_e32 v3, 2, v2
	v_xor_b32_e32 v5, 1, v2
	v_cmp_gt_i32_e32 vcc_lo, 32, v3
	v_cndmask_b32_e32 v3, v2, v3, vcc_lo
	s_delay_alu instid0(VALU_DEP_3) | instskip(NEXT) | instid1(VALU_DEP_2)
	v_cmp_gt_i32_e32 vcc_lo, 32, v5
	v_dual_cndmask_b32 v2, v2, v5 :: v_dual_lshlrev_b32 v3, 2, v3
	v_cmp_eq_u32_e32 vcc_lo, 3, v0
	ds_bpermute_b32 v4, v3, v9
	ds_bpermute_b32 v3, v3, v11
	s_waitcnt lgkmcnt(1)
	v_dual_add_f32 v2, v9, v4 :: v_dual_lshlrev_b32 v5, 2, v2
	s_waitcnt lgkmcnt(0)
	v_add_f32_e32 v3, v11, v3
	ds_bpermute_b32 v4, v5, v2
	ds_bpermute_b32 v5, v5, v3
	s_and_b32 exec_lo, exec_lo, vcc_lo
	s_cbranch_execz .LBB40_23
; %bb.19:
	s_load_b64 s[0:1], s[0:1], 0x38
	s_waitcnt lgkmcnt(0)
	v_dual_add_f32 v0, v2, v4 :: v_dual_add_f32 v3, v3, v5
	v_cmp_eq_f32_e64 s3, s12, 0
	s_delay_alu instid0(VALU_DEP_2) | instskip(SKIP_1) | instid1(VALU_DEP_3)
	v_dual_mul_f32 v2, s16, v0 :: v_dual_mul_f32 v3, s16, v3
	v_lshlrev_b32_e32 v0, 1, v1
	s_and_b32 vcc_lo, exec_lo, s3
	s_cbranch_vccz .LBB40_21
; %bb.20:
	s_delay_alu instid0(VALU_DEP_1) | instskip(SKIP_1) | instid1(VALU_DEP_1)
	v_ashrrev_i32_e32 v1, 31, v0
	s_mov_b32 s2, 0
	v_lshlrev_b64 v[4:5], 2, v[0:1]
	s_delay_alu instid0(VALU_DEP_1) | instskip(NEXT) | instid1(VALU_DEP_2)
	v_add_co_u32 v4, vcc_lo, s0, v4
	v_add_co_ci_u32_e32 v5, vcc_lo, s1, v5, vcc_lo
	global_store_b64 v[4:5], v[2:3], off
.LBB40_21:
	s_and_not1_b32 vcc_lo, exec_lo, s2
	s_cbranch_vccnz .LBB40_23
; %bb.22:
	v_ashrrev_i32_e32 v1, 31, v0
	s_delay_alu instid0(VALU_DEP_1) | instskip(NEXT) | instid1(VALU_DEP_1)
	v_lshlrev_b64 v[0:1], 2, v[0:1]
	v_add_co_u32 v0, vcc_lo, s0, v0
	s_delay_alu instid0(VALU_DEP_2)
	v_add_co_ci_u32_e32 v1, vcc_lo, s1, v1, vcc_lo
	global_load_b64 v[4:5], v[0:1], off
	s_waitcnt vmcnt(0)
	v_dual_fmac_f32 v2, s12, v4 :: v_dual_fmac_f32 v3, s12, v5
	global_store_b64 v[0:1], v[2:3], off
.LBB40_23:
	s_nop 0
	s_sendmsg sendmsg(MSG_DEALLOC_VGPRS)
	s_endpgm
	.section	.rodata,"a",@progbits
	.p2align	6, 0x0
	.amdhsa_kernel _ZN9rocsparseL19gebsrmvn_2xn_kernelILj128ELj10ELj4EfEEvi20rocsparse_direction_NS_24const_host_device_scalarIT2_EEPKiS6_PKS3_S8_S4_PS3_21rocsparse_index_base_b
		.amdhsa_group_segment_fixed_size 0
		.amdhsa_private_segment_fixed_size 0
		.amdhsa_kernarg_size 72
		.amdhsa_user_sgpr_count 15
		.amdhsa_user_sgpr_dispatch_ptr 0
		.amdhsa_user_sgpr_queue_ptr 0
		.amdhsa_user_sgpr_kernarg_segment_ptr 1
		.amdhsa_user_sgpr_dispatch_id 0
		.amdhsa_user_sgpr_private_segment_size 0
		.amdhsa_wavefront_size32 1
		.amdhsa_uses_dynamic_stack 0
		.amdhsa_enable_private_segment 0
		.amdhsa_system_sgpr_workgroup_id_x 1
		.amdhsa_system_sgpr_workgroup_id_y 0
		.amdhsa_system_sgpr_workgroup_id_z 0
		.amdhsa_system_sgpr_workgroup_info 0
		.amdhsa_system_vgpr_workitem_id 0
		.amdhsa_next_free_vgpr 43
		.amdhsa_next_free_sgpr 20
		.amdhsa_reserve_vcc 1
		.amdhsa_float_round_mode_32 0
		.amdhsa_float_round_mode_16_64 0
		.amdhsa_float_denorm_mode_32 3
		.amdhsa_float_denorm_mode_16_64 3
		.amdhsa_dx10_clamp 1
		.amdhsa_ieee_mode 1
		.amdhsa_fp16_overflow 0
		.amdhsa_workgroup_processor_mode 1
		.amdhsa_memory_ordered 1
		.amdhsa_forward_progress 0
		.amdhsa_shared_vgpr_count 0
		.amdhsa_exception_fp_ieee_invalid_op 0
		.amdhsa_exception_fp_denorm_src 0
		.amdhsa_exception_fp_ieee_div_zero 0
		.amdhsa_exception_fp_ieee_overflow 0
		.amdhsa_exception_fp_ieee_underflow 0
		.amdhsa_exception_fp_ieee_inexact 0
		.amdhsa_exception_int_div_zero 0
	.end_amdhsa_kernel
	.section	.text._ZN9rocsparseL19gebsrmvn_2xn_kernelILj128ELj10ELj4EfEEvi20rocsparse_direction_NS_24const_host_device_scalarIT2_EEPKiS6_PKS3_S8_S4_PS3_21rocsparse_index_base_b,"axG",@progbits,_ZN9rocsparseL19gebsrmvn_2xn_kernelILj128ELj10ELj4EfEEvi20rocsparse_direction_NS_24const_host_device_scalarIT2_EEPKiS6_PKS3_S8_S4_PS3_21rocsparse_index_base_b,comdat
.Lfunc_end40:
	.size	_ZN9rocsparseL19gebsrmvn_2xn_kernelILj128ELj10ELj4EfEEvi20rocsparse_direction_NS_24const_host_device_scalarIT2_EEPKiS6_PKS3_S8_S4_PS3_21rocsparse_index_base_b, .Lfunc_end40-_ZN9rocsparseL19gebsrmvn_2xn_kernelILj128ELj10ELj4EfEEvi20rocsparse_direction_NS_24const_host_device_scalarIT2_EEPKiS6_PKS3_S8_S4_PS3_21rocsparse_index_base_b
                                        ; -- End function
	.section	.AMDGPU.csdata,"",@progbits
; Kernel info:
; codeLenInByte = 2500
; NumSgprs: 22
; NumVgprs: 43
; ScratchSize: 0
; MemoryBound: 0
; FloatMode: 240
; IeeeMode: 1
; LDSByteSize: 0 bytes/workgroup (compile time only)
; SGPRBlocks: 2
; VGPRBlocks: 5
; NumSGPRsForWavesPerEU: 22
; NumVGPRsForWavesPerEU: 43
; Occupancy: 16
; WaveLimiterHint : 1
; COMPUTE_PGM_RSRC2:SCRATCH_EN: 0
; COMPUTE_PGM_RSRC2:USER_SGPR: 15
; COMPUTE_PGM_RSRC2:TRAP_HANDLER: 0
; COMPUTE_PGM_RSRC2:TGID_X_EN: 1
; COMPUTE_PGM_RSRC2:TGID_Y_EN: 0
; COMPUTE_PGM_RSRC2:TGID_Z_EN: 0
; COMPUTE_PGM_RSRC2:TIDIG_COMP_CNT: 0
	.section	.text._ZN9rocsparseL19gebsrmvn_2xn_kernelILj128ELj10ELj8EfEEvi20rocsparse_direction_NS_24const_host_device_scalarIT2_EEPKiS6_PKS3_S8_S4_PS3_21rocsparse_index_base_b,"axG",@progbits,_ZN9rocsparseL19gebsrmvn_2xn_kernelILj128ELj10ELj8EfEEvi20rocsparse_direction_NS_24const_host_device_scalarIT2_EEPKiS6_PKS3_S8_S4_PS3_21rocsparse_index_base_b,comdat
	.globl	_ZN9rocsparseL19gebsrmvn_2xn_kernelILj128ELj10ELj8EfEEvi20rocsparse_direction_NS_24const_host_device_scalarIT2_EEPKiS6_PKS3_S8_S4_PS3_21rocsparse_index_base_b ; -- Begin function _ZN9rocsparseL19gebsrmvn_2xn_kernelILj128ELj10ELj8EfEEvi20rocsparse_direction_NS_24const_host_device_scalarIT2_EEPKiS6_PKS3_S8_S4_PS3_21rocsparse_index_base_b
	.p2align	8
	.type	_ZN9rocsparseL19gebsrmvn_2xn_kernelILj128ELj10ELj8EfEEvi20rocsparse_direction_NS_24const_host_device_scalarIT2_EEPKiS6_PKS3_S8_S4_PS3_21rocsparse_index_base_b,@function
_ZN9rocsparseL19gebsrmvn_2xn_kernelILj128ELj10ELj8EfEEvi20rocsparse_direction_NS_24const_host_device_scalarIT2_EEPKiS6_PKS3_S8_S4_PS3_21rocsparse_index_base_b: ; @_ZN9rocsparseL19gebsrmvn_2xn_kernelILj128ELj10ELj8EfEEvi20rocsparse_direction_NS_24const_host_device_scalarIT2_EEPKiS6_PKS3_S8_S4_PS3_21rocsparse_index_base_b
; %bb.0:
	s_clause 0x2
	s_load_b64 s[18:19], s[0:1], 0x40
	s_load_b64 s[16:17], s[0:1], 0x8
	;; [unrolled: 1-line block ×3, first 2 shown]
	s_waitcnt lgkmcnt(0)
	s_bitcmp1_b32 s19, 0
	s_cselect_b32 s2, -1, 0
	s_delay_alu instid0(SALU_CYCLE_1)
	s_and_b32 vcc_lo, exec_lo, s2
	s_xor_b32 s2, s2, -1
	s_cbranch_vccnz .LBB41_2
; %bb.1:
	s_load_b32 s16, s[16:17], 0x0
.LBB41_2:
	s_and_not1_b32 vcc_lo, exec_lo, s2
	s_cbranch_vccnz .LBB41_4
; %bb.3:
	s_load_b32 s12, s[12:13], 0x0
.LBB41_4:
	s_waitcnt lgkmcnt(0)
	v_cmp_eq_f32_e64 s2, s16, 0
	v_cmp_eq_f32_e64 s3, s12, 1.0
	s_delay_alu instid0(VALU_DEP_1) | instskip(NEXT) | instid1(SALU_CYCLE_1)
	s_and_b32 s2, s2, s3
	s_and_b32 vcc_lo, exec_lo, s2
	s_cbranch_vccnz .LBB41_23
; %bb.5:
	s_load_b64 s[2:3], s[0:1], 0x0
	v_lshrrev_b32_e32 v1, 3, v0
	s_delay_alu instid0(VALU_DEP_1) | instskip(SKIP_1) | instid1(VALU_DEP_1)
	v_lshl_or_b32 v1, s15, 4, v1
	s_waitcnt lgkmcnt(0)
	v_cmp_gt_i32_e32 vcc_lo, s2, v1
	s_and_saveexec_b32 s2, vcc_lo
	s_cbranch_execz .LBB41_23
; %bb.6:
	s_load_b256 s[4:11], s[0:1], 0x10
	v_ashrrev_i32_e32 v2, 31, v1
	v_and_b32_e32 v0, 7, v0
	s_cmp_lg_u32 s3, 0
	s_delay_alu instid0(VALU_DEP_2) | instskip(SKIP_1) | instid1(VALU_DEP_1)
	v_lshlrev_b64 v[2:3], 2, v[1:2]
	s_waitcnt lgkmcnt(0)
	v_add_co_u32 v2, vcc_lo, s4, v2
	s_delay_alu instid0(VALU_DEP_2) | instskip(SKIP_4) | instid1(VALU_DEP_2)
	v_add_co_ci_u32_e32 v3, vcc_lo, s5, v3, vcc_lo
	global_load_b64 v[2:3], v[2:3], off
	s_waitcnt vmcnt(0)
	v_subrev_nc_u32_e32 v2, s18, v2
	v_subrev_nc_u32_e32 v11, s18, v3
	v_add_nc_u32_e32 v2, v2, v0
	s_delay_alu instid0(VALU_DEP_1)
	v_cmp_lt_i32_e64 s2, v2, v11
	s_cbranch_scc0 .LBB41_12
; %bb.7:
	v_dual_mov_b32 v9, 0 :: v_dual_mov_b32 v10, 0
	s_mov_b32 s4, 0
	s_delay_alu instid0(VALU_DEP_2)
	s_and_saveexec_b32 s5, s2
	s_cbranch_execz .LBB41_11
; %bb.8:
	v_mad_u64_u32 v[3:4], null, v2, 20, 18
	v_dual_mov_b32 v6, 0 :: v_dual_mov_b32 v7, v2
	v_dual_mov_b32 v9, 0 :: v_dual_mov_b32 v10, 0
	s_mov_b32 s13, 0
.LBB41_9:                               ; =>This Inner Loop Header: Depth=1
	s_delay_alu instid0(VALU_DEP_2) | instskip(NEXT) | instid1(VALU_DEP_1)
	v_ashrrev_i32_e32 v8, 31, v7
	v_lshlrev_b64 v[4:5], 2, v[7:8]
	v_add_nc_u32_e32 v7, 8, v7
	s_delay_alu instid0(VALU_DEP_2) | instskip(NEXT) | instid1(VALU_DEP_3)
	v_add_co_u32 v4, vcc_lo, s6, v4
	v_add_co_ci_u32_e32 v5, vcc_lo, s7, v5, vcc_lo
	global_load_b32 v8, v[4:5], off
	v_subrev_nc_u32_e32 v5, 18, v3
	v_mov_b32_e32 v4, v6
	s_delay_alu instid0(VALU_DEP_2) | instskip(SKIP_1) | instid1(VALU_DEP_3)
	v_lshlrev_b64 v[12:13], 2, v[5:6]
	v_add_nc_u32_e32 v5, -14, v3
	v_lshlrev_b64 v[18:19], 2, v[3:4]
	s_delay_alu instid0(VALU_DEP_2) | instskip(NEXT) | instid1(VALU_DEP_4)
	v_lshlrev_b64 v[4:5], 2, v[5:6]
	v_add_co_u32 v12, vcc_lo, s8, v12
	v_add_co_ci_u32_e32 v13, vcc_lo, s9, v13, vcc_lo
	s_delay_alu instid0(VALU_DEP_4) | instskip(NEXT) | instid1(VALU_DEP_4)
	v_add_co_u32 v18, vcc_lo, s8, v18
	v_add_co_u32 v4, s3, s8, v4
	s_delay_alu instid0(VALU_DEP_1)
	v_add_co_ci_u32_e64 v5, s3, s9, v5, s3
	s_clause 0x1
	global_load_b128 v[12:15], v[12:13], off
	global_load_b64 v[20:21], v[4:5], off
	v_mov_b32_e32 v17, v6
	v_add_co_ci_u32_e32 v19, vcc_lo, s9, v19, vcc_lo
	v_cmp_ge_i32_e32 vcc_lo, v7, v11
	s_or_b32 s13, vcc_lo, s13
	s_waitcnt vmcnt(2)
	v_subrev_nc_u32_e32 v4, s18, v8
	s_delay_alu instid0(VALU_DEP_1) | instskip(NEXT) | instid1(VALU_DEP_1)
	v_mul_lo_u32 v16, v4, 10
	v_lshlrev_b64 v[22:23], 2, v[16:17]
	s_delay_alu instid0(VALU_DEP_1) | instskip(NEXT) | instid1(VALU_DEP_1)
	v_add_co_u32 v22, s3, s10, v22
	v_add_co_ci_u32_e64 v23, s3, s11, v23, s3
	global_load_b64 v[22:23], v[22:23], off
	v_add_nc_u32_e32 v5, 2, v16
	s_delay_alu instid0(VALU_DEP_1) | instskip(NEXT) | instid1(VALU_DEP_1)
	v_lshlrev_b64 v[24:25], 2, v[5:6]
	v_add_co_u32 v24, s3, s10, v24
	s_delay_alu instid0(VALU_DEP_1) | instskip(SKIP_3) | instid1(VALU_DEP_1)
	v_add_co_ci_u32_e64 v25, s3, s11, v25, s3
	global_load_b64 v[24:25], v[24:25], off
	s_waitcnt vmcnt(1)
	v_fmac_f32_e32 v10, v13, v22
	v_fmac_f32_e32 v10, v15, v23
	s_waitcnt vmcnt(0)
	s_delay_alu instid0(VALU_DEP_1) | instskip(NEXT) | instid1(VALU_DEP_1)
	v_dual_fmac_f32 v10, v21, v24 :: v_dual_add_nc_u32 v5, -12, v3
	v_lshlrev_b64 v[26:27], 2, v[5:6]
	s_delay_alu instid0(VALU_DEP_1) | instskip(NEXT) | instid1(VALU_DEP_1)
	v_add_co_u32 v26, s3, s8, v26
	v_add_co_ci_u32_e64 v27, s3, s9, v27, s3
	global_load_b64 v[26:27], v[26:27], off
	v_add_nc_u32_e32 v5, -10, v3
	s_delay_alu instid0(VALU_DEP_1) | instskip(NEXT) | instid1(VALU_DEP_1)
	v_lshlrev_b64 v[28:29], 2, v[5:6]
	v_add_co_u32 v28, s3, s8, v28
	s_delay_alu instid0(VALU_DEP_1) | instskip(SKIP_3) | instid1(VALU_DEP_1)
	v_add_co_ci_u32_e64 v29, s3, s9, v29, s3
	global_load_b64 v[28:29], v[28:29], off
	s_waitcnt vmcnt(1)
	v_dual_fmac_f32 v10, v27, v25 :: v_dual_add_nc_u32 v5, 4, v16
	v_lshlrev_b64 v[30:31], 2, v[5:6]
	v_add_nc_u32_e32 v5, -8, v3
	s_delay_alu instid0(VALU_DEP_1) | instskip(NEXT) | instid1(VALU_DEP_3)
	v_lshlrev_b64 v[32:33], 2, v[5:6]
	v_add_co_u32 v30, s3, s10, v30
	s_delay_alu instid0(VALU_DEP_1) | instskip(SKIP_1) | instid1(VALU_DEP_4)
	v_add_co_ci_u32_e64 v31, s3, s11, v31, s3
	v_add_nc_u32_e32 v5, -6, v3
	v_add_co_u32 v32, s3, s8, v32
	global_load_b64 v[30:31], v[30:31], off
	v_add_co_ci_u32_e64 v33, s3, s9, v33, s3
	v_lshlrev_b64 v[34:35], 2, v[5:6]
	global_load_b64 v[32:33], v[32:33], off
	v_add_co_u32 v34, s3, s8, v34
	s_delay_alu instid0(VALU_DEP_1) | instskip(SKIP_4) | instid1(VALU_DEP_1)
	v_add_co_ci_u32_e64 v35, s3, s9, v35, s3
	global_load_b64 v[34:35], v[34:35], off
	s_waitcnt vmcnt(2)
	v_dual_fmac_f32 v10, v29, v30 :: v_dual_add_nc_u32 v5, 6, v16
	s_waitcnt vmcnt(1)
	v_fmac_f32_e32 v10, v33, v31
	s_delay_alu instid0(VALU_DEP_2) | instskip(SKIP_1) | instid1(VALU_DEP_1)
	v_lshlrev_b64 v[36:37], 2, v[5:6]
	v_add_nc_u32_e32 v5, -4, v3
	v_lshlrev_b64 v[38:39], 2, v[5:6]
	v_add_nc_u32_e32 v5, -2, v3
	s_delay_alu instid0(VALU_DEP_4) | instskip(NEXT) | instid1(VALU_DEP_1)
	v_add_co_u32 v36, s3, s10, v36
	v_add_co_ci_u32_e64 v37, s3, s11, v37, s3
	s_delay_alu instid0(VALU_DEP_3) | instskip(SKIP_2) | instid1(VALU_DEP_1)
	v_lshlrev_b64 v[40:41], 2, v[5:6]
	v_add_nc_u32_e32 v5, 8, v16
	v_add_co_u32 v16, s3, s8, v38
	v_add_co_ci_u32_e64 v17, s3, s9, v39, s3
	s_delay_alu instid0(VALU_DEP_3) | instskip(SKIP_2) | instid1(VALU_DEP_1)
	v_lshlrev_b64 v[4:5], 2, v[5:6]
	global_load_b64 v[36:37], v[36:37], off
	v_add_co_u32 v38, s3, s8, v40
	v_add_co_ci_u32_e64 v39, s3, s9, v41, s3
	global_load_b64 v[16:17], v[16:17], off
	v_add_co_u32 v4, s3, s10, v4
	s_delay_alu instid0(VALU_DEP_1)
	v_add_co_ci_u32_e64 v5, s3, s11, v5, s3
	global_load_b64 v[38:39], v[38:39], off
	global_load_b64 v[4:5], v[4:5], off
	;; [unrolled: 1-line block ×3, first 2 shown]
	s_waitcnt vmcnt(4)
	v_dual_fmac_f32 v10, v35, v36 :: v_dual_add_nc_u32 v3, 0xa0, v3
	s_waitcnt vmcnt(3)
	s_delay_alu instid0(VALU_DEP_1) | instskip(SKIP_1) | instid1(VALU_DEP_1)
	v_fmac_f32_e32 v10, v17, v37
	s_waitcnt vmcnt(1)
	v_dual_fmac_f32 v10, v39, v4 :: v_dual_fmac_f32 v9, v12, v22
	s_waitcnt vmcnt(0)
	s_delay_alu instid0(VALU_DEP_1) | instskip(NEXT) | instid1(VALU_DEP_1)
	v_dual_fmac_f32 v10, v19, v5 :: v_dual_fmac_f32 v9, v14, v23
	v_fmac_f32_e32 v9, v20, v24
	s_delay_alu instid0(VALU_DEP_1) | instskip(NEXT) | instid1(VALU_DEP_1)
	v_fmac_f32_e32 v9, v26, v25
	v_fmac_f32_e32 v9, v28, v30
	s_delay_alu instid0(VALU_DEP_1) | instskip(NEXT) | instid1(VALU_DEP_1)
	v_fmac_f32_e32 v9, v32, v31
	;; [unrolled: 3-line block ×3, first 2 shown]
	v_fmac_f32_e32 v9, v38, v4
	s_delay_alu instid0(VALU_DEP_1)
	v_fmac_f32_e32 v9, v18, v5
	s_and_not1_b32 exec_lo, exec_lo, s13
	s_cbranch_execnz .LBB41_9
; %bb.10:
	s_or_b32 exec_lo, exec_lo, s13
.LBB41_11:
	s_delay_alu instid0(SALU_CYCLE_1) | instskip(NEXT) | instid1(SALU_CYCLE_1)
	s_or_b32 exec_lo, exec_lo, s5
	s_and_not1_b32 vcc_lo, exec_lo, s4
	s_cbranch_vccz .LBB41_13
	s_branch .LBB41_18
.LBB41_12:
                                        ; implicit-def: $vgpr9
                                        ; implicit-def: $vgpr10
.LBB41_13:
	v_dual_mov_b32 v9, 0 :: v_dual_mov_b32 v10, 0
	s_delay_alu instid0(VALU_DEP_2)
	s_and_saveexec_b32 s3, s2
	s_cbranch_execz .LBB41_17
; %bb.14:
	v_mad_u64_u32 v[4:5], null, v2, 20, 19
	v_dual_mov_b32 v7, 0 :: v_dual_mov_b32 v10, 0
	v_mov_b32_e32 v9, 0
	s_mov_b32 s2, 0
.LBB41_15:                              ; =>This Inner Loop Header: Depth=1
	v_ashrrev_i32_e32 v3, 31, v2
	s_delay_alu instid0(VALU_DEP_3) | instskip(SKIP_1) | instid1(VALU_DEP_3)
	v_dual_mov_b32 v17, v7 :: v_dual_add_nc_u32 v12, -9, v4
	v_mov_b32_e32 v13, v7
	v_lshlrev_b64 v[5:6], 2, v[2:3]
	v_add_nc_u32_e32 v2, 8, v2
	s_delay_alu instid0(VALU_DEP_2) | instskip(NEXT) | instid1(VALU_DEP_3)
	v_add_co_u32 v5, vcc_lo, s6, v5
	v_add_co_ci_u32_e32 v6, vcc_lo, s7, v6, vcc_lo
	global_load_b32 v3, v[5:6], off
	v_subrev_nc_u32_e32 v6, 19, v4
	s_delay_alu instid0(VALU_DEP_1) | instskip(SKIP_2) | instid1(VALU_DEP_3)
	v_lshlrev_b64 v[14:15], 2, v[6:7]
	v_add_nc_u32_e32 v6, -8, v4
	v_lshlrev_b64 v[12:13], 2, v[12:13]
	v_add_co_u32 v14, vcc_lo, s8, v14
	s_delay_alu instid0(VALU_DEP_4) | instskip(NEXT) | instid1(VALU_DEP_3)
	v_add_co_ci_u32_e32 v15, vcc_lo, s9, v15, vcc_lo
	v_add_co_u32 v20, vcc_lo, s8, v12
	s_delay_alu instid0(VALU_DEP_4) | instskip(SKIP_2) | instid1(VALU_DEP_1)
	v_add_co_ci_u32_e32 v21, vcc_lo, s9, v13, vcc_lo
	s_waitcnt vmcnt(0)
	v_subrev_nc_u32_e32 v3, s18, v3
	v_mul_lo_u32 v16, v3, 10
	v_mov_b32_e32 v5, v7
	s_delay_alu instid0(VALU_DEP_1) | instskip(SKIP_1) | instid1(VALU_DEP_2)
	v_lshlrev_b64 v[18:19], 2, v[4:5]
	v_lshlrev_b64 v[5:6], 2, v[6:7]
	v_add_co_u32 v18, vcc_lo, s8, v18
	s_delay_alu instid0(VALU_DEP_3) | instskip(NEXT) | instid1(VALU_DEP_3)
	v_add_co_ci_u32_e32 v19, vcc_lo, s9, v19, vcc_lo
	v_add_co_u32 v5, vcc_lo, s8, v5
	s_delay_alu instid0(VALU_DEP_4)
	v_add_co_ci_u32_e32 v6, vcc_lo, s9, v6, vcc_lo
	s_clause 0x2
	global_load_b128 v[12:15], v[14:15], off
	global_load_b32 v8, v[20:21], off
	global_load_b32 v34, v[5:6], off
	v_add_nc_u32_e32 v6, 2, v16
	v_lshlrev_b64 v[20:21], 2, v[16:17]
	s_delay_alu instid0(VALU_DEP_2) | instskip(NEXT) | instid1(VALU_DEP_2)
	v_lshlrev_b64 v[22:23], 2, v[6:7]
	v_add_co_u32 v20, vcc_lo, s10, v20
	s_delay_alu instid0(VALU_DEP_3) | instskip(NEXT) | instid1(VALU_DEP_3)
	v_add_co_ci_u32_e32 v21, vcc_lo, s11, v21, vcc_lo
	v_add_co_u32 v22, vcc_lo, s10, v22
	s_delay_alu instid0(VALU_DEP_4)
	v_add_co_ci_u32_e32 v23, vcc_lo, s11, v23, vcc_lo
	s_clause 0x1
	global_load_b64 v[20:21], v[20:21], off
	global_load_b64 v[22:23], v[22:23], off
	s_waitcnt vmcnt(1)
	v_fmac_f32_e32 v10, v8, v20
	s_delay_alu instid0(VALU_DEP_1) | instskip(NEXT) | instid1(VALU_DEP_1)
	v_dual_fmac_f32 v9, v12, v20 :: v_dual_fmac_f32 v10, v34, v21
	v_dual_fmac_f32 v9, v13, v21 :: v_dual_add_nc_u32 v6, -7, v4
	s_delay_alu instid0(VALU_DEP_1) | instskip(SKIP_1) | instid1(VALU_DEP_2)
	v_lshlrev_b64 v[24:25], 2, v[6:7]
	s_waitcnt vmcnt(0)
	v_dual_fmac_f32 v9, v14, v22 :: v_dual_add_nc_u32 v6, -6, v4
	s_delay_alu instid0(VALU_DEP_1) | instskip(NEXT) | instid1(VALU_DEP_2)
	v_lshlrev_b64 v[26:27], 2, v[6:7]
	v_dual_fmac_f32 v9, v15, v23 :: v_dual_add_nc_u32 v6, -15, v4
	s_delay_alu instid0(VALU_DEP_4) | instskip(SKIP_1) | instid1(VALU_DEP_4)
	v_add_co_u32 v24, vcc_lo, s8, v24
	v_add_co_ci_u32_e32 v25, vcc_lo, s9, v25, vcc_lo
	v_add_co_u32 v26, vcc_lo, s8, v26
	s_delay_alu instid0(VALU_DEP_4)
	v_lshlrev_b64 v[28:29], 2, v[6:7]
	v_add_nc_u32_e32 v6, 4, v16
	v_add_co_ci_u32_e32 v27, vcc_lo, s9, v27, vcc_lo
	s_clause 0x1
	global_load_b32 v3, v[24:25], off
	global_load_b32 v35, v[26:27], off
	v_lshlrev_b64 v[24:25], 2, v[6:7]
	v_add_nc_u32_e32 v6, -5, v4
	v_add_co_u32 v26, vcc_lo, s8, v28
	v_add_co_ci_u32_e32 v27, vcc_lo, s9, v29, vcc_lo
	s_delay_alu instid0(VALU_DEP_3) | instskip(SKIP_3) | instid1(VALU_DEP_4)
	v_lshlrev_b64 v[28:29], 2, v[6:7]
	v_add_co_u32 v24, vcc_lo, s10, v24
	v_add_co_ci_u32_e32 v25, vcc_lo, s11, v25, vcc_lo
	v_add_nc_u32_e32 v6, -14, v4
	v_add_co_u32 v28, vcc_lo, s8, v28
	v_add_co_ci_u32_e32 v29, vcc_lo, s9, v29, vcc_lo
	global_load_b32 v36, v[26:27], off
	global_load_b64 v[24:25], v[24:25], off
	global_load_b32 v37, v[28:29], off
	v_lshlrev_b64 v[26:27], 2, v[6:7]
	v_add_nc_u32_e32 v6, -4, v4
	s_delay_alu instid0(VALU_DEP_1) | instskip(SKIP_1) | instid1(VALU_DEP_4)
	v_lshlrev_b64 v[30:31], 2, v[6:7]
	v_add_nc_u32_e32 v6, -13, v4
	v_add_co_u32 v26, vcc_lo, s8, v26
	v_add_co_ci_u32_e32 v27, vcc_lo, s9, v27, vcc_lo
	s_delay_alu instid0(VALU_DEP_3)
	v_lshlrev_b64 v[28:29], 2, v[6:7]
	v_add_nc_u32_e32 v6, 6, v16
	global_load_b32 v38, v[26:27], off
	v_add_co_u32 v26, vcc_lo, s8, v30
	v_add_co_ci_u32_e32 v27, vcc_lo, s9, v31, vcc_lo
	v_add_co_u32 v28, vcc_lo, s8, v28
	v_lshlrev_b64 v[30:31], 2, v[6:7]
	v_add_nc_u32_e32 v6, -3, v4
	v_add_co_ci_u32_e32 v29, vcc_lo, s9, v29, vcc_lo
	s_clause 0x1
	global_load_b32 v39, v[26:27], off
	global_load_b32 v40, v[28:29], off
	v_lshlrev_b64 v[26:27], 2, v[6:7]
	v_add_nc_u32_e32 v6, -12, v4
	v_add_co_u32 v28, vcc_lo, s10, v30
	v_add_co_ci_u32_e32 v29, vcc_lo, s11, v31, vcc_lo
	s_delay_alu instid0(VALU_DEP_3) | instskip(SKIP_3) | instid1(VALU_DEP_3)
	v_lshlrev_b64 v[30:31], 2, v[6:7]
	v_add_nc_u32_e32 v6, -2, v4
	v_add_co_u32 v26, vcc_lo, s8, v26
	v_add_co_ci_u32_e32 v27, vcc_lo, s9, v27, vcc_lo
	v_lshlrev_b64 v[32:33], 2, v[6:7]
	v_add_nc_u32_e32 v6, -11, v4
	global_load_b64 v[28:29], v[28:29], off
	global_load_b32 v41, v[26:27], off
	v_add_co_u32 v26, vcc_lo, s8, v30
	v_add_co_ci_u32_e32 v27, vcc_lo, s9, v31, vcc_lo
	v_lshlrev_b64 v[30:31], 2, v[6:7]
	v_add_nc_u32_e32 v6, 8, v16
	v_add_co_u32 v16, vcc_lo, s8, v32
	v_add_co_ci_u32_e32 v17, vcc_lo, s9, v33, vcc_lo
	global_load_b32 v32, v[26:27], off
	v_lshlrev_b64 v[26:27], 2, v[6:7]
	v_add_nc_u32_e32 v6, -1, v4
	global_load_b32 v33, v[16:17], off
	v_add_co_u32 v16, vcc_lo, s8, v30
	v_add_co_ci_u32_e32 v17, vcc_lo, s9, v31, vcc_lo
	v_add_co_u32 v26, vcc_lo, s10, v26
	v_lshlrev_b64 v[30:31], 2, v[6:7]
	v_add_nc_u32_e32 v6, -10, v4
	v_add_co_ci_u32_e32 v27, vcc_lo, s11, v27, vcc_lo
	global_load_b32 v42, v[16:17], off
	v_add_nc_u32_e32 v4, 0xa0, v4
	v_lshlrev_b64 v[5:6], 2, v[6:7]
	global_load_b64 v[16:17], v[26:27], off
	v_add_co_u32 v26, vcc_lo, s8, v30
	v_add_co_ci_u32_e32 v27, vcc_lo, s9, v31, vcc_lo
	v_add_co_u32 v5, vcc_lo, s8, v5
	v_add_co_ci_u32_e32 v6, vcc_lo, s9, v6, vcc_lo
	s_clause 0x2
	global_load_b32 v26, v[26:27], off
	global_load_b32 v5, v[5:6], off
	;; [unrolled: 1-line block ×3, first 2 shown]
	v_cmp_ge_i32_e32 vcc_lo, v2, v11
	s_or_b32 s2, vcc_lo, s2
	s_waitcnt vmcnt(13)
	v_dual_fmac_f32 v10, v3, v22 :: v_dual_fmac_f32 v9, v36, v24
	s_waitcnt vmcnt(11)
	s_delay_alu instid0(VALU_DEP_1) | instskip(SKIP_1) | instid1(VALU_DEP_1)
	v_dual_fmac_f32 v9, v38, v25 :: v_dual_fmac_f32 v10, v35, v23
	s_waitcnt vmcnt(8)
	v_fmac_f32_e32 v9, v40, v28
	s_waitcnt vmcnt(6)
	s_delay_alu instid0(VALU_DEP_1) | instskip(SKIP_1) | instid1(VALU_DEP_1)
	v_dual_fmac_f32 v10, v37, v24 :: v_dual_fmac_f32 v9, v32, v29
	s_waitcnt vmcnt(3)
	v_dual_fmac_f32 v10, v39, v25 :: v_dual_fmac_f32 v9, v42, v16
	s_delay_alu instid0(VALU_DEP_1) | instskip(NEXT) | instid1(VALU_DEP_1)
	v_fmac_f32_e32 v10, v41, v28
	v_fmac_f32_e32 v10, v33, v29
	s_waitcnt vmcnt(1)
	s_delay_alu instid0(VALU_DEP_1) | instskip(SKIP_1) | instid1(VALU_DEP_1)
	v_dual_fmac_f32 v9, v5, v17 :: v_dual_fmac_f32 v10, v26, v16
	s_waitcnt vmcnt(0)
	v_fmac_f32_e32 v10, v6, v17
	s_and_not1_b32 exec_lo, exec_lo, s2
	s_cbranch_execnz .LBB41_15
; %bb.16:
	s_or_b32 exec_lo, exec_lo, s2
.LBB41_17:
	s_delay_alu instid0(SALU_CYCLE_1)
	s_or_b32 exec_lo, exec_lo, s3
.LBB41_18:
	v_mbcnt_lo_u32_b32 v2, -1, 0
	s_mov_b32 s2, -1
	s_delay_alu instid0(VALU_DEP_1) | instskip(SKIP_2) | instid1(VALU_DEP_3)
	v_xor_b32_e32 v3, 4, v2
	v_xor_b32_e32 v5, 2, v2
	;; [unrolled: 1-line block ×3, first 2 shown]
	v_cmp_gt_i32_e32 vcc_lo, 32, v3
	v_cndmask_b32_e32 v3, v2, v3, vcc_lo
	s_delay_alu instid0(VALU_DEP_4) | instskip(NEXT) | instid1(VALU_DEP_2)
	v_cmp_gt_i32_e32 vcc_lo, 32, v5
	v_lshlrev_b32_e32 v3, 2, v3
	v_cndmask_b32_e32 v5, v2, v5, vcc_lo
	v_cmp_gt_i32_e32 vcc_lo, 32, v7
	ds_bpermute_b32 v4, v3, v9
	v_dual_cndmask_b32 v2, v2, v7 :: v_dual_lshlrev_b32 v5, 2, v5
	v_cmp_eq_u32_e32 vcc_lo, 7, v0
	s_waitcnt lgkmcnt(0)
	s_delay_alu instid0(VALU_DEP_2)
	v_dual_add_f32 v4, v9, v4 :: v_dual_lshlrev_b32 v7, 2, v2
	ds_bpermute_b32 v6, v5, v4
	s_waitcnt lgkmcnt(0)
	v_add_f32_e32 v2, v4, v6
	ds_bpermute_b32 v3, v3, v10
	ds_bpermute_b32 v4, v7, v2
	s_waitcnt lgkmcnt(1)
	v_add_f32_e32 v3, v10, v3
	ds_bpermute_b32 v5, v5, v3
	s_waitcnt lgkmcnt(0)
	v_add_f32_e32 v3, v3, v5
	ds_bpermute_b32 v5, v7, v3
	s_and_b32 exec_lo, exec_lo, vcc_lo
	s_cbranch_execz .LBB41_23
; %bb.19:
	s_load_b64 s[0:1], s[0:1], 0x38
	s_waitcnt lgkmcnt(0)
	v_dual_add_f32 v0, v2, v4 :: v_dual_add_f32 v3, v3, v5
	v_cmp_eq_f32_e64 s3, s12, 0
	s_delay_alu instid0(VALU_DEP_2) | instskip(SKIP_1) | instid1(VALU_DEP_3)
	v_dual_mul_f32 v2, s16, v0 :: v_dual_mul_f32 v3, s16, v3
	v_lshlrev_b32_e32 v0, 1, v1
	s_and_b32 vcc_lo, exec_lo, s3
	s_cbranch_vccz .LBB41_21
; %bb.20:
	s_delay_alu instid0(VALU_DEP_1) | instskip(SKIP_1) | instid1(VALU_DEP_1)
	v_ashrrev_i32_e32 v1, 31, v0
	s_mov_b32 s2, 0
	v_lshlrev_b64 v[4:5], 2, v[0:1]
	s_delay_alu instid0(VALU_DEP_1) | instskip(NEXT) | instid1(VALU_DEP_2)
	v_add_co_u32 v4, vcc_lo, s0, v4
	v_add_co_ci_u32_e32 v5, vcc_lo, s1, v5, vcc_lo
	global_store_b64 v[4:5], v[2:3], off
.LBB41_21:
	s_and_not1_b32 vcc_lo, exec_lo, s2
	s_cbranch_vccnz .LBB41_23
; %bb.22:
	v_ashrrev_i32_e32 v1, 31, v0
	s_delay_alu instid0(VALU_DEP_1) | instskip(NEXT) | instid1(VALU_DEP_1)
	v_lshlrev_b64 v[0:1], 2, v[0:1]
	v_add_co_u32 v0, vcc_lo, s0, v0
	s_delay_alu instid0(VALU_DEP_2)
	v_add_co_ci_u32_e32 v1, vcc_lo, s1, v1, vcc_lo
	global_load_b64 v[4:5], v[0:1], off
	s_waitcnt vmcnt(0)
	v_dual_fmac_f32 v2, s12, v4 :: v_dual_fmac_f32 v3, s12, v5
	global_store_b64 v[0:1], v[2:3], off
.LBB41_23:
	s_nop 0
	s_sendmsg sendmsg(MSG_DEALLOC_VGPRS)
	s_endpgm
	.section	.rodata,"a",@progbits
	.p2align	6, 0x0
	.amdhsa_kernel _ZN9rocsparseL19gebsrmvn_2xn_kernelILj128ELj10ELj8EfEEvi20rocsparse_direction_NS_24const_host_device_scalarIT2_EEPKiS6_PKS3_S8_S4_PS3_21rocsparse_index_base_b
		.amdhsa_group_segment_fixed_size 0
		.amdhsa_private_segment_fixed_size 0
		.amdhsa_kernarg_size 72
		.amdhsa_user_sgpr_count 15
		.amdhsa_user_sgpr_dispatch_ptr 0
		.amdhsa_user_sgpr_queue_ptr 0
		.amdhsa_user_sgpr_kernarg_segment_ptr 1
		.amdhsa_user_sgpr_dispatch_id 0
		.amdhsa_user_sgpr_private_segment_size 0
		.amdhsa_wavefront_size32 1
		.amdhsa_uses_dynamic_stack 0
		.amdhsa_enable_private_segment 0
		.amdhsa_system_sgpr_workgroup_id_x 1
		.amdhsa_system_sgpr_workgroup_id_y 0
		.amdhsa_system_sgpr_workgroup_id_z 0
		.amdhsa_system_sgpr_workgroup_info 0
		.amdhsa_system_vgpr_workitem_id 0
		.amdhsa_next_free_vgpr 43
		.amdhsa_next_free_sgpr 20
		.amdhsa_reserve_vcc 1
		.amdhsa_float_round_mode_32 0
		.amdhsa_float_round_mode_16_64 0
		.amdhsa_float_denorm_mode_32 3
		.amdhsa_float_denorm_mode_16_64 3
		.amdhsa_dx10_clamp 1
		.amdhsa_ieee_mode 1
		.amdhsa_fp16_overflow 0
		.amdhsa_workgroup_processor_mode 1
		.amdhsa_memory_ordered 1
		.amdhsa_forward_progress 0
		.amdhsa_shared_vgpr_count 0
		.amdhsa_exception_fp_ieee_invalid_op 0
		.amdhsa_exception_fp_denorm_src 0
		.amdhsa_exception_fp_ieee_div_zero 0
		.amdhsa_exception_fp_ieee_overflow 0
		.amdhsa_exception_fp_ieee_underflow 0
		.amdhsa_exception_fp_ieee_inexact 0
		.amdhsa_exception_int_div_zero 0
	.end_amdhsa_kernel
	.section	.text._ZN9rocsparseL19gebsrmvn_2xn_kernelILj128ELj10ELj8EfEEvi20rocsparse_direction_NS_24const_host_device_scalarIT2_EEPKiS6_PKS3_S8_S4_PS3_21rocsparse_index_base_b,"axG",@progbits,_ZN9rocsparseL19gebsrmvn_2xn_kernelILj128ELj10ELj8EfEEvi20rocsparse_direction_NS_24const_host_device_scalarIT2_EEPKiS6_PKS3_S8_S4_PS3_21rocsparse_index_base_b,comdat
.Lfunc_end41:
	.size	_ZN9rocsparseL19gebsrmvn_2xn_kernelILj128ELj10ELj8EfEEvi20rocsparse_direction_NS_24const_host_device_scalarIT2_EEPKiS6_PKS3_S8_S4_PS3_21rocsparse_index_base_b, .Lfunc_end41-_ZN9rocsparseL19gebsrmvn_2xn_kernelILj128ELj10ELj8EfEEvi20rocsparse_direction_NS_24const_host_device_scalarIT2_EEPKiS6_PKS3_S8_S4_PS3_21rocsparse_index_base_b
                                        ; -- End function
	.section	.AMDGPU.csdata,"",@progbits
; Kernel info:
; codeLenInByte = 2540
; NumSgprs: 22
; NumVgprs: 43
; ScratchSize: 0
; MemoryBound: 0
; FloatMode: 240
; IeeeMode: 1
; LDSByteSize: 0 bytes/workgroup (compile time only)
; SGPRBlocks: 2
; VGPRBlocks: 5
; NumSGPRsForWavesPerEU: 22
; NumVGPRsForWavesPerEU: 43
; Occupancy: 16
; WaveLimiterHint : 1
; COMPUTE_PGM_RSRC2:SCRATCH_EN: 0
; COMPUTE_PGM_RSRC2:USER_SGPR: 15
; COMPUTE_PGM_RSRC2:TRAP_HANDLER: 0
; COMPUTE_PGM_RSRC2:TGID_X_EN: 1
; COMPUTE_PGM_RSRC2:TGID_Y_EN: 0
; COMPUTE_PGM_RSRC2:TGID_Z_EN: 0
; COMPUTE_PGM_RSRC2:TIDIG_COMP_CNT: 0
	.section	.text._ZN9rocsparseL19gebsrmvn_2xn_kernelILj128ELj10ELj16EfEEvi20rocsparse_direction_NS_24const_host_device_scalarIT2_EEPKiS6_PKS3_S8_S4_PS3_21rocsparse_index_base_b,"axG",@progbits,_ZN9rocsparseL19gebsrmvn_2xn_kernelILj128ELj10ELj16EfEEvi20rocsparse_direction_NS_24const_host_device_scalarIT2_EEPKiS6_PKS3_S8_S4_PS3_21rocsparse_index_base_b,comdat
	.globl	_ZN9rocsparseL19gebsrmvn_2xn_kernelILj128ELj10ELj16EfEEvi20rocsparse_direction_NS_24const_host_device_scalarIT2_EEPKiS6_PKS3_S8_S4_PS3_21rocsparse_index_base_b ; -- Begin function _ZN9rocsparseL19gebsrmvn_2xn_kernelILj128ELj10ELj16EfEEvi20rocsparse_direction_NS_24const_host_device_scalarIT2_EEPKiS6_PKS3_S8_S4_PS3_21rocsparse_index_base_b
	.p2align	8
	.type	_ZN9rocsparseL19gebsrmvn_2xn_kernelILj128ELj10ELj16EfEEvi20rocsparse_direction_NS_24const_host_device_scalarIT2_EEPKiS6_PKS3_S8_S4_PS3_21rocsparse_index_base_b,@function
_ZN9rocsparseL19gebsrmvn_2xn_kernelILj128ELj10ELj16EfEEvi20rocsparse_direction_NS_24const_host_device_scalarIT2_EEPKiS6_PKS3_S8_S4_PS3_21rocsparse_index_base_b: ; @_ZN9rocsparseL19gebsrmvn_2xn_kernelILj128ELj10ELj16EfEEvi20rocsparse_direction_NS_24const_host_device_scalarIT2_EEPKiS6_PKS3_S8_S4_PS3_21rocsparse_index_base_b
; %bb.0:
	s_clause 0x2
	s_load_b64 s[18:19], s[0:1], 0x40
	s_load_b64 s[16:17], s[0:1], 0x8
	;; [unrolled: 1-line block ×3, first 2 shown]
	s_waitcnt lgkmcnt(0)
	s_bitcmp1_b32 s19, 0
	s_cselect_b32 s2, -1, 0
	s_delay_alu instid0(SALU_CYCLE_1)
	s_and_b32 vcc_lo, exec_lo, s2
	s_xor_b32 s2, s2, -1
	s_cbranch_vccnz .LBB42_2
; %bb.1:
	s_load_b32 s16, s[16:17], 0x0
.LBB42_2:
	s_and_not1_b32 vcc_lo, exec_lo, s2
	s_cbranch_vccnz .LBB42_4
; %bb.3:
	s_load_b32 s12, s[12:13], 0x0
.LBB42_4:
	s_waitcnt lgkmcnt(0)
	v_cmp_eq_f32_e64 s2, s16, 0
	v_cmp_eq_f32_e64 s3, s12, 1.0
	s_delay_alu instid0(VALU_DEP_1) | instskip(NEXT) | instid1(SALU_CYCLE_1)
	s_and_b32 s2, s2, s3
	s_and_b32 vcc_lo, exec_lo, s2
	s_cbranch_vccnz .LBB42_23
; %bb.5:
	s_load_b64 s[2:3], s[0:1], 0x0
	v_lshrrev_b32_e32 v1, 4, v0
	s_delay_alu instid0(VALU_DEP_1) | instskip(SKIP_1) | instid1(VALU_DEP_1)
	v_lshl_or_b32 v1, s15, 3, v1
	s_waitcnt lgkmcnt(0)
	v_cmp_gt_i32_e32 vcc_lo, s2, v1
	s_and_saveexec_b32 s2, vcc_lo
	s_cbranch_execz .LBB42_23
; %bb.6:
	s_load_b256 s[4:11], s[0:1], 0x10
	v_ashrrev_i32_e32 v2, 31, v1
	v_and_b32_e32 v0, 15, v0
	s_cmp_lg_u32 s3, 0
	s_delay_alu instid0(VALU_DEP_2) | instskip(SKIP_1) | instid1(VALU_DEP_1)
	v_lshlrev_b64 v[2:3], 2, v[1:2]
	s_waitcnt lgkmcnt(0)
	v_add_co_u32 v2, vcc_lo, s4, v2
	s_delay_alu instid0(VALU_DEP_2) | instskip(SKIP_4) | instid1(VALU_DEP_2)
	v_add_co_ci_u32_e32 v3, vcc_lo, s5, v3, vcc_lo
	global_load_b64 v[2:3], v[2:3], off
	s_waitcnt vmcnt(0)
	v_subrev_nc_u32_e32 v2, s18, v2
	v_subrev_nc_u32_e32 v11, s18, v3
	v_add_nc_u32_e32 v2, v2, v0
	s_delay_alu instid0(VALU_DEP_1)
	v_cmp_lt_i32_e64 s2, v2, v11
	s_cbranch_scc0 .LBB42_12
; %bb.7:
	v_dual_mov_b32 v9, 0 :: v_dual_mov_b32 v10, 0
	s_mov_b32 s4, 0
	s_delay_alu instid0(VALU_DEP_2)
	s_and_saveexec_b32 s5, s2
	s_cbranch_execz .LBB42_11
; %bb.8:
	v_mad_u64_u32 v[3:4], null, v2, 20, 18
	v_dual_mov_b32 v6, 0 :: v_dual_mov_b32 v7, v2
	v_dual_mov_b32 v9, 0 :: v_dual_mov_b32 v10, 0
	s_mov_b32 s13, 0
.LBB42_9:                               ; =>This Inner Loop Header: Depth=1
	s_delay_alu instid0(VALU_DEP_2) | instskip(NEXT) | instid1(VALU_DEP_1)
	v_ashrrev_i32_e32 v8, 31, v7
	v_lshlrev_b64 v[4:5], 2, v[7:8]
	v_add_nc_u32_e32 v7, 16, v7
	s_delay_alu instid0(VALU_DEP_2) | instskip(NEXT) | instid1(VALU_DEP_3)
	v_add_co_u32 v4, vcc_lo, s6, v4
	v_add_co_ci_u32_e32 v5, vcc_lo, s7, v5, vcc_lo
	global_load_b32 v8, v[4:5], off
	v_subrev_nc_u32_e32 v5, 18, v3
	v_mov_b32_e32 v4, v6
	s_delay_alu instid0(VALU_DEP_2) | instskip(SKIP_1) | instid1(VALU_DEP_3)
	v_lshlrev_b64 v[12:13], 2, v[5:6]
	v_add_nc_u32_e32 v5, -14, v3
	v_lshlrev_b64 v[18:19], 2, v[3:4]
	s_delay_alu instid0(VALU_DEP_2) | instskip(NEXT) | instid1(VALU_DEP_4)
	v_lshlrev_b64 v[4:5], 2, v[5:6]
	v_add_co_u32 v12, vcc_lo, s8, v12
	v_add_co_ci_u32_e32 v13, vcc_lo, s9, v13, vcc_lo
	s_delay_alu instid0(VALU_DEP_4) | instskip(NEXT) | instid1(VALU_DEP_4)
	v_add_co_u32 v18, vcc_lo, s8, v18
	v_add_co_u32 v4, s3, s8, v4
	s_delay_alu instid0(VALU_DEP_1)
	v_add_co_ci_u32_e64 v5, s3, s9, v5, s3
	s_clause 0x1
	global_load_b128 v[12:15], v[12:13], off
	global_load_b64 v[20:21], v[4:5], off
	v_mov_b32_e32 v17, v6
	v_add_co_ci_u32_e32 v19, vcc_lo, s9, v19, vcc_lo
	v_cmp_ge_i32_e32 vcc_lo, v7, v11
	s_or_b32 s13, vcc_lo, s13
	s_waitcnt vmcnt(2)
	v_subrev_nc_u32_e32 v4, s18, v8
	s_delay_alu instid0(VALU_DEP_1) | instskip(NEXT) | instid1(VALU_DEP_1)
	v_mul_lo_u32 v16, v4, 10
	v_lshlrev_b64 v[22:23], 2, v[16:17]
	s_delay_alu instid0(VALU_DEP_1) | instskip(NEXT) | instid1(VALU_DEP_1)
	v_add_co_u32 v22, s3, s10, v22
	v_add_co_ci_u32_e64 v23, s3, s11, v23, s3
	global_load_b64 v[22:23], v[22:23], off
	v_add_nc_u32_e32 v5, 2, v16
	s_delay_alu instid0(VALU_DEP_1) | instskip(NEXT) | instid1(VALU_DEP_1)
	v_lshlrev_b64 v[24:25], 2, v[5:6]
	v_add_co_u32 v24, s3, s10, v24
	s_delay_alu instid0(VALU_DEP_1) | instskip(SKIP_3) | instid1(VALU_DEP_1)
	v_add_co_ci_u32_e64 v25, s3, s11, v25, s3
	global_load_b64 v[24:25], v[24:25], off
	s_waitcnt vmcnt(1)
	v_fmac_f32_e32 v10, v13, v22
	v_fmac_f32_e32 v10, v15, v23
	s_waitcnt vmcnt(0)
	s_delay_alu instid0(VALU_DEP_1) | instskip(NEXT) | instid1(VALU_DEP_1)
	v_dual_fmac_f32 v10, v21, v24 :: v_dual_add_nc_u32 v5, -12, v3
	v_lshlrev_b64 v[26:27], 2, v[5:6]
	s_delay_alu instid0(VALU_DEP_1) | instskip(NEXT) | instid1(VALU_DEP_1)
	v_add_co_u32 v26, s3, s8, v26
	v_add_co_ci_u32_e64 v27, s3, s9, v27, s3
	global_load_b64 v[26:27], v[26:27], off
	v_add_nc_u32_e32 v5, -10, v3
	s_delay_alu instid0(VALU_DEP_1) | instskip(NEXT) | instid1(VALU_DEP_1)
	v_lshlrev_b64 v[28:29], 2, v[5:6]
	v_add_co_u32 v28, s3, s8, v28
	s_delay_alu instid0(VALU_DEP_1) | instskip(SKIP_3) | instid1(VALU_DEP_1)
	v_add_co_ci_u32_e64 v29, s3, s9, v29, s3
	global_load_b64 v[28:29], v[28:29], off
	s_waitcnt vmcnt(1)
	v_dual_fmac_f32 v10, v27, v25 :: v_dual_add_nc_u32 v5, 4, v16
	v_lshlrev_b64 v[30:31], 2, v[5:6]
	v_add_nc_u32_e32 v5, -8, v3
	s_delay_alu instid0(VALU_DEP_1) | instskip(NEXT) | instid1(VALU_DEP_3)
	v_lshlrev_b64 v[32:33], 2, v[5:6]
	v_add_co_u32 v30, s3, s10, v30
	s_delay_alu instid0(VALU_DEP_1) | instskip(SKIP_1) | instid1(VALU_DEP_4)
	v_add_co_ci_u32_e64 v31, s3, s11, v31, s3
	v_add_nc_u32_e32 v5, -6, v3
	v_add_co_u32 v32, s3, s8, v32
	global_load_b64 v[30:31], v[30:31], off
	v_add_co_ci_u32_e64 v33, s3, s9, v33, s3
	v_lshlrev_b64 v[34:35], 2, v[5:6]
	global_load_b64 v[32:33], v[32:33], off
	v_add_co_u32 v34, s3, s8, v34
	s_delay_alu instid0(VALU_DEP_1) | instskip(SKIP_4) | instid1(VALU_DEP_1)
	v_add_co_ci_u32_e64 v35, s3, s9, v35, s3
	global_load_b64 v[34:35], v[34:35], off
	s_waitcnt vmcnt(2)
	v_dual_fmac_f32 v10, v29, v30 :: v_dual_add_nc_u32 v5, 6, v16
	s_waitcnt vmcnt(1)
	v_fmac_f32_e32 v10, v33, v31
	s_delay_alu instid0(VALU_DEP_2) | instskip(SKIP_1) | instid1(VALU_DEP_1)
	v_lshlrev_b64 v[36:37], 2, v[5:6]
	v_add_nc_u32_e32 v5, -4, v3
	v_lshlrev_b64 v[38:39], 2, v[5:6]
	v_add_nc_u32_e32 v5, -2, v3
	s_delay_alu instid0(VALU_DEP_4) | instskip(NEXT) | instid1(VALU_DEP_1)
	v_add_co_u32 v36, s3, s10, v36
	v_add_co_ci_u32_e64 v37, s3, s11, v37, s3
	s_delay_alu instid0(VALU_DEP_3) | instskip(SKIP_2) | instid1(VALU_DEP_1)
	v_lshlrev_b64 v[40:41], 2, v[5:6]
	v_add_nc_u32_e32 v5, 8, v16
	v_add_co_u32 v16, s3, s8, v38
	v_add_co_ci_u32_e64 v17, s3, s9, v39, s3
	s_delay_alu instid0(VALU_DEP_3) | instskip(SKIP_2) | instid1(VALU_DEP_1)
	v_lshlrev_b64 v[4:5], 2, v[5:6]
	global_load_b64 v[36:37], v[36:37], off
	v_add_co_u32 v38, s3, s8, v40
	v_add_co_ci_u32_e64 v39, s3, s9, v41, s3
	global_load_b64 v[16:17], v[16:17], off
	v_add_co_u32 v4, s3, s10, v4
	s_delay_alu instid0(VALU_DEP_1)
	v_add_co_ci_u32_e64 v5, s3, s11, v5, s3
	global_load_b64 v[38:39], v[38:39], off
	global_load_b64 v[4:5], v[4:5], off
	;; [unrolled: 1-line block ×3, first 2 shown]
	s_waitcnt vmcnt(4)
	v_dual_fmac_f32 v10, v35, v36 :: v_dual_add_nc_u32 v3, 0x140, v3
	s_waitcnt vmcnt(3)
	s_delay_alu instid0(VALU_DEP_1) | instskip(SKIP_1) | instid1(VALU_DEP_1)
	v_fmac_f32_e32 v10, v17, v37
	s_waitcnt vmcnt(1)
	v_dual_fmac_f32 v10, v39, v4 :: v_dual_fmac_f32 v9, v12, v22
	s_waitcnt vmcnt(0)
	s_delay_alu instid0(VALU_DEP_1) | instskip(NEXT) | instid1(VALU_DEP_1)
	v_dual_fmac_f32 v10, v19, v5 :: v_dual_fmac_f32 v9, v14, v23
	v_fmac_f32_e32 v9, v20, v24
	s_delay_alu instid0(VALU_DEP_1) | instskip(NEXT) | instid1(VALU_DEP_1)
	v_fmac_f32_e32 v9, v26, v25
	v_fmac_f32_e32 v9, v28, v30
	s_delay_alu instid0(VALU_DEP_1) | instskip(NEXT) | instid1(VALU_DEP_1)
	v_fmac_f32_e32 v9, v32, v31
	;; [unrolled: 3-line block ×3, first 2 shown]
	v_fmac_f32_e32 v9, v38, v4
	s_delay_alu instid0(VALU_DEP_1)
	v_fmac_f32_e32 v9, v18, v5
	s_and_not1_b32 exec_lo, exec_lo, s13
	s_cbranch_execnz .LBB42_9
; %bb.10:
	s_or_b32 exec_lo, exec_lo, s13
.LBB42_11:
	s_delay_alu instid0(SALU_CYCLE_1) | instskip(NEXT) | instid1(SALU_CYCLE_1)
	s_or_b32 exec_lo, exec_lo, s5
	s_and_not1_b32 vcc_lo, exec_lo, s4
	s_cbranch_vccz .LBB42_13
	s_branch .LBB42_18
.LBB42_12:
                                        ; implicit-def: $vgpr9
                                        ; implicit-def: $vgpr10
.LBB42_13:
	v_dual_mov_b32 v9, 0 :: v_dual_mov_b32 v10, 0
	s_delay_alu instid0(VALU_DEP_2)
	s_and_saveexec_b32 s3, s2
	s_cbranch_execz .LBB42_17
; %bb.14:
	v_mad_u64_u32 v[4:5], null, v2, 20, 19
	v_dual_mov_b32 v7, 0 :: v_dual_mov_b32 v10, 0
	v_mov_b32_e32 v9, 0
	s_mov_b32 s2, 0
.LBB42_15:                              ; =>This Inner Loop Header: Depth=1
	v_ashrrev_i32_e32 v3, 31, v2
	s_delay_alu instid0(VALU_DEP_3) | instskip(SKIP_1) | instid1(VALU_DEP_3)
	v_dual_mov_b32 v17, v7 :: v_dual_add_nc_u32 v12, -9, v4
	v_mov_b32_e32 v13, v7
	v_lshlrev_b64 v[5:6], 2, v[2:3]
	v_add_nc_u32_e32 v2, 16, v2
	s_delay_alu instid0(VALU_DEP_2) | instskip(NEXT) | instid1(VALU_DEP_3)
	v_add_co_u32 v5, vcc_lo, s6, v5
	v_add_co_ci_u32_e32 v6, vcc_lo, s7, v6, vcc_lo
	global_load_b32 v3, v[5:6], off
	v_subrev_nc_u32_e32 v6, 19, v4
	s_delay_alu instid0(VALU_DEP_1) | instskip(SKIP_2) | instid1(VALU_DEP_3)
	v_lshlrev_b64 v[14:15], 2, v[6:7]
	v_add_nc_u32_e32 v6, -8, v4
	v_lshlrev_b64 v[12:13], 2, v[12:13]
	v_add_co_u32 v14, vcc_lo, s8, v14
	s_delay_alu instid0(VALU_DEP_4) | instskip(NEXT) | instid1(VALU_DEP_3)
	v_add_co_ci_u32_e32 v15, vcc_lo, s9, v15, vcc_lo
	v_add_co_u32 v20, vcc_lo, s8, v12
	s_delay_alu instid0(VALU_DEP_4) | instskip(SKIP_2) | instid1(VALU_DEP_1)
	v_add_co_ci_u32_e32 v21, vcc_lo, s9, v13, vcc_lo
	s_waitcnt vmcnt(0)
	v_subrev_nc_u32_e32 v3, s18, v3
	v_mul_lo_u32 v16, v3, 10
	v_mov_b32_e32 v5, v7
	s_delay_alu instid0(VALU_DEP_1) | instskip(SKIP_1) | instid1(VALU_DEP_2)
	v_lshlrev_b64 v[18:19], 2, v[4:5]
	v_lshlrev_b64 v[5:6], 2, v[6:7]
	v_add_co_u32 v18, vcc_lo, s8, v18
	s_delay_alu instid0(VALU_DEP_3) | instskip(NEXT) | instid1(VALU_DEP_3)
	v_add_co_ci_u32_e32 v19, vcc_lo, s9, v19, vcc_lo
	v_add_co_u32 v5, vcc_lo, s8, v5
	s_delay_alu instid0(VALU_DEP_4)
	v_add_co_ci_u32_e32 v6, vcc_lo, s9, v6, vcc_lo
	s_clause 0x2
	global_load_b128 v[12:15], v[14:15], off
	global_load_b32 v8, v[20:21], off
	global_load_b32 v34, v[5:6], off
	v_add_nc_u32_e32 v6, 2, v16
	v_lshlrev_b64 v[20:21], 2, v[16:17]
	s_delay_alu instid0(VALU_DEP_2) | instskip(NEXT) | instid1(VALU_DEP_2)
	v_lshlrev_b64 v[22:23], 2, v[6:7]
	v_add_co_u32 v20, vcc_lo, s10, v20
	s_delay_alu instid0(VALU_DEP_3) | instskip(NEXT) | instid1(VALU_DEP_3)
	v_add_co_ci_u32_e32 v21, vcc_lo, s11, v21, vcc_lo
	v_add_co_u32 v22, vcc_lo, s10, v22
	s_delay_alu instid0(VALU_DEP_4)
	v_add_co_ci_u32_e32 v23, vcc_lo, s11, v23, vcc_lo
	s_clause 0x1
	global_load_b64 v[20:21], v[20:21], off
	global_load_b64 v[22:23], v[22:23], off
	s_waitcnt vmcnt(1)
	v_fmac_f32_e32 v10, v8, v20
	s_delay_alu instid0(VALU_DEP_1) | instskip(NEXT) | instid1(VALU_DEP_1)
	v_dual_fmac_f32 v9, v12, v20 :: v_dual_fmac_f32 v10, v34, v21
	v_dual_fmac_f32 v9, v13, v21 :: v_dual_add_nc_u32 v6, -7, v4
	s_delay_alu instid0(VALU_DEP_1) | instskip(SKIP_1) | instid1(VALU_DEP_2)
	v_lshlrev_b64 v[24:25], 2, v[6:7]
	s_waitcnt vmcnt(0)
	v_dual_fmac_f32 v9, v14, v22 :: v_dual_add_nc_u32 v6, -6, v4
	s_delay_alu instid0(VALU_DEP_1) | instskip(NEXT) | instid1(VALU_DEP_2)
	v_lshlrev_b64 v[26:27], 2, v[6:7]
	v_dual_fmac_f32 v9, v15, v23 :: v_dual_add_nc_u32 v6, -15, v4
	s_delay_alu instid0(VALU_DEP_4) | instskip(SKIP_1) | instid1(VALU_DEP_4)
	v_add_co_u32 v24, vcc_lo, s8, v24
	v_add_co_ci_u32_e32 v25, vcc_lo, s9, v25, vcc_lo
	v_add_co_u32 v26, vcc_lo, s8, v26
	s_delay_alu instid0(VALU_DEP_4)
	v_lshlrev_b64 v[28:29], 2, v[6:7]
	v_add_nc_u32_e32 v6, 4, v16
	v_add_co_ci_u32_e32 v27, vcc_lo, s9, v27, vcc_lo
	s_clause 0x1
	global_load_b32 v3, v[24:25], off
	global_load_b32 v35, v[26:27], off
	v_lshlrev_b64 v[24:25], 2, v[6:7]
	v_add_nc_u32_e32 v6, -5, v4
	v_add_co_u32 v26, vcc_lo, s8, v28
	v_add_co_ci_u32_e32 v27, vcc_lo, s9, v29, vcc_lo
	s_delay_alu instid0(VALU_DEP_3) | instskip(SKIP_3) | instid1(VALU_DEP_4)
	v_lshlrev_b64 v[28:29], 2, v[6:7]
	v_add_co_u32 v24, vcc_lo, s10, v24
	v_add_co_ci_u32_e32 v25, vcc_lo, s11, v25, vcc_lo
	v_add_nc_u32_e32 v6, -14, v4
	v_add_co_u32 v28, vcc_lo, s8, v28
	v_add_co_ci_u32_e32 v29, vcc_lo, s9, v29, vcc_lo
	global_load_b32 v36, v[26:27], off
	global_load_b64 v[24:25], v[24:25], off
	global_load_b32 v37, v[28:29], off
	v_lshlrev_b64 v[26:27], 2, v[6:7]
	v_add_nc_u32_e32 v6, -4, v4
	s_delay_alu instid0(VALU_DEP_1) | instskip(SKIP_1) | instid1(VALU_DEP_4)
	v_lshlrev_b64 v[30:31], 2, v[6:7]
	v_add_nc_u32_e32 v6, -13, v4
	v_add_co_u32 v26, vcc_lo, s8, v26
	v_add_co_ci_u32_e32 v27, vcc_lo, s9, v27, vcc_lo
	s_delay_alu instid0(VALU_DEP_3)
	v_lshlrev_b64 v[28:29], 2, v[6:7]
	v_add_nc_u32_e32 v6, 6, v16
	global_load_b32 v38, v[26:27], off
	v_add_co_u32 v26, vcc_lo, s8, v30
	v_add_co_ci_u32_e32 v27, vcc_lo, s9, v31, vcc_lo
	v_add_co_u32 v28, vcc_lo, s8, v28
	v_lshlrev_b64 v[30:31], 2, v[6:7]
	v_add_nc_u32_e32 v6, -3, v4
	v_add_co_ci_u32_e32 v29, vcc_lo, s9, v29, vcc_lo
	s_clause 0x1
	global_load_b32 v39, v[26:27], off
	global_load_b32 v40, v[28:29], off
	v_lshlrev_b64 v[26:27], 2, v[6:7]
	v_add_nc_u32_e32 v6, -12, v4
	v_add_co_u32 v28, vcc_lo, s10, v30
	v_add_co_ci_u32_e32 v29, vcc_lo, s11, v31, vcc_lo
	s_delay_alu instid0(VALU_DEP_3) | instskip(SKIP_3) | instid1(VALU_DEP_3)
	v_lshlrev_b64 v[30:31], 2, v[6:7]
	v_add_nc_u32_e32 v6, -2, v4
	v_add_co_u32 v26, vcc_lo, s8, v26
	v_add_co_ci_u32_e32 v27, vcc_lo, s9, v27, vcc_lo
	v_lshlrev_b64 v[32:33], 2, v[6:7]
	v_add_nc_u32_e32 v6, -11, v4
	global_load_b64 v[28:29], v[28:29], off
	global_load_b32 v41, v[26:27], off
	v_add_co_u32 v26, vcc_lo, s8, v30
	v_add_co_ci_u32_e32 v27, vcc_lo, s9, v31, vcc_lo
	v_lshlrev_b64 v[30:31], 2, v[6:7]
	v_add_nc_u32_e32 v6, 8, v16
	v_add_co_u32 v16, vcc_lo, s8, v32
	v_add_co_ci_u32_e32 v17, vcc_lo, s9, v33, vcc_lo
	global_load_b32 v32, v[26:27], off
	v_lshlrev_b64 v[26:27], 2, v[6:7]
	v_add_nc_u32_e32 v6, -1, v4
	global_load_b32 v33, v[16:17], off
	v_add_co_u32 v16, vcc_lo, s8, v30
	v_add_co_ci_u32_e32 v17, vcc_lo, s9, v31, vcc_lo
	v_add_co_u32 v26, vcc_lo, s10, v26
	v_lshlrev_b64 v[30:31], 2, v[6:7]
	v_add_nc_u32_e32 v6, -10, v4
	v_add_co_ci_u32_e32 v27, vcc_lo, s11, v27, vcc_lo
	global_load_b32 v42, v[16:17], off
	v_add_nc_u32_e32 v4, 0x140, v4
	v_lshlrev_b64 v[5:6], 2, v[6:7]
	global_load_b64 v[16:17], v[26:27], off
	v_add_co_u32 v26, vcc_lo, s8, v30
	v_add_co_ci_u32_e32 v27, vcc_lo, s9, v31, vcc_lo
	v_add_co_u32 v5, vcc_lo, s8, v5
	v_add_co_ci_u32_e32 v6, vcc_lo, s9, v6, vcc_lo
	s_clause 0x2
	global_load_b32 v26, v[26:27], off
	global_load_b32 v5, v[5:6], off
	;; [unrolled: 1-line block ×3, first 2 shown]
	v_cmp_ge_i32_e32 vcc_lo, v2, v11
	s_or_b32 s2, vcc_lo, s2
	s_waitcnt vmcnt(13)
	v_dual_fmac_f32 v10, v3, v22 :: v_dual_fmac_f32 v9, v36, v24
	s_waitcnt vmcnt(11)
	s_delay_alu instid0(VALU_DEP_1) | instskip(SKIP_1) | instid1(VALU_DEP_1)
	v_dual_fmac_f32 v9, v38, v25 :: v_dual_fmac_f32 v10, v35, v23
	s_waitcnt vmcnt(8)
	v_fmac_f32_e32 v9, v40, v28
	s_waitcnt vmcnt(6)
	s_delay_alu instid0(VALU_DEP_1) | instskip(SKIP_1) | instid1(VALU_DEP_1)
	v_dual_fmac_f32 v10, v37, v24 :: v_dual_fmac_f32 v9, v32, v29
	s_waitcnt vmcnt(3)
	v_dual_fmac_f32 v10, v39, v25 :: v_dual_fmac_f32 v9, v42, v16
	s_delay_alu instid0(VALU_DEP_1) | instskip(NEXT) | instid1(VALU_DEP_1)
	v_fmac_f32_e32 v10, v41, v28
	v_fmac_f32_e32 v10, v33, v29
	s_waitcnt vmcnt(1)
	s_delay_alu instid0(VALU_DEP_1) | instskip(SKIP_1) | instid1(VALU_DEP_1)
	v_dual_fmac_f32 v9, v5, v17 :: v_dual_fmac_f32 v10, v26, v16
	s_waitcnt vmcnt(0)
	v_fmac_f32_e32 v10, v6, v17
	s_and_not1_b32 exec_lo, exec_lo, s2
	s_cbranch_execnz .LBB42_15
; %bb.16:
	s_or_b32 exec_lo, exec_lo, s2
.LBB42_17:
	s_delay_alu instid0(SALU_CYCLE_1)
	s_or_b32 exec_lo, exec_lo, s3
.LBB42_18:
	v_mbcnt_lo_u32_b32 v2, -1, 0
	s_mov_b32 s2, -1
	s_delay_alu instid0(VALU_DEP_1) | instskip(SKIP_2) | instid1(VALU_DEP_3)
	v_xor_b32_e32 v3, 8, v2
	v_xor_b32_e32 v5, 4, v2
	;; [unrolled: 1-line block ×3, first 2 shown]
	v_cmp_gt_i32_e32 vcc_lo, 32, v3
	v_cndmask_b32_e32 v3, v2, v3, vcc_lo
	s_delay_alu instid0(VALU_DEP_4) | instskip(NEXT) | instid1(VALU_DEP_2)
	v_cmp_gt_i32_e32 vcc_lo, 32, v5
	v_lshlrev_b32_e32 v3, 2, v3
	v_cndmask_b32_e32 v5, v2, v5, vcc_lo
	v_cmp_gt_i32_e32 vcc_lo, 32, v7
	ds_bpermute_b32 v4, v3, v9
	v_lshlrev_b32_e32 v5, 2, v5
	v_cndmask_b32_e32 v7, v2, v7, vcc_lo
	s_waitcnt lgkmcnt(0)
	s_delay_alu instid0(VALU_DEP_1)
	v_dual_add_f32 v4, v9, v4 :: v_dual_lshlrev_b32 v7, 2, v7
	ds_bpermute_b32 v6, v5, v4
	s_waitcnt lgkmcnt(0)
	v_add_f32_e32 v4, v4, v6
	ds_bpermute_b32 v3, v3, v10
	s_waitcnt lgkmcnt(0)
	v_add_f32_e32 v3, v10, v3
	;; [unrolled: 3-line block ×3, first 2 shown]
	ds_bpermute_b32 v5, v7, v4
	ds_bpermute_b32 v6, v7, v3
	v_xor_b32_e32 v7, 1, v2
	s_delay_alu instid0(VALU_DEP_1) | instskip(SKIP_3) | instid1(VALU_DEP_2)
	v_cmp_gt_i32_e32 vcc_lo, 32, v7
	v_cndmask_b32_e32 v2, v2, v7, vcc_lo
	v_cmp_eq_u32_e32 vcc_lo, 15, v0
	s_waitcnt lgkmcnt(1)
	v_dual_add_f32 v2, v4, v5 :: v_dual_lshlrev_b32 v7, 2, v2
	s_waitcnt lgkmcnt(0)
	v_add_f32_e32 v3, v3, v6
	ds_bpermute_b32 v4, v7, v2
	ds_bpermute_b32 v5, v7, v3
	s_and_b32 exec_lo, exec_lo, vcc_lo
	s_cbranch_execz .LBB42_23
; %bb.19:
	s_load_b64 s[0:1], s[0:1], 0x38
	s_waitcnt lgkmcnt(0)
	v_dual_add_f32 v0, v2, v4 :: v_dual_add_f32 v3, v3, v5
	v_cmp_eq_f32_e64 s3, s12, 0
	s_delay_alu instid0(VALU_DEP_2) | instskip(SKIP_1) | instid1(VALU_DEP_3)
	v_dual_mul_f32 v2, s16, v0 :: v_dual_mul_f32 v3, s16, v3
	v_lshlrev_b32_e32 v0, 1, v1
	s_and_b32 vcc_lo, exec_lo, s3
	s_cbranch_vccz .LBB42_21
; %bb.20:
	s_delay_alu instid0(VALU_DEP_1) | instskip(SKIP_1) | instid1(VALU_DEP_1)
	v_ashrrev_i32_e32 v1, 31, v0
	s_mov_b32 s2, 0
	v_lshlrev_b64 v[4:5], 2, v[0:1]
	s_delay_alu instid0(VALU_DEP_1) | instskip(NEXT) | instid1(VALU_DEP_2)
	v_add_co_u32 v4, vcc_lo, s0, v4
	v_add_co_ci_u32_e32 v5, vcc_lo, s1, v5, vcc_lo
	global_store_b64 v[4:5], v[2:3], off
.LBB42_21:
	s_and_not1_b32 vcc_lo, exec_lo, s2
	s_cbranch_vccnz .LBB42_23
; %bb.22:
	v_ashrrev_i32_e32 v1, 31, v0
	s_delay_alu instid0(VALU_DEP_1) | instskip(NEXT) | instid1(VALU_DEP_1)
	v_lshlrev_b64 v[0:1], 2, v[0:1]
	v_add_co_u32 v0, vcc_lo, s0, v0
	s_delay_alu instid0(VALU_DEP_2)
	v_add_co_ci_u32_e32 v1, vcc_lo, s1, v1, vcc_lo
	global_load_b64 v[4:5], v[0:1], off
	s_waitcnt vmcnt(0)
	v_dual_fmac_f32 v2, s12, v4 :: v_dual_fmac_f32 v3, s12, v5
	global_store_b64 v[0:1], v[2:3], off
.LBB42_23:
	s_nop 0
	s_sendmsg sendmsg(MSG_DEALLOC_VGPRS)
	s_endpgm
	.section	.rodata,"a",@progbits
	.p2align	6, 0x0
	.amdhsa_kernel _ZN9rocsparseL19gebsrmvn_2xn_kernelILj128ELj10ELj16EfEEvi20rocsparse_direction_NS_24const_host_device_scalarIT2_EEPKiS6_PKS3_S8_S4_PS3_21rocsparse_index_base_b
		.amdhsa_group_segment_fixed_size 0
		.amdhsa_private_segment_fixed_size 0
		.amdhsa_kernarg_size 72
		.amdhsa_user_sgpr_count 15
		.amdhsa_user_sgpr_dispatch_ptr 0
		.amdhsa_user_sgpr_queue_ptr 0
		.amdhsa_user_sgpr_kernarg_segment_ptr 1
		.amdhsa_user_sgpr_dispatch_id 0
		.amdhsa_user_sgpr_private_segment_size 0
		.amdhsa_wavefront_size32 1
		.amdhsa_uses_dynamic_stack 0
		.amdhsa_enable_private_segment 0
		.amdhsa_system_sgpr_workgroup_id_x 1
		.amdhsa_system_sgpr_workgroup_id_y 0
		.amdhsa_system_sgpr_workgroup_id_z 0
		.amdhsa_system_sgpr_workgroup_info 0
		.amdhsa_system_vgpr_workitem_id 0
		.amdhsa_next_free_vgpr 43
		.amdhsa_next_free_sgpr 20
		.amdhsa_reserve_vcc 1
		.amdhsa_float_round_mode_32 0
		.amdhsa_float_round_mode_16_64 0
		.amdhsa_float_denorm_mode_32 3
		.amdhsa_float_denorm_mode_16_64 3
		.amdhsa_dx10_clamp 1
		.amdhsa_ieee_mode 1
		.amdhsa_fp16_overflow 0
		.amdhsa_workgroup_processor_mode 1
		.amdhsa_memory_ordered 1
		.amdhsa_forward_progress 0
		.amdhsa_shared_vgpr_count 0
		.amdhsa_exception_fp_ieee_invalid_op 0
		.amdhsa_exception_fp_denorm_src 0
		.amdhsa_exception_fp_ieee_div_zero 0
		.amdhsa_exception_fp_ieee_overflow 0
		.amdhsa_exception_fp_ieee_underflow 0
		.amdhsa_exception_fp_ieee_inexact 0
		.amdhsa_exception_int_div_zero 0
	.end_amdhsa_kernel
	.section	.text._ZN9rocsparseL19gebsrmvn_2xn_kernelILj128ELj10ELj16EfEEvi20rocsparse_direction_NS_24const_host_device_scalarIT2_EEPKiS6_PKS3_S8_S4_PS3_21rocsparse_index_base_b,"axG",@progbits,_ZN9rocsparseL19gebsrmvn_2xn_kernelILj128ELj10ELj16EfEEvi20rocsparse_direction_NS_24const_host_device_scalarIT2_EEPKiS6_PKS3_S8_S4_PS3_21rocsparse_index_base_b,comdat
.Lfunc_end42:
	.size	_ZN9rocsparseL19gebsrmvn_2xn_kernelILj128ELj10ELj16EfEEvi20rocsparse_direction_NS_24const_host_device_scalarIT2_EEPKiS6_PKS3_S8_S4_PS3_21rocsparse_index_base_b, .Lfunc_end42-_ZN9rocsparseL19gebsrmvn_2xn_kernelILj128ELj10ELj16EfEEvi20rocsparse_direction_NS_24const_host_device_scalarIT2_EEPKiS6_PKS3_S8_S4_PS3_21rocsparse_index_base_b
                                        ; -- End function
	.section	.AMDGPU.csdata,"",@progbits
; Kernel info:
; codeLenInByte = 2592
; NumSgprs: 22
; NumVgprs: 43
; ScratchSize: 0
; MemoryBound: 0
; FloatMode: 240
; IeeeMode: 1
; LDSByteSize: 0 bytes/workgroup (compile time only)
; SGPRBlocks: 2
; VGPRBlocks: 5
; NumSGPRsForWavesPerEU: 22
; NumVGPRsForWavesPerEU: 43
; Occupancy: 16
; WaveLimiterHint : 1
; COMPUTE_PGM_RSRC2:SCRATCH_EN: 0
; COMPUTE_PGM_RSRC2:USER_SGPR: 15
; COMPUTE_PGM_RSRC2:TRAP_HANDLER: 0
; COMPUTE_PGM_RSRC2:TGID_X_EN: 1
; COMPUTE_PGM_RSRC2:TGID_Y_EN: 0
; COMPUTE_PGM_RSRC2:TGID_Z_EN: 0
; COMPUTE_PGM_RSRC2:TIDIG_COMP_CNT: 0
	.section	.text._ZN9rocsparseL19gebsrmvn_2xn_kernelILj128ELj10ELj32EfEEvi20rocsparse_direction_NS_24const_host_device_scalarIT2_EEPKiS6_PKS3_S8_S4_PS3_21rocsparse_index_base_b,"axG",@progbits,_ZN9rocsparseL19gebsrmvn_2xn_kernelILj128ELj10ELj32EfEEvi20rocsparse_direction_NS_24const_host_device_scalarIT2_EEPKiS6_PKS3_S8_S4_PS3_21rocsparse_index_base_b,comdat
	.globl	_ZN9rocsparseL19gebsrmvn_2xn_kernelILj128ELj10ELj32EfEEvi20rocsparse_direction_NS_24const_host_device_scalarIT2_EEPKiS6_PKS3_S8_S4_PS3_21rocsparse_index_base_b ; -- Begin function _ZN9rocsparseL19gebsrmvn_2xn_kernelILj128ELj10ELj32EfEEvi20rocsparse_direction_NS_24const_host_device_scalarIT2_EEPKiS6_PKS3_S8_S4_PS3_21rocsparse_index_base_b
	.p2align	8
	.type	_ZN9rocsparseL19gebsrmvn_2xn_kernelILj128ELj10ELj32EfEEvi20rocsparse_direction_NS_24const_host_device_scalarIT2_EEPKiS6_PKS3_S8_S4_PS3_21rocsparse_index_base_b,@function
_ZN9rocsparseL19gebsrmvn_2xn_kernelILj128ELj10ELj32EfEEvi20rocsparse_direction_NS_24const_host_device_scalarIT2_EEPKiS6_PKS3_S8_S4_PS3_21rocsparse_index_base_b: ; @_ZN9rocsparseL19gebsrmvn_2xn_kernelILj128ELj10ELj32EfEEvi20rocsparse_direction_NS_24const_host_device_scalarIT2_EEPKiS6_PKS3_S8_S4_PS3_21rocsparse_index_base_b
; %bb.0:
	s_clause 0x2
	s_load_b64 s[18:19], s[0:1], 0x40
	s_load_b64 s[16:17], s[0:1], 0x8
	s_load_b64 s[12:13], s[0:1], 0x30
	s_waitcnt lgkmcnt(0)
	s_bitcmp1_b32 s19, 0
	s_cselect_b32 s2, -1, 0
	s_delay_alu instid0(SALU_CYCLE_1)
	s_and_b32 vcc_lo, exec_lo, s2
	s_xor_b32 s2, s2, -1
	s_cbranch_vccnz .LBB43_2
; %bb.1:
	s_load_b32 s16, s[16:17], 0x0
.LBB43_2:
	s_and_not1_b32 vcc_lo, exec_lo, s2
	s_cbranch_vccnz .LBB43_4
; %bb.3:
	s_load_b32 s12, s[12:13], 0x0
.LBB43_4:
	s_waitcnt lgkmcnt(0)
	v_cmp_eq_f32_e64 s2, s16, 0
	v_cmp_eq_f32_e64 s3, s12, 1.0
	s_delay_alu instid0(VALU_DEP_1) | instskip(NEXT) | instid1(SALU_CYCLE_1)
	s_and_b32 s2, s2, s3
	s_and_b32 vcc_lo, exec_lo, s2
	s_cbranch_vccnz .LBB43_23
; %bb.5:
	s_load_b64 s[2:3], s[0:1], 0x0
	v_lshrrev_b32_e32 v1, 5, v0
	s_delay_alu instid0(VALU_DEP_1) | instskip(SKIP_1) | instid1(VALU_DEP_1)
	v_lshl_or_b32 v1, s15, 2, v1
	s_waitcnt lgkmcnt(0)
	v_cmp_gt_i32_e32 vcc_lo, s2, v1
	s_and_saveexec_b32 s2, vcc_lo
	s_cbranch_execz .LBB43_23
; %bb.6:
	s_load_b256 s[4:11], s[0:1], 0x10
	v_ashrrev_i32_e32 v2, 31, v1
	v_and_b32_e32 v0, 31, v0
	s_cmp_lg_u32 s3, 0
	s_delay_alu instid0(VALU_DEP_2) | instskip(SKIP_1) | instid1(VALU_DEP_1)
	v_lshlrev_b64 v[2:3], 2, v[1:2]
	s_waitcnt lgkmcnt(0)
	v_add_co_u32 v2, vcc_lo, s4, v2
	s_delay_alu instid0(VALU_DEP_2) | instskip(SKIP_4) | instid1(VALU_DEP_2)
	v_add_co_ci_u32_e32 v3, vcc_lo, s5, v3, vcc_lo
	global_load_b64 v[2:3], v[2:3], off
	s_waitcnt vmcnt(0)
	v_subrev_nc_u32_e32 v2, s18, v2
	v_subrev_nc_u32_e32 v11, s18, v3
	v_add_nc_u32_e32 v2, v2, v0
	s_delay_alu instid0(VALU_DEP_1)
	v_cmp_lt_i32_e64 s2, v2, v11
	s_cbranch_scc0 .LBB43_12
; %bb.7:
	v_dual_mov_b32 v9, 0 :: v_dual_mov_b32 v10, 0
	s_mov_b32 s4, 0
	s_delay_alu instid0(VALU_DEP_2)
	s_and_saveexec_b32 s5, s2
	s_cbranch_execz .LBB43_11
; %bb.8:
	v_mad_u64_u32 v[3:4], null, v2, 20, 18
	v_dual_mov_b32 v6, 0 :: v_dual_mov_b32 v7, v2
	v_dual_mov_b32 v9, 0 :: v_dual_mov_b32 v10, 0
	s_mov_b32 s13, 0
.LBB43_9:                               ; =>This Inner Loop Header: Depth=1
	s_delay_alu instid0(VALU_DEP_2) | instskip(NEXT) | instid1(VALU_DEP_1)
	v_ashrrev_i32_e32 v8, 31, v7
	v_lshlrev_b64 v[4:5], 2, v[7:8]
	v_add_nc_u32_e32 v7, 32, v7
	s_delay_alu instid0(VALU_DEP_2) | instskip(NEXT) | instid1(VALU_DEP_3)
	v_add_co_u32 v4, vcc_lo, s6, v4
	v_add_co_ci_u32_e32 v5, vcc_lo, s7, v5, vcc_lo
	global_load_b32 v8, v[4:5], off
	v_subrev_nc_u32_e32 v5, 18, v3
	v_mov_b32_e32 v4, v6
	s_delay_alu instid0(VALU_DEP_2) | instskip(SKIP_1) | instid1(VALU_DEP_3)
	v_lshlrev_b64 v[12:13], 2, v[5:6]
	v_add_nc_u32_e32 v5, -14, v3
	v_lshlrev_b64 v[18:19], 2, v[3:4]
	s_delay_alu instid0(VALU_DEP_2) | instskip(NEXT) | instid1(VALU_DEP_4)
	v_lshlrev_b64 v[4:5], 2, v[5:6]
	v_add_co_u32 v12, vcc_lo, s8, v12
	v_add_co_ci_u32_e32 v13, vcc_lo, s9, v13, vcc_lo
	s_delay_alu instid0(VALU_DEP_4) | instskip(NEXT) | instid1(VALU_DEP_4)
	v_add_co_u32 v18, vcc_lo, s8, v18
	v_add_co_u32 v4, s3, s8, v4
	s_delay_alu instid0(VALU_DEP_1)
	v_add_co_ci_u32_e64 v5, s3, s9, v5, s3
	s_clause 0x1
	global_load_b128 v[12:15], v[12:13], off
	global_load_b64 v[20:21], v[4:5], off
	v_mov_b32_e32 v17, v6
	v_add_co_ci_u32_e32 v19, vcc_lo, s9, v19, vcc_lo
	v_cmp_ge_i32_e32 vcc_lo, v7, v11
	s_or_b32 s13, vcc_lo, s13
	s_waitcnt vmcnt(2)
	v_subrev_nc_u32_e32 v4, s18, v8
	s_delay_alu instid0(VALU_DEP_1) | instskip(NEXT) | instid1(VALU_DEP_1)
	v_mul_lo_u32 v16, v4, 10
	v_lshlrev_b64 v[22:23], 2, v[16:17]
	s_delay_alu instid0(VALU_DEP_1) | instskip(NEXT) | instid1(VALU_DEP_1)
	v_add_co_u32 v22, s3, s10, v22
	v_add_co_ci_u32_e64 v23, s3, s11, v23, s3
	global_load_b64 v[22:23], v[22:23], off
	v_add_nc_u32_e32 v5, 2, v16
	s_delay_alu instid0(VALU_DEP_1) | instskip(NEXT) | instid1(VALU_DEP_1)
	v_lshlrev_b64 v[24:25], 2, v[5:6]
	v_add_co_u32 v24, s3, s10, v24
	s_delay_alu instid0(VALU_DEP_1) | instskip(SKIP_3) | instid1(VALU_DEP_1)
	v_add_co_ci_u32_e64 v25, s3, s11, v25, s3
	global_load_b64 v[24:25], v[24:25], off
	s_waitcnt vmcnt(1)
	v_fmac_f32_e32 v10, v13, v22
	v_fmac_f32_e32 v10, v15, v23
	s_waitcnt vmcnt(0)
	s_delay_alu instid0(VALU_DEP_1) | instskip(NEXT) | instid1(VALU_DEP_1)
	v_dual_fmac_f32 v10, v21, v24 :: v_dual_add_nc_u32 v5, -12, v3
	v_lshlrev_b64 v[26:27], 2, v[5:6]
	s_delay_alu instid0(VALU_DEP_1) | instskip(NEXT) | instid1(VALU_DEP_1)
	v_add_co_u32 v26, s3, s8, v26
	v_add_co_ci_u32_e64 v27, s3, s9, v27, s3
	global_load_b64 v[26:27], v[26:27], off
	v_add_nc_u32_e32 v5, -10, v3
	s_delay_alu instid0(VALU_DEP_1) | instskip(NEXT) | instid1(VALU_DEP_1)
	v_lshlrev_b64 v[28:29], 2, v[5:6]
	v_add_co_u32 v28, s3, s8, v28
	s_delay_alu instid0(VALU_DEP_1) | instskip(SKIP_3) | instid1(VALU_DEP_1)
	v_add_co_ci_u32_e64 v29, s3, s9, v29, s3
	global_load_b64 v[28:29], v[28:29], off
	s_waitcnt vmcnt(1)
	v_dual_fmac_f32 v10, v27, v25 :: v_dual_add_nc_u32 v5, 4, v16
	v_lshlrev_b64 v[30:31], 2, v[5:6]
	v_add_nc_u32_e32 v5, -8, v3
	s_delay_alu instid0(VALU_DEP_1) | instskip(NEXT) | instid1(VALU_DEP_3)
	v_lshlrev_b64 v[32:33], 2, v[5:6]
	v_add_co_u32 v30, s3, s10, v30
	s_delay_alu instid0(VALU_DEP_1) | instskip(SKIP_1) | instid1(VALU_DEP_4)
	v_add_co_ci_u32_e64 v31, s3, s11, v31, s3
	v_add_nc_u32_e32 v5, -6, v3
	v_add_co_u32 v32, s3, s8, v32
	global_load_b64 v[30:31], v[30:31], off
	v_add_co_ci_u32_e64 v33, s3, s9, v33, s3
	v_lshlrev_b64 v[34:35], 2, v[5:6]
	global_load_b64 v[32:33], v[32:33], off
	v_add_co_u32 v34, s3, s8, v34
	s_delay_alu instid0(VALU_DEP_1) | instskip(SKIP_4) | instid1(VALU_DEP_1)
	v_add_co_ci_u32_e64 v35, s3, s9, v35, s3
	global_load_b64 v[34:35], v[34:35], off
	s_waitcnt vmcnt(2)
	v_dual_fmac_f32 v10, v29, v30 :: v_dual_add_nc_u32 v5, 6, v16
	s_waitcnt vmcnt(1)
	v_fmac_f32_e32 v10, v33, v31
	s_delay_alu instid0(VALU_DEP_2) | instskip(SKIP_1) | instid1(VALU_DEP_1)
	v_lshlrev_b64 v[36:37], 2, v[5:6]
	v_add_nc_u32_e32 v5, -4, v3
	v_lshlrev_b64 v[38:39], 2, v[5:6]
	v_add_nc_u32_e32 v5, -2, v3
	s_delay_alu instid0(VALU_DEP_4) | instskip(NEXT) | instid1(VALU_DEP_1)
	v_add_co_u32 v36, s3, s10, v36
	v_add_co_ci_u32_e64 v37, s3, s11, v37, s3
	s_delay_alu instid0(VALU_DEP_3) | instskip(SKIP_2) | instid1(VALU_DEP_1)
	v_lshlrev_b64 v[40:41], 2, v[5:6]
	v_add_nc_u32_e32 v5, 8, v16
	v_add_co_u32 v16, s3, s8, v38
	v_add_co_ci_u32_e64 v17, s3, s9, v39, s3
	s_delay_alu instid0(VALU_DEP_3) | instskip(SKIP_2) | instid1(VALU_DEP_1)
	v_lshlrev_b64 v[4:5], 2, v[5:6]
	global_load_b64 v[36:37], v[36:37], off
	v_add_co_u32 v38, s3, s8, v40
	v_add_co_ci_u32_e64 v39, s3, s9, v41, s3
	global_load_b64 v[16:17], v[16:17], off
	v_add_co_u32 v4, s3, s10, v4
	s_delay_alu instid0(VALU_DEP_1)
	v_add_co_ci_u32_e64 v5, s3, s11, v5, s3
	global_load_b64 v[38:39], v[38:39], off
	global_load_b64 v[4:5], v[4:5], off
	global_load_b64 v[18:19], v[18:19], off
	s_waitcnt vmcnt(4)
	v_dual_fmac_f32 v10, v35, v36 :: v_dual_add_nc_u32 v3, 0x280, v3
	s_waitcnt vmcnt(3)
	s_delay_alu instid0(VALU_DEP_1) | instskip(SKIP_1) | instid1(VALU_DEP_1)
	v_fmac_f32_e32 v10, v17, v37
	s_waitcnt vmcnt(1)
	v_dual_fmac_f32 v10, v39, v4 :: v_dual_fmac_f32 v9, v12, v22
	s_waitcnt vmcnt(0)
	s_delay_alu instid0(VALU_DEP_1) | instskip(NEXT) | instid1(VALU_DEP_1)
	v_dual_fmac_f32 v10, v19, v5 :: v_dual_fmac_f32 v9, v14, v23
	v_fmac_f32_e32 v9, v20, v24
	s_delay_alu instid0(VALU_DEP_1) | instskip(NEXT) | instid1(VALU_DEP_1)
	v_fmac_f32_e32 v9, v26, v25
	v_fmac_f32_e32 v9, v28, v30
	s_delay_alu instid0(VALU_DEP_1) | instskip(NEXT) | instid1(VALU_DEP_1)
	v_fmac_f32_e32 v9, v32, v31
	;; [unrolled: 3-line block ×3, first 2 shown]
	v_fmac_f32_e32 v9, v38, v4
	s_delay_alu instid0(VALU_DEP_1)
	v_fmac_f32_e32 v9, v18, v5
	s_and_not1_b32 exec_lo, exec_lo, s13
	s_cbranch_execnz .LBB43_9
; %bb.10:
	s_or_b32 exec_lo, exec_lo, s13
.LBB43_11:
	s_delay_alu instid0(SALU_CYCLE_1) | instskip(NEXT) | instid1(SALU_CYCLE_1)
	s_or_b32 exec_lo, exec_lo, s5
	s_and_not1_b32 vcc_lo, exec_lo, s4
	s_cbranch_vccz .LBB43_13
	s_branch .LBB43_18
.LBB43_12:
                                        ; implicit-def: $vgpr9
                                        ; implicit-def: $vgpr10
.LBB43_13:
	v_dual_mov_b32 v9, 0 :: v_dual_mov_b32 v10, 0
	s_delay_alu instid0(VALU_DEP_2)
	s_and_saveexec_b32 s3, s2
	s_cbranch_execz .LBB43_17
; %bb.14:
	v_mad_u64_u32 v[4:5], null, v2, 20, 19
	v_dual_mov_b32 v7, 0 :: v_dual_mov_b32 v10, 0
	v_mov_b32_e32 v9, 0
	s_mov_b32 s2, 0
.LBB43_15:                              ; =>This Inner Loop Header: Depth=1
	v_ashrrev_i32_e32 v3, 31, v2
	s_delay_alu instid0(VALU_DEP_3) | instskip(SKIP_1) | instid1(VALU_DEP_3)
	v_dual_mov_b32 v17, v7 :: v_dual_add_nc_u32 v12, -9, v4
	v_mov_b32_e32 v13, v7
	v_lshlrev_b64 v[5:6], 2, v[2:3]
	v_add_nc_u32_e32 v2, 32, v2
	s_delay_alu instid0(VALU_DEP_2) | instskip(NEXT) | instid1(VALU_DEP_3)
	v_add_co_u32 v5, vcc_lo, s6, v5
	v_add_co_ci_u32_e32 v6, vcc_lo, s7, v6, vcc_lo
	global_load_b32 v3, v[5:6], off
	v_subrev_nc_u32_e32 v6, 19, v4
	s_delay_alu instid0(VALU_DEP_1) | instskip(SKIP_2) | instid1(VALU_DEP_3)
	v_lshlrev_b64 v[14:15], 2, v[6:7]
	v_add_nc_u32_e32 v6, -8, v4
	v_lshlrev_b64 v[12:13], 2, v[12:13]
	v_add_co_u32 v14, vcc_lo, s8, v14
	s_delay_alu instid0(VALU_DEP_4) | instskip(NEXT) | instid1(VALU_DEP_3)
	v_add_co_ci_u32_e32 v15, vcc_lo, s9, v15, vcc_lo
	v_add_co_u32 v20, vcc_lo, s8, v12
	s_delay_alu instid0(VALU_DEP_4) | instskip(SKIP_2) | instid1(VALU_DEP_1)
	v_add_co_ci_u32_e32 v21, vcc_lo, s9, v13, vcc_lo
	s_waitcnt vmcnt(0)
	v_subrev_nc_u32_e32 v3, s18, v3
	v_mul_lo_u32 v16, v3, 10
	v_mov_b32_e32 v5, v7
	s_delay_alu instid0(VALU_DEP_1) | instskip(SKIP_1) | instid1(VALU_DEP_2)
	v_lshlrev_b64 v[18:19], 2, v[4:5]
	v_lshlrev_b64 v[5:6], 2, v[6:7]
	v_add_co_u32 v18, vcc_lo, s8, v18
	s_delay_alu instid0(VALU_DEP_3) | instskip(NEXT) | instid1(VALU_DEP_3)
	v_add_co_ci_u32_e32 v19, vcc_lo, s9, v19, vcc_lo
	v_add_co_u32 v5, vcc_lo, s8, v5
	s_delay_alu instid0(VALU_DEP_4)
	v_add_co_ci_u32_e32 v6, vcc_lo, s9, v6, vcc_lo
	s_clause 0x2
	global_load_b128 v[12:15], v[14:15], off
	global_load_b32 v8, v[20:21], off
	global_load_b32 v34, v[5:6], off
	v_add_nc_u32_e32 v6, 2, v16
	v_lshlrev_b64 v[20:21], 2, v[16:17]
	s_delay_alu instid0(VALU_DEP_2) | instskip(NEXT) | instid1(VALU_DEP_2)
	v_lshlrev_b64 v[22:23], 2, v[6:7]
	v_add_co_u32 v20, vcc_lo, s10, v20
	s_delay_alu instid0(VALU_DEP_3) | instskip(NEXT) | instid1(VALU_DEP_3)
	v_add_co_ci_u32_e32 v21, vcc_lo, s11, v21, vcc_lo
	v_add_co_u32 v22, vcc_lo, s10, v22
	s_delay_alu instid0(VALU_DEP_4)
	v_add_co_ci_u32_e32 v23, vcc_lo, s11, v23, vcc_lo
	s_clause 0x1
	global_load_b64 v[20:21], v[20:21], off
	global_load_b64 v[22:23], v[22:23], off
	s_waitcnt vmcnt(1)
	v_fmac_f32_e32 v10, v8, v20
	s_delay_alu instid0(VALU_DEP_1) | instskip(NEXT) | instid1(VALU_DEP_1)
	v_dual_fmac_f32 v9, v12, v20 :: v_dual_fmac_f32 v10, v34, v21
	v_dual_fmac_f32 v9, v13, v21 :: v_dual_add_nc_u32 v6, -7, v4
	s_delay_alu instid0(VALU_DEP_1) | instskip(SKIP_1) | instid1(VALU_DEP_2)
	v_lshlrev_b64 v[24:25], 2, v[6:7]
	s_waitcnt vmcnt(0)
	v_dual_fmac_f32 v9, v14, v22 :: v_dual_add_nc_u32 v6, -6, v4
	s_delay_alu instid0(VALU_DEP_1) | instskip(NEXT) | instid1(VALU_DEP_2)
	v_lshlrev_b64 v[26:27], 2, v[6:7]
	v_dual_fmac_f32 v9, v15, v23 :: v_dual_add_nc_u32 v6, -15, v4
	s_delay_alu instid0(VALU_DEP_4) | instskip(SKIP_1) | instid1(VALU_DEP_4)
	v_add_co_u32 v24, vcc_lo, s8, v24
	v_add_co_ci_u32_e32 v25, vcc_lo, s9, v25, vcc_lo
	v_add_co_u32 v26, vcc_lo, s8, v26
	s_delay_alu instid0(VALU_DEP_4)
	v_lshlrev_b64 v[28:29], 2, v[6:7]
	v_add_nc_u32_e32 v6, 4, v16
	v_add_co_ci_u32_e32 v27, vcc_lo, s9, v27, vcc_lo
	s_clause 0x1
	global_load_b32 v3, v[24:25], off
	global_load_b32 v35, v[26:27], off
	v_lshlrev_b64 v[24:25], 2, v[6:7]
	v_add_nc_u32_e32 v6, -5, v4
	v_add_co_u32 v26, vcc_lo, s8, v28
	v_add_co_ci_u32_e32 v27, vcc_lo, s9, v29, vcc_lo
	s_delay_alu instid0(VALU_DEP_3) | instskip(SKIP_3) | instid1(VALU_DEP_4)
	v_lshlrev_b64 v[28:29], 2, v[6:7]
	v_add_co_u32 v24, vcc_lo, s10, v24
	v_add_co_ci_u32_e32 v25, vcc_lo, s11, v25, vcc_lo
	v_add_nc_u32_e32 v6, -14, v4
	v_add_co_u32 v28, vcc_lo, s8, v28
	v_add_co_ci_u32_e32 v29, vcc_lo, s9, v29, vcc_lo
	global_load_b32 v36, v[26:27], off
	global_load_b64 v[24:25], v[24:25], off
	global_load_b32 v37, v[28:29], off
	v_lshlrev_b64 v[26:27], 2, v[6:7]
	v_add_nc_u32_e32 v6, -4, v4
	s_delay_alu instid0(VALU_DEP_1) | instskip(SKIP_1) | instid1(VALU_DEP_4)
	v_lshlrev_b64 v[30:31], 2, v[6:7]
	v_add_nc_u32_e32 v6, -13, v4
	v_add_co_u32 v26, vcc_lo, s8, v26
	v_add_co_ci_u32_e32 v27, vcc_lo, s9, v27, vcc_lo
	s_delay_alu instid0(VALU_DEP_3)
	v_lshlrev_b64 v[28:29], 2, v[6:7]
	v_add_nc_u32_e32 v6, 6, v16
	global_load_b32 v38, v[26:27], off
	v_add_co_u32 v26, vcc_lo, s8, v30
	v_add_co_ci_u32_e32 v27, vcc_lo, s9, v31, vcc_lo
	v_add_co_u32 v28, vcc_lo, s8, v28
	v_lshlrev_b64 v[30:31], 2, v[6:7]
	v_add_nc_u32_e32 v6, -3, v4
	v_add_co_ci_u32_e32 v29, vcc_lo, s9, v29, vcc_lo
	s_clause 0x1
	global_load_b32 v39, v[26:27], off
	global_load_b32 v40, v[28:29], off
	v_lshlrev_b64 v[26:27], 2, v[6:7]
	v_add_nc_u32_e32 v6, -12, v4
	v_add_co_u32 v28, vcc_lo, s10, v30
	v_add_co_ci_u32_e32 v29, vcc_lo, s11, v31, vcc_lo
	s_delay_alu instid0(VALU_DEP_3) | instskip(SKIP_3) | instid1(VALU_DEP_3)
	v_lshlrev_b64 v[30:31], 2, v[6:7]
	v_add_nc_u32_e32 v6, -2, v4
	v_add_co_u32 v26, vcc_lo, s8, v26
	v_add_co_ci_u32_e32 v27, vcc_lo, s9, v27, vcc_lo
	v_lshlrev_b64 v[32:33], 2, v[6:7]
	v_add_nc_u32_e32 v6, -11, v4
	global_load_b64 v[28:29], v[28:29], off
	global_load_b32 v41, v[26:27], off
	v_add_co_u32 v26, vcc_lo, s8, v30
	v_add_co_ci_u32_e32 v27, vcc_lo, s9, v31, vcc_lo
	v_lshlrev_b64 v[30:31], 2, v[6:7]
	v_add_nc_u32_e32 v6, 8, v16
	v_add_co_u32 v16, vcc_lo, s8, v32
	v_add_co_ci_u32_e32 v17, vcc_lo, s9, v33, vcc_lo
	global_load_b32 v32, v[26:27], off
	v_lshlrev_b64 v[26:27], 2, v[6:7]
	v_add_nc_u32_e32 v6, -1, v4
	global_load_b32 v33, v[16:17], off
	v_add_co_u32 v16, vcc_lo, s8, v30
	v_add_co_ci_u32_e32 v17, vcc_lo, s9, v31, vcc_lo
	v_add_co_u32 v26, vcc_lo, s10, v26
	v_lshlrev_b64 v[30:31], 2, v[6:7]
	v_add_nc_u32_e32 v6, -10, v4
	v_add_co_ci_u32_e32 v27, vcc_lo, s11, v27, vcc_lo
	global_load_b32 v42, v[16:17], off
	v_add_nc_u32_e32 v4, 0x280, v4
	v_lshlrev_b64 v[5:6], 2, v[6:7]
	global_load_b64 v[16:17], v[26:27], off
	v_add_co_u32 v26, vcc_lo, s8, v30
	v_add_co_ci_u32_e32 v27, vcc_lo, s9, v31, vcc_lo
	v_add_co_u32 v5, vcc_lo, s8, v5
	v_add_co_ci_u32_e32 v6, vcc_lo, s9, v6, vcc_lo
	s_clause 0x2
	global_load_b32 v26, v[26:27], off
	global_load_b32 v5, v[5:6], off
	;; [unrolled: 1-line block ×3, first 2 shown]
	v_cmp_ge_i32_e32 vcc_lo, v2, v11
	s_or_b32 s2, vcc_lo, s2
	s_waitcnt vmcnt(13)
	v_dual_fmac_f32 v10, v3, v22 :: v_dual_fmac_f32 v9, v36, v24
	s_waitcnt vmcnt(11)
	s_delay_alu instid0(VALU_DEP_1) | instskip(SKIP_1) | instid1(VALU_DEP_1)
	v_dual_fmac_f32 v9, v38, v25 :: v_dual_fmac_f32 v10, v35, v23
	s_waitcnt vmcnt(8)
	v_fmac_f32_e32 v9, v40, v28
	s_waitcnt vmcnt(6)
	s_delay_alu instid0(VALU_DEP_1) | instskip(SKIP_1) | instid1(VALU_DEP_1)
	v_dual_fmac_f32 v10, v37, v24 :: v_dual_fmac_f32 v9, v32, v29
	s_waitcnt vmcnt(3)
	v_dual_fmac_f32 v10, v39, v25 :: v_dual_fmac_f32 v9, v42, v16
	s_delay_alu instid0(VALU_DEP_1) | instskip(NEXT) | instid1(VALU_DEP_1)
	v_fmac_f32_e32 v10, v41, v28
	v_fmac_f32_e32 v10, v33, v29
	s_waitcnt vmcnt(1)
	s_delay_alu instid0(VALU_DEP_1) | instskip(SKIP_1) | instid1(VALU_DEP_1)
	v_dual_fmac_f32 v9, v5, v17 :: v_dual_fmac_f32 v10, v26, v16
	s_waitcnt vmcnt(0)
	v_fmac_f32_e32 v10, v6, v17
	s_and_not1_b32 exec_lo, exec_lo, s2
	s_cbranch_execnz .LBB43_15
; %bb.16:
	s_or_b32 exec_lo, exec_lo, s2
.LBB43_17:
	s_delay_alu instid0(SALU_CYCLE_1)
	s_or_b32 exec_lo, exec_lo, s3
.LBB43_18:
	v_mbcnt_lo_u32_b32 v2, -1, 0
	s_mov_b32 s2, -1
	s_delay_alu instid0(VALU_DEP_1) | instskip(SKIP_2) | instid1(VALU_DEP_3)
	v_xor_b32_e32 v3, 16, v2
	v_xor_b32_e32 v5, 8, v2
	;; [unrolled: 1-line block ×3, first 2 shown]
	v_cmp_gt_i32_e32 vcc_lo, 32, v3
	v_cndmask_b32_e32 v3, v2, v3, vcc_lo
	s_delay_alu instid0(VALU_DEP_4) | instskip(NEXT) | instid1(VALU_DEP_2)
	v_cmp_gt_i32_e32 vcc_lo, 32, v5
	v_lshlrev_b32_e32 v3, 2, v3
	v_cndmask_b32_e32 v5, v2, v5, vcc_lo
	v_cmp_gt_i32_e32 vcc_lo, 32, v7
	ds_bpermute_b32 v4, v3, v9
	v_lshlrev_b32_e32 v5, 2, v5
	v_cndmask_b32_e32 v7, v2, v7, vcc_lo
	s_waitcnt lgkmcnt(0)
	s_delay_alu instid0(VALU_DEP_1)
	v_dual_add_f32 v4, v9, v4 :: v_dual_lshlrev_b32 v7, 2, v7
	ds_bpermute_b32 v6, v5, v4
	s_waitcnt lgkmcnt(0)
	v_add_f32_e32 v4, v4, v6
	ds_bpermute_b32 v3, v3, v10
	s_waitcnt lgkmcnt(0)
	v_add_f32_e32 v3, v10, v3
	;; [unrolled: 3-line block ×3, first 2 shown]
	ds_bpermute_b32 v5, v7, v4
	ds_bpermute_b32 v6, v7, v3
	v_xor_b32_e32 v7, 2, v2
	s_delay_alu instid0(VALU_DEP_1) | instskip(SKIP_2) | instid1(VALU_DEP_1)
	v_cmp_gt_i32_e32 vcc_lo, 32, v7
	s_waitcnt lgkmcnt(1)
	v_dual_cndmask_b32 v7, v2, v7 :: v_dual_add_f32 v4, v4, v5
	v_lshlrev_b32_e32 v7, 2, v7
	s_waitcnt lgkmcnt(0)
	v_add_f32_e32 v3, v3, v6
	ds_bpermute_b32 v5, v7, v4
	ds_bpermute_b32 v6, v7, v3
	v_xor_b32_e32 v7, 1, v2
	s_delay_alu instid0(VALU_DEP_1) | instskip(SKIP_3) | instid1(VALU_DEP_2)
	v_cmp_gt_i32_e32 vcc_lo, 32, v7
	v_cndmask_b32_e32 v2, v2, v7, vcc_lo
	v_cmp_eq_u32_e32 vcc_lo, 31, v0
	s_waitcnt lgkmcnt(1)
	v_dual_add_f32 v2, v4, v5 :: v_dual_lshlrev_b32 v7, 2, v2
	s_waitcnt lgkmcnt(0)
	v_add_f32_e32 v3, v3, v6
	ds_bpermute_b32 v4, v7, v2
	ds_bpermute_b32 v5, v7, v3
	s_and_b32 exec_lo, exec_lo, vcc_lo
	s_cbranch_execz .LBB43_23
; %bb.19:
	s_load_b64 s[0:1], s[0:1], 0x38
	s_waitcnt lgkmcnt(0)
	v_dual_add_f32 v0, v2, v4 :: v_dual_add_f32 v3, v3, v5
	v_cmp_eq_f32_e64 s3, s12, 0
	s_delay_alu instid0(VALU_DEP_2) | instskip(SKIP_1) | instid1(VALU_DEP_3)
	v_dual_mul_f32 v2, s16, v0 :: v_dual_mul_f32 v3, s16, v3
	v_lshlrev_b32_e32 v0, 1, v1
	s_and_b32 vcc_lo, exec_lo, s3
	s_cbranch_vccz .LBB43_21
; %bb.20:
	s_delay_alu instid0(VALU_DEP_1) | instskip(SKIP_1) | instid1(VALU_DEP_1)
	v_ashrrev_i32_e32 v1, 31, v0
	s_mov_b32 s2, 0
	v_lshlrev_b64 v[4:5], 2, v[0:1]
	s_delay_alu instid0(VALU_DEP_1) | instskip(NEXT) | instid1(VALU_DEP_2)
	v_add_co_u32 v4, vcc_lo, s0, v4
	v_add_co_ci_u32_e32 v5, vcc_lo, s1, v5, vcc_lo
	global_store_b64 v[4:5], v[2:3], off
.LBB43_21:
	s_and_not1_b32 vcc_lo, exec_lo, s2
	s_cbranch_vccnz .LBB43_23
; %bb.22:
	v_ashrrev_i32_e32 v1, 31, v0
	s_delay_alu instid0(VALU_DEP_1) | instskip(NEXT) | instid1(VALU_DEP_1)
	v_lshlrev_b64 v[0:1], 2, v[0:1]
	v_add_co_u32 v0, vcc_lo, s0, v0
	s_delay_alu instid0(VALU_DEP_2)
	v_add_co_ci_u32_e32 v1, vcc_lo, s1, v1, vcc_lo
	global_load_b64 v[4:5], v[0:1], off
	s_waitcnt vmcnt(0)
	v_dual_fmac_f32 v2, s12, v4 :: v_dual_fmac_f32 v3, s12, v5
	global_store_b64 v[0:1], v[2:3], off
.LBB43_23:
	s_nop 0
	s_sendmsg sendmsg(MSG_DEALLOC_VGPRS)
	s_endpgm
	.section	.rodata,"a",@progbits
	.p2align	6, 0x0
	.amdhsa_kernel _ZN9rocsparseL19gebsrmvn_2xn_kernelILj128ELj10ELj32EfEEvi20rocsparse_direction_NS_24const_host_device_scalarIT2_EEPKiS6_PKS3_S8_S4_PS3_21rocsparse_index_base_b
		.amdhsa_group_segment_fixed_size 0
		.amdhsa_private_segment_fixed_size 0
		.amdhsa_kernarg_size 72
		.amdhsa_user_sgpr_count 15
		.amdhsa_user_sgpr_dispatch_ptr 0
		.amdhsa_user_sgpr_queue_ptr 0
		.amdhsa_user_sgpr_kernarg_segment_ptr 1
		.amdhsa_user_sgpr_dispatch_id 0
		.amdhsa_user_sgpr_private_segment_size 0
		.amdhsa_wavefront_size32 1
		.amdhsa_uses_dynamic_stack 0
		.amdhsa_enable_private_segment 0
		.amdhsa_system_sgpr_workgroup_id_x 1
		.amdhsa_system_sgpr_workgroup_id_y 0
		.amdhsa_system_sgpr_workgroup_id_z 0
		.amdhsa_system_sgpr_workgroup_info 0
		.amdhsa_system_vgpr_workitem_id 0
		.amdhsa_next_free_vgpr 43
		.amdhsa_next_free_sgpr 20
		.amdhsa_reserve_vcc 1
		.amdhsa_float_round_mode_32 0
		.amdhsa_float_round_mode_16_64 0
		.amdhsa_float_denorm_mode_32 3
		.amdhsa_float_denorm_mode_16_64 3
		.amdhsa_dx10_clamp 1
		.amdhsa_ieee_mode 1
		.amdhsa_fp16_overflow 0
		.amdhsa_workgroup_processor_mode 1
		.amdhsa_memory_ordered 1
		.amdhsa_forward_progress 0
		.amdhsa_shared_vgpr_count 0
		.amdhsa_exception_fp_ieee_invalid_op 0
		.amdhsa_exception_fp_denorm_src 0
		.amdhsa_exception_fp_ieee_div_zero 0
		.amdhsa_exception_fp_ieee_overflow 0
		.amdhsa_exception_fp_ieee_underflow 0
		.amdhsa_exception_fp_ieee_inexact 0
		.amdhsa_exception_int_div_zero 0
	.end_amdhsa_kernel
	.section	.text._ZN9rocsparseL19gebsrmvn_2xn_kernelILj128ELj10ELj32EfEEvi20rocsparse_direction_NS_24const_host_device_scalarIT2_EEPKiS6_PKS3_S8_S4_PS3_21rocsparse_index_base_b,"axG",@progbits,_ZN9rocsparseL19gebsrmvn_2xn_kernelILj128ELj10ELj32EfEEvi20rocsparse_direction_NS_24const_host_device_scalarIT2_EEPKiS6_PKS3_S8_S4_PS3_21rocsparse_index_base_b,comdat
.Lfunc_end43:
	.size	_ZN9rocsparseL19gebsrmvn_2xn_kernelILj128ELj10ELj32EfEEvi20rocsparse_direction_NS_24const_host_device_scalarIT2_EEPKiS6_PKS3_S8_S4_PS3_21rocsparse_index_base_b, .Lfunc_end43-_ZN9rocsparseL19gebsrmvn_2xn_kernelILj128ELj10ELj32EfEEvi20rocsparse_direction_NS_24const_host_device_scalarIT2_EEPKiS6_PKS3_S8_S4_PS3_21rocsparse_index_base_b
                                        ; -- End function
	.section	.AMDGPU.csdata,"",@progbits
; Kernel info:
; codeLenInByte = 2644
; NumSgprs: 22
; NumVgprs: 43
; ScratchSize: 0
; MemoryBound: 0
; FloatMode: 240
; IeeeMode: 1
; LDSByteSize: 0 bytes/workgroup (compile time only)
; SGPRBlocks: 2
; VGPRBlocks: 5
; NumSGPRsForWavesPerEU: 22
; NumVGPRsForWavesPerEU: 43
; Occupancy: 16
; WaveLimiterHint : 1
; COMPUTE_PGM_RSRC2:SCRATCH_EN: 0
; COMPUTE_PGM_RSRC2:USER_SGPR: 15
; COMPUTE_PGM_RSRC2:TRAP_HANDLER: 0
; COMPUTE_PGM_RSRC2:TGID_X_EN: 1
; COMPUTE_PGM_RSRC2:TGID_Y_EN: 0
; COMPUTE_PGM_RSRC2:TGID_Z_EN: 0
; COMPUTE_PGM_RSRC2:TIDIG_COMP_CNT: 0
	.section	.text._ZN9rocsparseL19gebsrmvn_2xn_kernelILj128ELj10ELj64EfEEvi20rocsparse_direction_NS_24const_host_device_scalarIT2_EEPKiS6_PKS3_S8_S4_PS3_21rocsparse_index_base_b,"axG",@progbits,_ZN9rocsparseL19gebsrmvn_2xn_kernelILj128ELj10ELj64EfEEvi20rocsparse_direction_NS_24const_host_device_scalarIT2_EEPKiS6_PKS3_S8_S4_PS3_21rocsparse_index_base_b,comdat
	.globl	_ZN9rocsparseL19gebsrmvn_2xn_kernelILj128ELj10ELj64EfEEvi20rocsparse_direction_NS_24const_host_device_scalarIT2_EEPKiS6_PKS3_S8_S4_PS3_21rocsparse_index_base_b ; -- Begin function _ZN9rocsparseL19gebsrmvn_2xn_kernelILj128ELj10ELj64EfEEvi20rocsparse_direction_NS_24const_host_device_scalarIT2_EEPKiS6_PKS3_S8_S4_PS3_21rocsparse_index_base_b
	.p2align	8
	.type	_ZN9rocsparseL19gebsrmvn_2xn_kernelILj128ELj10ELj64EfEEvi20rocsparse_direction_NS_24const_host_device_scalarIT2_EEPKiS6_PKS3_S8_S4_PS3_21rocsparse_index_base_b,@function
_ZN9rocsparseL19gebsrmvn_2xn_kernelILj128ELj10ELj64EfEEvi20rocsparse_direction_NS_24const_host_device_scalarIT2_EEPKiS6_PKS3_S8_S4_PS3_21rocsparse_index_base_b: ; @_ZN9rocsparseL19gebsrmvn_2xn_kernelILj128ELj10ELj64EfEEvi20rocsparse_direction_NS_24const_host_device_scalarIT2_EEPKiS6_PKS3_S8_S4_PS3_21rocsparse_index_base_b
; %bb.0:
	s_clause 0x2
	s_load_b64 s[18:19], s[0:1], 0x40
	s_load_b64 s[16:17], s[0:1], 0x8
	;; [unrolled: 1-line block ×3, first 2 shown]
	s_waitcnt lgkmcnt(0)
	s_bitcmp1_b32 s19, 0
	s_cselect_b32 s2, -1, 0
	s_delay_alu instid0(SALU_CYCLE_1)
	s_and_b32 vcc_lo, exec_lo, s2
	s_xor_b32 s2, s2, -1
	s_cbranch_vccnz .LBB44_2
; %bb.1:
	s_load_b32 s16, s[16:17], 0x0
.LBB44_2:
	s_and_not1_b32 vcc_lo, exec_lo, s2
	s_cbranch_vccnz .LBB44_4
; %bb.3:
	s_load_b32 s12, s[12:13], 0x0
.LBB44_4:
	s_waitcnt lgkmcnt(0)
	v_cmp_eq_f32_e64 s2, s16, 0
	v_cmp_eq_f32_e64 s3, s12, 1.0
	s_delay_alu instid0(VALU_DEP_1) | instskip(NEXT) | instid1(SALU_CYCLE_1)
	s_and_b32 s2, s2, s3
	s_and_b32 vcc_lo, exec_lo, s2
	s_cbranch_vccnz .LBB44_23
; %bb.5:
	s_load_b64 s[2:3], s[0:1], 0x0
	v_lshrrev_b32_e32 v1, 6, v0
	s_delay_alu instid0(VALU_DEP_1) | instskip(SKIP_1) | instid1(VALU_DEP_1)
	v_lshl_or_b32 v1, s15, 1, v1
	s_waitcnt lgkmcnt(0)
	v_cmp_gt_i32_e32 vcc_lo, s2, v1
	s_and_saveexec_b32 s2, vcc_lo
	s_cbranch_execz .LBB44_23
; %bb.6:
	s_load_b256 s[4:11], s[0:1], 0x10
	v_ashrrev_i32_e32 v2, 31, v1
	v_and_b32_e32 v0, 63, v0
	s_cmp_lg_u32 s3, 0
	s_delay_alu instid0(VALU_DEP_2) | instskip(SKIP_1) | instid1(VALU_DEP_1)
	v_lshlrev_b64 v[2:3], 2, v[1:2]
	s_waitcnt lgkmcnt(0)
	v_add_co_u32 v2, vcc_lo, s4, v2
	s_delay_alu instid0(VALU_DEP_2) | instskip(SKIP_4) | instid1(VALU_DEP_2)
	v_add_co_ci_u32_e32 v3, vcc_lo, s5, v3, vcc_lo
	global_load_b64 v[2:3], v[2:3], off
	s_waitcnt vmcnt(0)
	v_subrev_nc_u32_e32 v2, s18, v2
	v_subrev_nc_u32_e32 v11, s18, v3
	v_add_nc_u32_e32 v2, v2, v0
	s_delay_alu instid0(VALU_DEP_1)
	v_cmp_lt_i32_e64 s2, v2, v11
	s_cbranch_scc0 .LBB44_12
; %bb.7:
	v_dual_mov_b32 v9, 0 :: v_dual_mov_b32 v10, 0
	s_mov_b32 s4, 0
	s_delay_alu instid0(VALU_DEP_2)
	s_and_saveexec_b32 s5, s2
	s_cbranch_execz .LBB44_11
; %bb.8:
	v_mad_u64_u32 v[3:4], null, v2, 20, 18
	v_dual_mov_b32 v6, 0 :: v_dual_mov_b32 v7, v2
	v_dual_mov_b32 v9, 0 :: v_dual_mov_b32 v10, 0
	s_mov_b32 s13, 0
.LBB44_9:                               ; =>This Inner Loop Header: Depth=1
	s_delay_alu instid0(VALU_DEP_2) | instskip(NEXT) | instid1(VALU_DEP_1)
	v_ashrrev_i32_e32 v8, 31, v7
	v_lshlrev_b64 v[4:5], 2, v[7:8]
	v_add_nc_u32_e32 v7, 64, v7
	s_delay_alu instid0(VALU_DEP_2) | instskip(NEXT) | instid1(VALU_DEP_3)
	v_add_co_u32 v4, vcc_lo, s6, v4
	v_add_co_ci_u32_e32 v5, vcc_lo, s7, v5, vcc_lo
	global_load_b32 v8, v[4:5], off
	v_subrev_nc_u32_e32 v5, 18, v3
	v_mov_b32_e32 v4, v6
	s_delay_alu instid0(VALU_DEP_2) | instskip(SKIP_1) | instid1(VALU_DEP_3)
	v_lshlrev_b64 v[12:13], 2, v[5:6]
	v_add_nc_u32_e32 v5, -14, v3
	v_lshlrev_b64 v[18:19], 2, v[3:4]
	s_delay_alu instid0(VALU_DEP_2) | instskip(NEXT) | instid1(VALU_DEP_4)
	v_lshlrev_b64 v[4:5], 2, v[5:6]
	v_add_co_u32 v12, vcc_lo, s8, v12
	v_add_co_ci_u32_e32 v13, vcc_lo, s9, v13, vcc_lo
	s_delay_alu instid0(VALU_DEP_4) | instskip(NEXT) | instid1(VALU_DEP_4)
	v_add_co_u32 v18, vcc_lo, s8, v18
	v_add_co_u32 v4, s3, s8, v4
	s_delay_alu instid0(VALU_DEP_1)
	v_add_co_ci_u32_e64 v5, s3, s9, v5, s3
	s_clause 0x1
	global_load_b128 v[12:15], v[12:13], off
	global_load_b64 v[20:21], v[4:5], off
	v_mov_b32_e32 v17, v6
	v_add_co_ci_u32_e32 v19, vcc_lo, s9, v19, vcc_lo
	v_cmp_ge_i32_e32 vcc_lo, v7, v11
	s_or_b32 s13, vcc_lo, s13
	s_waitcnt vmcnt(2)
	v_subrev_nc_u32_e32 v4, s18, v8
	s_delay_alu instid0(VALU_DEP_1) | instskip(NEXT) | instid1(VALU_DEP_1)
	v_mul_lo_u32 v16, v4, 10
	v_lshlrev_b64 v[22:23], 2, v[16:17]
	s_delay_alu instid0(VALU_DEP_1) | instskip(NEXT) | instid1(VALU_DEP_1)
	v_add_co_u32 v22, s3, s10, v22
	v_add_co_ci_u32_e64 v23, s3, s11, v23, s3
	global_load_b64 v[22:23], v[22:23], off
	v_add_nc_u32_e32 v5, 2, v16
	s_delay_alu instid0(VALU_DEP_1) | instskip(NEXT) | instid1(VALU_DEP_1)
	v_lshlrev_b64 v[24:25], 2, v[5:6]
	v_add_co_u32 v24, s3, s10, v24
	s_delay_alu instid0(VALU_DEP_1) | instskip(SKIP_3) | instid1(VALU_DEP_1)
	v_add_co_ci_u32_e64 v25, s3, s11, v25, s3
	global_load_b64 v[24:25], v[24:25], off
	s_waitcnt vmcnt(1)
	v_fmac_f32_e32 v10, v13, v22
	v_fmac_f32_e32 v10, v15, v23
	s_waitcnt vmcnt(0)
	s_delay_alu instid0(VALU_DEP_1) | instskip(NEXT) | instid1(VALU_DEP_1)
	v_dual_fmac_f32 v10, v21, v24 :: v_dual_add_nc_u32 v5, -12, v3
	v_lshlrev_b64 v[26:27], 2, v[5:6]
	s_delay_alu instid0(VALU_DEP_1) | instskip(NEXT) | instid1(VALU_DEP_1)
	v_add_co_u32 v26, s3, s8, v26
	v_add_co_ci_u32_e64 v27, s3, s9, v27, s3
	global_load_b64 v[26:27], v[26:27], off
	v_add_nc_u32_e32 v5, -10, v3
	s_delay_alu instid0(VALU_DEP_1) | instskip(NEXT) | instid1(VALU_DEP_1)
	v_lshlrev_b64 v[28:29], 2, v[5:6]
	v_add_co_u32 v28, s3, s8, v28
	s_delay_alu instid0(VALU_DEP_1) | instskip(SKIP_3) | instid1(VALU_DEP_1)
	v_add_co_ci_u32_e64 v29, s3, s9, v29, s3
	global_load_b64 v[28:29], v[28:29], off
	s_waitcnt vmcnt(1)
	v_dual_fmac_f32 v10, v27, v25 :: v_dual_add_nc_u32 v5, 4, v16
	v_lshlrev_b64 v[30:31], 2, v[5:6]
	v_add_nc_u32_e32 v5, -8, v3
	s_delay_alu instid0(VALU_DEP_1) | instskip(NEXT) | instid1(VALU_DEP_3)
	v_lshlrev_b64 v[32:33], 2, v[5:6]
	v_add_co_u32 v30, s3, s10, v30
	s_delay_alu instid0(VALU_DEP_1) | instskip(SKIP_1) | instid1(VALU_DEP_4)
	v_add_co_ci_u32_e64 v31, s3, s11, v31, s3
	v_add_nc_u32_e32 v5, -6, v3
	v_add_co_u32 v32, s3, s8, v32
	global_load_b64 v[30:31], v[30:31], off
	v_add_co_ci_u32_e64 v33, s3, s9, v33, s3
	v_lshlrev_b64 v[34:35], 2, v[5:6]
	global_load_b64 v[32:33], v[32:33], off
	v_add_co_u32 v34, s3, s8, v34
	s_delay_alu instid0(VALU_DEP_1) | instskip(SKIP_4) | instid1(VALU_DEP_1)
	v_add_co_ci_u32_e64 v35, s3, s9, v35, s3
	global_load_b64 v[34:35], v[34:35], off
	s_waitcnt vmcnt(2)
	v_dual_fmac_f32 v10, v29, v30 :: v_dual_add_nc_u32 v5, 6, v16
	s_waitcnt vmcnt(1)
	v_fmac_f32_e32 v10, v33, v31
	s_delay_alu instid0(VALU_DEP_2) | instskip(SKIP_1) | instid1(VALU_DEP_1)
	v_lshlrev_b64 v[36:37], 2, v[5:6]
	v_add_nc_u32_e32 v5, -4, v3
	v_lshlrev_b64 v[38:39], 2, v[5:6]
	v_add_nc_u32_e32 v5, -2, v3
	s_delay_alu instid0(VALU_DEP_4) | instskip(NEXT) | instid1(VALU_DEP_1)
	v_add_co_u32 v36, s3, s10, v36
	v_add_co_ci_u32_e64 v37, s3, s11, v37, s3
	s_delay_alu instid0(VALU_DEP_3) | instskip(SKIP_2) | instid1(VALU_DEP_1)
	v_lshlrev_b64 v[40:41], 2, v[5:6]
	v_add_nc_u32_e32 v5, 8, v16
	v_add_co_u32 v16, s3, s8, v38
	v_add_co_ci_u32_e64 v17, s3, s9, v39, s3
	s_delay_alu instid0(VALU_DEP_3) | instskip(SKIP_2) | instid1(VALU_DEP_1)
	v_lshlrev_b64 v[4:5], 2, v[5:6]
	global_load_b64 v[36:37], v[36:37], off
	v_add_co_u32 v38, s3, s8, v40
	v_add_co_ci_u32_e64 v39, s3, s9, v41, s3
	global_load_b64 v[16:17], v[16:17], off
	v_add_co_u32 v4, s3, s10, v4
	s_delay_alu instid0(VALU_DEP_1)
	v_add_co_ci_u32_e64 v5, s3, s11, v5, s3
	global_load_b64 v[38:39], v[38:39], off
	global_load_b64 v[4:5], v[4:5], off
	;; [unrolled: 1-line block ×3, first 2 shown]
	s_waitcnt vmcnt(4)
	v_dual_fmac_f32 v10, v35, v36 :: v_dual_add_nc_u32 v3, 0x500, v3
	s_waitcnt vmcnt(3)
	s_delay_alu instid0(VALU_DEP_1) | instskip(SKIP_1) | instid1(VALU_DEP_1)
	v_fmac_f32_e32 v10, v17, v37
	s_waitcnt vmcnt(1)
	v_dual_fmac_f32 v10, v39, v4 :: v_dual_fmac_f32 v9, v12, v22
	s_waitcnt vmcnt(0)
	s_delay_alu instid0(VALU_DEP_1) | instskip(NEXT) | instid1(VALU_DEP_1)
	v_dual_fmac_f32 v10, v19, v5 :: v_dual_fmac_f32 v9, v14, v23
	v_fmac_f32_e32 v9, v20, v24
	s_delay_alu instid0(VALU_DEP_1) | instskip(NEXT) | instid1(VALU_DEP_1)
	v_fmac_f32_e32 v9, v26, v25
	v_fmac_f32_e32 v9, v28, v30
	s_delay_alu instid0(VALU_DEP_1) | instskip(NEXT) | instid1(VALU_DEP_1)
	v_fmac_f32_e32 v9, v32, v31
	;; [unrolled: 3-line block ×3, first 2 shown]
	v_fmac_f32_e32 v9, v38, v4
	s_delay_alu instid0(VALU_DEP_1)
	v_fmac_f32_e32 v9, v18, v5
	s_and_not1_b32 exec_lo, exec_lo, s13
	s_cbranch_execnz .LBB44_9
; %bb.10:
	s_or_b32 exec_lo, exec_lo, s13
.LBB44_11:
	s_delay_alu instid0(SALU_CYCLE_1) | instskip(NEXT) | instid1(SALU_CYCLE_1)
	s_or_b32 exec_lo, exec_lo, s5
	s_and_not1_b32 vcc_lo, exec_lo, s4
	s_cbranch_vccz .LBB44_13
	s_branch .LBB44_18
.LBB44_12:
                                        ; implicit-def: $vgpr9
                                        ; implicit-def: $vgpr10
.LBB44_13:
	v_dual_mov_b32 v9, 0 :: v_dual_mov_b32 v10, 0
	s_delay_alu instid0(VALU_DEP_2)
	s_and_saveexec_b32 s3, s2
	s_cbranch_execz .LBB44_17
; %bb.14:
	v_mad_u64_u32 v[4:5], null, v2, 20, 19
	v_dual_mov_b32 v7, 0 :: v_dual_mov_b32 v10, 0
	v_mov_b32_e32 v9, 0
	s_mov_b32 s2, 0
.LBB44_15:                              ; =>This Inner Loop Header: Depth=1
	v_ashrrev_i32_e32 v3, 31, v2
	s_delay_alu instid0(VALU_DEP_3) | instskip(SKIP_1) | instid1(VALU_DEP_3)
	v_dual_mov_b32 v17, v7 :: v_dual_add_nc_u32 v12, -9, v4
	v_mov_b32_e32 v13, v7
	v_lshlrev_b64 v[5:6], 2, v[2:3]
	v_add_nc_u32_e32 v2, 64, v2
	s_delay_alu instid0(VALU_DEP_2) | instskip(NEXT) | instid1(VALU_DEP_3)
	v_add_co_u32 v5, vcc_lo, s6, v5
	v_add_co_ci_u32_e32 v6, vcc_lo, s7, v6, vcc_lo
	global_load_b32 v3, v[5:6], off
	v_subrev_nc_u32_e32 v6, 19, v4
	s_delay_alu instid0(VALU_DEP_1) | instskip(SKIP_2) | instid1(VALU_DEP_3)
	v_lshlrev_b64 v[14:15], 2, v[6:7]
	v_add_nc_u32_e32 v6, -8, v4
	v_lshlrev_b64 v[12:13], 2, v[12:13]
	v_add_co_u32 v14, vcc_lo, s8, v14
	s_delay_alu instid0(VALU_DEP_4) | instskip(NEXT) | instid1(VALU_DEP_3)
	v_add_co_ci_u32_e32 v15, vcc_lo, s9, v15, vcc_lo
	v_add_co_u32 v20, vcc_lo, s8, v12
	s_delay_alu instid0(VALU_DEP_4) | instskip(SKIP_2) | instid1(VALU_DEP_1)
	v_add_co_ci_u32_e32 v21, vcc_lo, s9, v13, vcc_lo
	s_waitcnt vmcnt(0)
	v_subrev_nc_u32_e32 v3, s18, v3
	v_mul_lo_u32 v16, v3, 10
	v_mov_b32_e32 v5, v7
	s_delay_alu instid0(VALU_DEP_1) | instskip(SKIP_1) | instid1(VALU_DEP_2)
	v_lshlrev_b64 v[18:19], 2, v[4:5]
	v_lshlrev_b64 v[5:6], 2, v[6:7]
	v_add_co_u32 v18, vcc_lo, s8, v18
	s_delay_alu instid0(VALU_DEP_3) | instskip(NEXT) | instid1(VALU_DEP_3)
	v_add_co_ci_u32_e32 v19, vcc_lo, s9, v19, vcc_lo
	v_add_co_u32 v5, vcc_lo, s8, v5
	s_delay_alu instid0(VALU_DEP_4)
	v_add_co_ci_u32_e32 v6, vcc_lo, s9, v6, vcc_lo
	s_clause 0x2
	global_load_b128 v[12:15], v[14:15], off
	global_load_b32 v8, v[20:21], off
	global_load_b32 v34, v[5:6], off
	v_add_nc_u32_e32 v6, 2, v16
	v_lshlrev_b64 v[20:21], 2, v[16:17]
	s_delay_alu instid0(VALU_DEP_2) | instskip(NEXT) | instid1(VALU_DEP_2)
	v_lshlrev_b64 v[22:23], 2, v[6:7]
	v_add_co_u32 v20, vcc_lo, s10, v20
	s_delay_alu instid0(VALU_DEP_3) | instskip(NEXT) | instid1(VALU_DEP_3)
	v_add_co_ci_u32_e32 v21, vcc_lo, s11, v21, vcc_lo
	v_add_co_u32 v22, vcc_lo, s10, v22
	s_delay_alu instid0(VALU_DEP_4)
	v_add_co_ci_u32_e32 v23, vcc_lo, s11, v23, vcc_lo
	s_clause 0x1
	global_load_b64 v[20:21], v[20:21], off
	global_load_b64 v[22:23], v[22:23], off
	s_waitcnt vmcnt(1)
	v_fmac_f32_e32 v10, v8, v20
	s_delay_alu instid0(VALU_DEP_1) | instskip(NEXT) | instid1(VALU_DEP_1)
	v_dual_fmac_f32 v9, v12, v20 :: v_dual_fmac_f32 v10, v34, v21
	v_dual_fmac_f32 v9, v13, v21 :: v_dual_add_nc_u32 v6, -7, v4
	s_delay_alu instid0(VALU_DEP_1) | instskip(SKIP_1) | instid1(VALU_DEP_2)
	v_lshlrev_b64 v[24:25], 2, v[6:7]
	s_waitcnt vmcnt(0)
	v_dual_fmac_f32 v9, v14, v22 :: v_dual_add_nc_u32 v6, -6, v4
	s_delay_alu instid0(VALU_DEP_1) | instskip(NEXT) | instid1(VALU_DEP_2)
	v_lshlrev_b64 v[26:27], 2, v[6:7]
	v_dual_fmac_f32 v9, v15, v23 :: v_dual_add_nc_u32 v6, -15, v4
	s_delay_alu instid0(VALU_DEP_4) | instskip(SKIP_1) | instid1(VALU_DEP_4)
	v_add_co_u32 v24, vcc_lo, s8, v24
	v_add_co_ci_u32_e32 v25, vcc_lo, s9, v25, vcc_lo
	v_add_co_u32 v26, vcc_lo, s8, v26
	s_delay_alu instid0(VALU_DEP_4)
	v_lshlrev_b64 v[28:29], 2, v[6:7]
	v_add_nc_u32_e32 v6, 4, v16
	v_add_co_ci_u32_e32 v27, vcc_lo, s9, v27, vcc_lo
	s_clause 0x1
	global_load_b32 v3, v[24:25], off
	global_load_b32 v35, v[26:27], off
	v_lshlrev_b64 v[24:25], 2, v[6:7]
	v_add_nc_u32_e32 v6, -5, v4
	v_add_co_u32 v26, vcc_lo, s8, v28
	v_add_co_ci_u32_e32 v27, vcc_lo, s9, v29, vcc_lo
	s_delay_alu instid0(VALU_DEP_3) | instskip(SKIP_3) | instid1(VALU_DEP_4)
	v_lshlrev_b64 v[28:29], 2, v[6:7]
	v_add_co_u32 v24, vcc_lo, s10, v24
	v_add_co_ci_u32_e32 v25, vcc_lo, s11, v25, vcc_lo
	v_add_nc_u32_e32 v6, -14, v4
	v_add_co_u32 v28, vcc_lo, s8, v28
	v_add_co_ci_u32_e32 v29, vcc_lo, s9, v29, vcc_lo
	global_load_b32 v36, v[26:27], off
	global_load_b64 v[24:25], v[24:25], off
	global_load_b32 v37, v[28:29], off
	v_lshlrev_b64 v[26:27], 2, v[6:7]
	v_add_nc_u32_e32 v6, -4, v4
	s_delay_alu instid0(VALU_DEP_1) | instskip(SKIP_1) | instid1(VALU_DEP_4)
	v_lshlrev_b64 v[30:31], 2, v[6:7]
	v_add_nc_u32_e32 v6, -13, v4
	v_add_co_u32 v26, vcc_lo, s8, v26
	v_add_co_ci_u32_e32 v27, vcc_lo, s9, v27, vcc_lo
	s_delay_alu instid0(VALU_DEP_3)
	v_lshlrev_b64 v[28:29], 2, v[6:7]
	v_add_nc_u32_e32 v6, 6, v16
	global_load_b32 v38, v[26:27], off
	v_add_co_u32 v26, vcc_lo, s8, v30
	v_add_co_ci_u32_e32 v27, vcc_lo, s9, v31, vcc_lo
	v_add_co_u32 v28, vcc_lo, s8, v28
	v_lshlrev_b64 v[30:31], 2, v[6:7]
	v_add_nc_u32_e32 v6, -3, v4
	v_add_co_ci_u32_e32 v29, vcc_lo, s9, v29, vcc_lo
	s_clause 0x1
	global_load_b32 v39, v[26:27], off
	global_load_b32 v40, v[28:29], off
	v_lshlrev_b64 v[26:27], 2, v[6:7]
	v_add_nc_u32_e32 v6, -12, v4
	v_add_co_u32 v28, vcc_lo, s10, v30
	v_add_co_ci_u32_e32 v29, vcc_lo, s11, v31, vcc_lo
	s_delay_alu instid0(VALU_DEP_3) | instskip(SKIP_3) | instid1(VALU_DEP_3)
	v_lshlrev_b64 v[30:31], 2, v[6:7]
	v_add_nc_u32_e32 v6, -2, v4
	v_add_co_u32 v26, vcc_lo, s8, v26
	v_add_co_ci_u32_e32 v27, vcc_lo, s9, v27, vcc_lo
	v_lshlrev_b64 v[32:33], 2, v[6:7]
	v_add_nc_u32_e32 v6, -11, v4
	global_load_b64 v[28:29], v[28:29], off
	global_load_b32 v41, v[26:27], off
	v_add_co_u32 v26, vcc_lo, s8, v30
	v_add_co_ci_u32_e32 v27, vcc_lo, s9, v31, vcc_lo
	v_lshlrev_b64 v[30:31], 2, v[6:7]
	v_add_nc_u32_e32 v6, 8, v16
	v_add_co_u32 v16, vcc_lo, s8, v32
	v_add_co_ci_u32_e32 v17, vcc_lo, s9, v33, vcc_lo
	global_load_b32 v32, v[26:27], off
	v_lshlrev_b64 v[26:27], 2, v[6:7]
	v_add_nc_u32_e32 v6, -1, v4
	global_load_b32 v33, v[16:17], off
	v_add_co_u32 v16, vcc_lo, s8, v30
	v_add_co_ci_u32_e32 v17, vcc_lo, s9, v31, vcc_lo
	v_add_co_u32 v26, vcc_lo, s10, v26
	v_lshlrev_b64 v[30:31], 2, v[6:7]
	v_add_nc_u32_e32 v6, -10, v4
	v_add_co_ci_u32_e32 v27, vcc_lo, s11, v27, vcc_lo
	global_load_b32 v42, v[16:17], off
	v_add_nc_u32_e32 v4, 0x500, v4
	v_lshlrev_b64 v[5:6], 2, v[6:7]
	global_load_b64 v[16:17], v[26:27], off
	v_add_co_u32 v26, vcc_lo, s8, v30
	v_add_co_ci_u32_e32 v27, vcc_lo, s9, v31, vcc_lo
	v_add_co_u32 v5, vcc_lo, s8, v5
	v_add_co_ci_u32_e32 v6, vcc_lo, s9, v6, vcc_lo
	s_clause 0x2
	global_load_b32 v26, v[26:27], off
	global_load_b32 v5, v[5:6], off
	;; [unrolled: 1-line block ×3, first 2 shown]
	v_cmp_ge_i32_e32 vcc_lo, v2, v11
	s_or_b32 s2, vcc_lo, s2
	s_waitcnt vmcnt(13)
	v_dual_fmac_f32 v10, v3, v22 :: v_dual_fmac_f32 v9, v36, v24
	s_waitcnt vmcnt(11)
	s_delay_alu instid0(VALU_DEP_1) | instskip(SKIP_1) | instid1(VALU_DEP_1)
	v_dual_fmac_f32 v9, v38, v25 :: v_dual_fmac_f32 v10, v35, v23
	s_waitcnt vmcnt(8)
	v_fmac_f32_e32 v9, v40, v28
	s_waitcnt vmcnt(6)
	s_delay_alu instid0(VALU_DEP_1) | instskip(SKIP_1) | instid1(VALU_DEP_1)
	v_dual_fmac_f32 v10, v37, v24 :: v_dual_fmac_f32 v9, v32, v29
	s_waitcnt vmcnt(3)
	v_dual_fmac_f32 v10, v39, v25 :: v_dual_fmac_f32 v9, v42, v16
	s_delay_alu instid0(VALU_DEP_1) | instskip(NEXT) | instid1(VALU_DEP_1)
	v_fmac_f32_e32 v10, v41, v28
	v_fmac_f32_e32 v10, v33, v29
	s_waitcnt vmcnt(1)
	s_delay_alu instid0(VALU_DEP_1) | instskip(SKIP_1) | instid1(VALU_DEP_1)
	v_dual_fmac_f32 v9, v5, v17 :: v_dual_fmac_f32 v10, v26, v16
	s_waitcnt vmcnt(0)
	v_fmac_f32_e32 v10, v6, v17
	s_and_not1_b32 exec_lo, exec_lo, s2
	s_cbranch_execnz .LBB44_15
; %bb.16:
	s_or_b32 exec_lo, exec_lo, s2
.LBB44_17:
	s_delay_alu instid0(SALU_CYCLE_1)
	s_or_b32 exec_lo, exec_lo, s3
.LBB44_18:
	v_mbcnt_lo_u32_b32 v2, -1, 0
	s_mov_b32 s2, -1
	s_delay_alu instid0(VALU_DEP_1) | instskip(SKIP_2) | instid1(VALU_DEP_3)
	v_or_b32_e32 v3, 32, v2
	v_xor_b32_e32 v5, 16, v2
	v_xor_b32_e32 v7, 8, v2
	v_cmp_gt_i32_e32 vcc_lo, 32, v3
	v_cndmask_b32_e32 v3, v2, v3, vcc_lo
	s_delay_alu instid0(VALU_DEP_4) | instskip(NEXT) | instid1(VALU_DEP_2)
	v_cmp_gt_i32_e32 vcc_lo, 32, v5
	v_lshlrev_b32_e32 v3, 2, v3
	v_cndmask_b32_e32 v5, v2, v5, vcc_lo
	v_cmp_gt_i32_e32 vcc_lo, 32, v7
	ds_bpermute_b32 v4, v3, v9
	v_lshlrev_b32_e32 v5, 2, v5
	v_cndmask_b32_e32 v7, v2, v7, vcc_lo
	s_waitcnt lgkmcnt(0)
	s_delay_alu instid0(VALU_DEP_1)
	v_dual_add_f32 v4, v9, v4 :: v_dual_lshlrev_b32 v7, 2, v7
	ds_bpermute_b32 v6, v5, v4
	s_waitcnt lgkmcnt(0)
	v_add_f32_e32 v4, v4, v6
	ds_bpermute_b32 v3, v3, v10
	s_waitcnt lgkmcnt(0)
	v_add_f32_e32 v3, v10, v3
	;; [unrolled: 3-line block ×3, first 2 shown]
	ds_bpermute_b32 v5, v7, v4
	ds_bpermute_b32 v6, v7, v3
	v_xor_b32_e32 v7, 4, v2
	s_delay_alu instid0(VALU_DEP_1) | instskip(SKIP_2) | instid1(VALU_DEP_1)
	v_cmp_gt_i32_e32 vcc_lo, 32, v7
	s_waitcnt lgkmcnt(1)
	v_dual_cndmask_b32 v7, v2, v7 :: v_dual_add_f32 v4, v4, v5
	v_lshlrev_b32_e32 v7, 2, v7
	s_waitcnt lgkmcnt(0)
	v_add_f32_e32 v3, v3, v6
	ds_bpermute_b32 v5, v7, v4
	ds_bpermute_b32 v6, v7, v3
	v_xor_b32_e32 v7, 2, v2
	s_delay_alu instid0(VALU_DEP_1) | instskip(SKIP_2) | instid1(VALU_DEP_1)
	v_cmp_gt_i32_e32 vcc_lo, 32, v7
	v_cndmask_b32_e32 v7, v2, v7, vcc_lo
	s_waitcnt lgkmcnt(1)
	v_dual_add_f32 v4, v4, v5 :: v_dual_lshlrev_b32 v7, 2, v7
	s_waitcnt lgkmcnt(0)
	v_add_f32_e32 v3, v3, v6
	ds_bpermute_b32 v5, v7, v4
	ds_bpermute_b32 v6, v7, v3
	v_xor_b32_e32 v7, 1, v2
	s_delay_alu instid0(VALU_DEP_1) | instskip(SKIP_3) | instid1(VALU_DEP_2)
	v_cmp_gt_i32_e32 vcc_lo, 32, v7
	v_cndmask_b32_e32 v2, v2, v7, vcc_lo
	v_cmp_eq_u32_e32 vcc_lo, 63, v0
	s_waitcnt lgkmcnt(1)
	v_dual_add_f32 v2, v4, v5 :: v_dual_lshlrev_b32 v7, 2, v2
	s_waitcnt lgkmcnt(0)
	v_add_f32_e32 v3, v3, v6
	ds_bpermute_b32 v4, v7, v2
	ds_bpermute_b32 v5, v7, v3
	s_and_b32 exec_lo, exec_lo, vcc_lo
	s_cbranch_execz .LBB44_23
; %bb.19:
	s_load_b64 s[0:1], s[0:1], 0x38
	s_waitcnt lgkmcnt(0)
	v_dual_add_f32 v0, v2, v4 :: v_dual_add_f32 v3, v3, v5
	v_cmp_eq_f32_e64 s3, s12, 0
	s_delay_alu instid0(VALU_DEP_2) | instskip(SKIP_1) | instid1(VALU_DEP_3)
	v_dual_mul_f32 v2, s16, v0 :: v_dual_mul_f32 v3, s16, v3
	v_lshlrev_b32_e32 v0, 1, v1
	s_and_b32 vcc_lo, exec_lo, s3
	s_cbranch_vccz .LBB44_21
; %bb.20:
	s_delay_alu instid0(VALU_DEP_1) | instskip(SKIP_1) | instid1(VALU_DEP_1)
	v_ashrrev_i32_e32 v1, 31, v0
	s_mov_b32 s2, 0
	v_lshlrev_b64 v[4:5], 2, v[0:1]
	s_delay_alu instid0(VALU_DEP_1) | instskip(NEXT) | instid1(VALU_DEP_2)
	v_add_co_u32 v4, vcc_lo, s0, v4
	v_add_co_ci_u32_e32 v5, vcc_lo, s1, v5, vcc_lo
	global_store_b64 v[4:5], v[2:3], off
.LBB44_21:
	s_and_not1_b32 vcc_lo, exec_lo, s2
	s_cbranch_vccnz .LBB44_23
; %bb.22:
	v_ashrrev_i32_e32 v1, 31, v0
	s_delay_alu instid0(VALU_DEP_1) | instskip(NEXT) | instid1(VALU_DEP_1)
	v_lshlrev_b64 v[0:1], 2, v[0:1]
	v_add_co_u32 v0, vcc_lo, s0, v0
	s_delay_alu instid0(VALU_DEP_2)
	v_add_co_ci_u32_e32 v1, vcc_lo, s1, v1, vcc_lo
	global_load_b64 v[4:5], v[0:1], off
	s_waitcnt vmcnt(0)
	v_dual_fmac_f32 v2, s12, v4 :: v_dual_fmac_f32 v3, s12, v5
	global_store_b64 v[0:1], v[2:3], off
.LBB44_23:
	s_nop 0
	s_sendmsg sendmsg(MSG_DEALLOC_VGPRS)
	s_endpgm
	.section	.rodata,"a",@progbits
	.p2align	6, 0x0
	.amdhsa_kernel _ZN9rocsparseL19gebsrmvn_2xn_kernelILj128ELj10ELj64EfEEvi20rocsparse_direction_NS_24const_host_device_scalarIT2_EEPKiS6_PKS3_S8_S4_PS3_21rocsparse_index_base_b
		.amdhsa_group_segment_fixed_size 0
		.amdhsa_private_segment_fixed_size 0
		.amdhsa_kernarg_size 72
		.amdhsa_user_sgpr_count 15
		.amdhsa_user_sgpr_dispatch_ptr 0
		.amdhsa_user_sgpr_queue_ptr 0
		.amdhsa_user_sgpr_kernarg_segment_ptr 1
		.amdhsa_user_sgpr_dispatch_id 0
		.amdhsa_user_sgpr_private_segment_size 0
		.amdhsa_wavefront_size32 1
		.amdhsa_uses_dynamic_stack 0
		.amdhsa_enable_private_segment 0
		.amdhsa_system_sgpr_workgroup_id_x 1
		.amdhsa_system_sgpr_workgroup_id_y 0
		.amdhsa_system_sgpr_workgroup_id_z 0
		.amdhsa_system_sgpr_workgroup_info 0
		.amdhsa_system_vgpr_workitem_id 0
		.amdhsa_next_free_vgpr 43
		.amdhsa_next_free_sgpr 20
		.amdhsa_reserve_vcc 1
		.amdhsa_float_round_mode_32 0
		.amdhsa_float_round_mode_16_64 0
		.amdhsa_float_denorm_mode_32 3
		.amdhsa_float_denorm_mode_16_64 3
		.amdhsa_dx10_clamp 1
		.amdhsa_ieee_mode 1
		.amdhsa_fp16_overflow 0
		.amdhsa_workgroup_processor_mode 1
		.amdhsa_memory_ordered 1
		.amdhsa_forward_progress 0
		.amdhsa_shared_vgpr_count 0
		.amdhsa_exception_fp_ieee_invalid_op 0
		.amdhsa_exception_fp_denorm_src 0
		.amdhsa_exception_fp_ieee_div_zero 0
		.amdhsa_exception_fp_ieee_overflow 0
		.amdhsa_exception_fp_ieee_underflow 0
		.amdhsa_exception_fp_ieee_inexact 0
		.amdhsa_exception_int_div_zero 0
	.end_amdhsa_kernel
	.section	.text._ZN9rocsparseL19gebsrmvn_2xn_kernelILj128ELj10ELj64EfEEvi20rocsparse_direction_NS_24const_host_device_scalarIT2_EEPKiS6_PKS3_S8_S4_PS3_21rocsparse_index_base_b,"axG",@progbits,_ZN9rocsparseL19gebsrmvn_2xn_kernelILj128ELj10ELj64EfEEvi20rocsparse_direction_NS_24const_host_device_scalarIT2_EEPKiS6_PKS3_S8_S4_PS3_21rocsparse_index_base_b,comdat
.Lfunc_end44:
	.size	_ZN9rocsparseL19gebsrmvn_2xn_kernelILj128ELj10ELj64EfEEvi20rocsparse_direction_NS_24const_host_device_scalarIT2_EEPKiS6_PKS3_S8_S4_PS3_21rocsparse_index_base_b, .Lfunc_end44-_ZN9rocsparseL19gebsrmvn_2xn_kernelILj128ELj10ELj64EfEEvi20rocsparse_direction_NS_24const_host_device_scalarIT2_EEPKiS6_PKS3_S8_S4_PS3_21rocsparse_index_base_b
                                        ; -- End function
	.section	.AMDGPU.csdata,"",@progbits
; Kernel info:
; codeLenInByte = 2696
; NumSgprs: 22
; NumVgprs: 43
; ScratchSize: 0
; MemoryBound: 0
; FloatMode: 240
; IeeeMode: 1
; LDSByteSize: 0 bytes/workgroup (compile time only)
; SGPRBlocks: 2
; VGPRBlocks: 5
; NumSGPRsForWavesPerEU: 22
; NumVGPRsForWavesPerEU: 43
; Occupancy: 16
; WaveLimiterHint : 1
; COMPUTE_PGM_RSRC2:SCRATCH_EN: 0
; COMPUTE_PGM_RSRC2:USER_SGPR: 15
; COMPUTE_PGM_RSRC2:TRAP_HANDLER: 0
; COMPUTE_PGM_RSRC2:TGID_X_EN: 1
; COMPUTE_PGM_RSRC2:TGID_Y_EN: 0
; COMPUTE_PGM_RSRC2:TGID_Z_EN: 0
; COMPUTE_PGM_RSRC2:TIDIG_COMP_CNT: 0
	.section	.text._ZN9rocsparseL19gebsrmvn_2xn_kernelILj128ELj11ELj4EfEEvi20rocsparse_direction_NS_24const_host_device_scalarIT2_EEPKiS6_PKS3_S8_S4_PS3_21rocsparse_index_base_b,"axG",@progbits,_ZN9rocsparseL19gebsrmvn_2xn_kernelILj128ELj11ELj4EfEEvi20rocsparse_direction_NS_24const_host_device_scalarIT2_EEPKiS6_PKS3_S8_S4_PS3_21rocsparse_index_base_b,comdat
	.globl	_ZN9rocsparseL19gebsrmvn_2xn_kernelILj128ELj11ELj4EfEEvi20rocsparse_direction_NS_24const_host_device_scalarIT2_EEPKiS6_PKS3_S8_S4_PS3_21rocsparse_index_base_b ; -- Begin function _ZN9rocsparseL19gebsrmvn_2xn_kernelILj128ELj11ELj4EfEEvi20rocsparse_direction_NS_24const_host_device_scalarIT2_EEPKiS6_PKS3_S8_S4_PS3_21rocsparse_index_base_b
	.p2align	8
	.type	_ZN9rocsparseL19gebsrmvn_2xn_kernelILj128ELj11ELj4EfEEvi20rocsparse_direction_NS_24const_host_device_scalarIT2_EEPKiS6_PKS3_S8_S4_PS3_21rocsparse_index_base_b,@function
_ZN9rocsparseL19gebsrmvn_2xn_kernelILj128ELj11ELj4EfEEvi20rocsparse_direction_NS_24const_host_device_scalarIT2_EEPKiS6_PKS3_S8_S4_PS3_21rocsparse_index_base_b: ; @_ZN9rocsparseL19gebsrmvn_2xn_kernelILj128ELj11ELj4EfEEvi20rocsparse_direction_NS_24const_host_device_scalarIT2_EEPKiS6_PKS3_S8_S4_PS3_21rocsparse_index_base_b
; %bb.0:
	s_clause 0x2
	s_load_b64 s[18:19], s[0:1], 0x40
	s_load_b64 s[16:17], s[0:1], 0x8
	;; [unrolled: 1-line block ×3, first 2 shown]
	s_waitcnt lgkmcnt(0)
	s_bitcmp1_b32 s19, 0
	s_cselect_b32 s2, -1, 0
	s_delay_alu instid0(SALU_CYCLE_1)
	s_and_b32 vcc_lo, exec_lo, s2
	s_xor_b32 s2, s2, -1
	s_cbranch_vccnz .LBB45_2
; %bb.1:
	s_load_b32 s16, s[16:17], 0x0
.LBB45_2:
	s_and_not1_b32 vcc_lo, exec_lo, s2
	s_cbranch_vccnz .LBB45_4
; %bb.3:
	s_load_b32 s12, s[12:13], 0x0
.LBB45_4:
	s_waitcnt lgkmcnt(0)
	v_cmp_eq_f32_e64 s2, s16, 0
	v_cmp_eq_f32_e64 s3, s12, 1.0
	s_delay_alu instid0(VALU_DEP_1) | instskip(NEXT) | instid1(SALU_CYCLE_1)
	s_and_b32 s2, s2, s3
	s_and_b32 vcc_lo, exec_lo, s2
	s_cbranch_vccnz .LBB45_23
; %bb.5:
	s_load_b64 s[2:3], s[0:1], 0x0
	v_lshrrev_b32_e32 v1, 2, v0
	s_delay_alu instid0(VALU_DEP_1) | instskip(SKIP_1) | instid1(VALU_DEP_1)
	v_lshl_or_b32 v1, s15, 5, v1
	s_waitcnt lgkmcnt(0)
	v_cmp_gt_i32_e32 vcc_lo, s2, v1
	s_and_saveexec_b32 s2, vcc_lo
	s_cbranch_execz .LBB45_23
; %bb.6:
	s_load_b256 s[4:11], s[0:1], 0x10
	v_ashrrev_i32_e32 v2, 31, v1
	v_and_b32_e32 v0, 3, v0
	s_cmp_lg_u32 s3, 0
	s_delay_alu instid0(VALU_DEP_2) | instskip(SKIP_1) | instid1(VALU_DEP_1)
	v_lshlrev_b64 v[2:3], 2, v[1:2]
	s_waitcnt lgkmcnt(0)
	v_add_co_u32 v2, vcc_lo, s4, v2
	s_delay_alu instid0(VALU_DEP_2) | instskip(SKIP_4) | instid1(VALU_DEP_2)
	v_add_co_ci_u32_e32 v3, vcc_lo, s5, v3, vcc_lo
	global_load_b64 v[2:3], v[2:3], off
	s_waitcnt vmcnt(0)
	v_subrev_nc_u32_e32 v2, s18, v2
	v_subrev_nc_u32_e32 v10, s18, v3
	v_add_nc_u32_e32 v2, v2, v0
	s_delay_alu instid0(VALU_DEP_1)
	v_cmp_lt_i32_e64 s2, v2, v10
	s_cbranch_scc0 .LBB45_12
; %bb.7:
	v_mov_b32_e32 v9, 0
	v_mov_b32_e32 v11, 0
	s_mov_b32 s3, 0
	s_and_saveexec_b32 s4, s2
	s_cbranch_execz .LBB45_11
; %bb.8:
	v_mad_u64_u32 v[3:4], null, v2, 22, 20
	v_dual_mov_b32 v6, 0 :: v_dual_mov_b32 v7, v2
	v_mov_b32_e32 v9, 0
	v_mov_b32_e32 v11, 0
	s_mov_b32 s5, 0
.LBB45_9:                               ; =>This Inner Loop Header: Depth=1
	s_delay_alu instid0(VALU_DEP_3) | instskip(SKIP_1) | instid1(VALU_DEP_2)
	v_ashrrev_i32_e32 v8, 31, v7
	v_mov_b32_e32 v13, v6
	v_lshlrev_b64 v[4:5], 2, v[7:8]
	v_add_nc_u32_e32 v7, 4, v7
	s_delay_alu instid0(VALU_DEP_2) | instskip(NEXT) | instid1(VALU_DEP_3)
	v_add_co_u32 v4, vcc_lo, s6, v4
	v_add_co_ci_u32_e32 v5, vcc_lo, s7, v5, vcc_lo
	global_load_b32 v8, v[4:5], off
	v_subrev_nc_u32_e32 v5, 20, v3
	v_mov_b32_e32 v4, v6
	s_delay_alu instid0(VALU_DEP_2) | instskip(SKIP_1) | instid1(VALU_DEP_3)
	v_lshlrev_b64 v[14:15], 2, v[5:6]
	v_subrev_nc_u32_e32 v5, 18, v3
	v_lshlrev_b64 v[16:17], 2, v[3:4]
	s_delay_alu instid0(VALU_DEP_2) | instskip(NEXT) | instid1(VALU_DEP_4)
	v_lshlrev_b64 v[4:5], 2, v[5:6]
	v_add_co_u32 v14, vcc_lo, s8, v14
	v_add_co_ci_u32_e32 v15, vcc_lo, s9, v15, vcc_lo
	s_delay_alu instid0(VALU_DEP_4)
	v_add_co_u32 v16, vcc_lo, s8, v16
	v_add_co_ci_u32_e32 v17, vcc_lo, s9, v17, vcc_lo
	v_add_co_u32 v4, vcc_lo, s8, v4
	v_add_co_ci_u32_e32 v5, vcc_lo, s9, v5, vcc_lo
	s_clause 0x1
	global_load_b64 v[14:15], v[14:15], off
	global_load_b64 v[18:19], v[4:5], off
	s_waitcnt vmcnt(2)
	v_subrev_nc_u32_e32 v4, s18, v8
	s_delay_alu instid0(VALU_DEP_1) | instskip(NEXT) | instid1(VALU_DEP_1)
	v_mul_lo_u32 v12, v4, 11
	v_add_nc_u32_e32 v5, 1, v12
	v_lshlrev_b64 v[20:21], 2, v[12:13]
	s_delay_alu instid0(VALU_DEP_2) | instskip(SKIP_1) | instid1(VALU_DEP_3)
	v_lshlrev_b64 v[22:23], 2, v[5:6]
	v_add_nc_u32_e32 v5, -16, v3
	v_add_co_u32 v20, vcc_lo, s10, v20
	s_delay_alu instid0(VALU_DEP_4) | instskip(NEXT) | instid1(VALU_DEP_4)
	v_add_co_ci_u32_e32 v21, vcc_lo, s11, v21, vcc_lo
	v_add_co_u32 v22, vcc_lo, s10, v22
	s_delay_alu instid0(VALU_DEP_4)
	v_lshlrev_b64 v[24:25], 2, v[5:6]
	v_add_nc_u32_e32 v5, 2, v12
	v_add_co_ci_u32_e32 v23, vcc_lo, s11, v23, vcc_lo
	s_clause 0x1
	global_load_b32 v8, v[20:21], off
	global_load_b32 v40, v[22:23], off
	v_lshlrev_b64 v[20:21], 2, v[5:6]
	v_add_nc_u32_e32 v5, -14, v3
	v_add_co_u32 v22, vcc_lo, s8, v24
	v_add_co_ci_u32_e32 v23, vcc_lo, s9, v25, vcc_lo
	s_delay_alu instid0(VALU_DEP_3) | instskip(SKIP_3) | instid1(VALU_DEP_3)
	v_lshlrev_b64 v[24:25], 2, v[5:6]
	v_add_nc_u32_e32 v5, 3, v12
	v_add_co_u32 v20, vcc_lo, s10, v20
	v_add_co_ci_u32_e32 v21, vcc_lo, s11, v21, vcc_lo
	v_lshlrev_b64 v[26:27], 2, v[5:6]
	v_add_nc_u32_e32 v5, -12, v3
	global_load_b64 v[22:23], v[22:23], off
	global_load_b32 v41, v[20:21], off
	v_add_co_u32 v20, vcc_lo, s8, v24
	v_add_co_ci_u32_e32 v21, vcc_lo, s9, v25, vcc_lo
	v_lshlrev_b64 v[24:25], 2, v[5:6]
	v_add_nc_u32_e32 v5, 4, v12
	v_add_co_u32 v26, vcc_lo, s10, v26
	v_add_co_ci_u32_e32 v27, vcc_lo, s11, v27, vcc_lo
	s_delay_alu instid0(VALU_DEP_3) | instskip(SKIP_3) | instid1(VALU_DEP_4)
	v_lshlrev_b64 v[28:29], 2, v[5:6]
	v_add_co_u32 v24, vcc_lo, s8, v24
	v_add_co_ci_u32_e32 v25, vcc_lo, s9, v25, vcc_lo
	v_add_nc_u32_e32 v5, -10, v3
	v_add_co_u32 v28, vcc_lo, s10, v28
	global_load_b64 v[24:25], v[24:25], off
	v_add_co_ci_u32_e32 v29, vcc_lo, s11, v29, vcc_lo
	global_load_b32 v42, v[26:27], off
	global_load_b64 v[20:21], v[20:21], off
	global_load_b32 v43, v[28:29], off
	v_lshlrev_b64 v[26:27], 2, v[5:6]
	v_add_nc_u32_e32 v5, 5, v12
	s_delay_alu instid0(VALU_DEP_1) | instskip(SKIP_1) | instid1(VALU_DEP_4)
	v_lshlrev_b64 v[30:31], 2, v[5:6]
	v_add_nc_u32_e32 v5, -8, v3
	v_add_co_u32 v26, vcc_lo, s8, v26
	v_add_co_ci_u32_e32 v27, vcc_lo, s9, v27, vcc_lo
	s_delay_alu instid0(VALU_DEP_3) | instskip(SKIP_3) | instid1(VALU_DEP_3)
	v_lshlrev_b64 v[28:29], 2, v[5:6]
	v_add_nc_u32_e32 v5, 6, v12
	v_add_co_u32 v30, vcc_lo, s10, v30
	v_add_co_ci_u32_e32 v31, vcc_lo, s11, v31, vcc_lo
	v_lshlrev_b64 v[32:33], 2, v[5:6]
	v_add_co_u32 v28, vcc_lo, s8, v28
	v_add_co_ci_u32_e32 v29, vcc_lo, s9, v29, vcc_lo
	v_add_nc_u32_e32 v5, -6, v3
	s_delay_alu instid0(VALU_DEP_4)
	v_add_co_u32 v32, vcc_lo, s10, v32
	v_add_co_ci_u32_e32 v33, vcc_lo, s11, v33, vcc_lo
	global_load_b32 v44, v[30:31], off
	s_clause 0x1
	global_load_b64 v[26:27], v[26:27], off
	global_load_b64 v[28:29], v[28:29], off
	global_load_b32 v45, v[32:33], off
	v_lshlrev_b64 v[30:31], 2, v[5:6]
	v_add_nc_u32_e32 v5, 7, v12
	s_delay_alu instid0(VALU_DEP_1) | instskip(SKIP_1) | instid1(VALU_DEP_4)
	v_lshlrev_b64 v[34:35], 2, v[5:6]
	v_add_nc_u32_e32 v5, -4, v3
	v_add_co_u32 v30, vcc_lo, s8, v30
	v_add_co_ci_u32_e32 v31, vcc_lo, s9, v31, vcc_lo
	s_delay_alu instid0(VALU_DEP_3) | instskip(SKIP_3) | instid1(VALU_DEP_3)
	v_lshlrev_b64 v[32:33], 2, v[5:6]
	v_add_nc_u32_e32 v5, 8, v12
	v_add_co_u32 v34, vcc_lo, s10, v34
	v_add_co_ci_u32_e32 v35, vcc_lo, s11, v35, vcc_lo
	v_lshlrev_b64 v[36:37], 2, v[5:6]
	v_add_co_u32 v32, vcc_lo, s8, v32
	v_add_co_ci_u32_e32 v33, vcc_lo, s9, v33, vcc_lo
	v_add_nc_u32_e32 v5, -2, v3
	s_delay_alu instid0(VALU_DEP_4)
	v_add_co_u32 v36, vcc_lo, s10, v36
	v_add_co_ci_u32_e32 v37, vcc_lo, s11, v37, vcc_lo
	global_load_b32 v46, v[34:35], off
	s_clause 0x1
	global_load_b64 v[30:31], v[30:31], off
	global_load_b64 v[32:33], v[32:33], off
	global_load_b32 v36, v[36:37], off
	v_lshlrev_b64 v[34:35], 2, v[5:6]
	v_add_nc_u32_e32 v5, 9, v12
	v_add_nc_u32_e32 v3, 0x58, v3
	s_delay_alu instid0(VALU_DEP_2) | instskip(SKIP_3) | instid1(VALU_DEP_3)
	v_lshlrev_b64 v[38:39], 2, v[5:6]
	v_add_nc_u32_e32 v5, 10, v12
	v_add_co_u32 v12, vcc_lo, s8, v34
	v_add_co_ci_u32_e32 v13, vcc_lo, s9, v35, vcc_lo
	v_lshlrev_b64 v[4:5], 2, v[5:6]
	v_add_co_u32 v34, vcc_lo, s10, v38
	v_add_co_ci_u32_e32 v35, vcc_lo, s11, v39, vcc_lo
	global_load_b64 v[12:13], v[12:13], off
	global_load_b32 v34, v[34:35], off
	v_add_co_u32 v4, vcc_lo, s10, v4
	v_add_co_ci_u32_e32 v5, vcc_lo, s11, v5, vcc_lo
	global_load_b64 v[16:17], v[16:17], off
	global_load_b32 v4, v[4:5], off
	v_cmp_ge_i32_e32 vcc_lo, v7, v10
	s_or_b32 s5, vcc_lo, s5
	s_waitcnt vmcnt(19)
	v_fmac_f32_e32 v9, v14, v8
	v_fmac_f32_e32 v11, v15, v8
	s_waitcnt vmcnt(18)
	s_delay_alu instid0(VALU_DEP_2) | instskip(NEXT) | instid1(VALU_DEP_2)
	v_fmac_f32_e32 v9, v18, v40
	v_fmac_f32_e32 v11, v19, v40
	s_waitcnt vmcnt(16)
	s_delay_alu instid0(VALU_DEP_2) | instskip(NEXT) | instid1(VALU_DEP_2)
	;; [unrolled: 4-line block ×10, first 2 shown]
	v_fmac_f32_e32 v9, v16, v4
	v_fmac_f32_e32 v11, v17, v4
	s_and_not1_b32 exec_lo, exec_lo, s5
	s_cbranch_execnz .LBB45_9
; %bb.10:
	s_or_b32 exec_lo, exec_lo, s5
.LBB45_11:
	s_delay_alu instid0(SALU_CYCLE_1) | instskip(NEXT) | instid1(SALU_CYCLE_1)
	s_or_b32 exec_lo, exec_lo, s4
	s_and_not1_b32 vcc_lo, exec_lo, s3
	s_cbranch_vccz .LBB45_13
	s_branch .LBB45_18
.LBB45_12:
                                        ; implicit-def: $vgpr9
                                        ; implicit-def: $vgpr11
.LBB45_13:
	v_mov_b32_e32 v9, 0
	v_mov_b32_e32 v11, 0
	s_delay_alu instid0(VALU_DEP_3)
	s_and_saveexec_b32 s3, s2
	s_cbranch_execz .LBB45_17
; %bb.14:
	v_mad_u64_u32 v[4:5], null, v2, 22, 21
	v_mov_b32_e32 v7, 0
	v_mov_b32_e32 v9, 0
	;; [unrolled: 1-line block ×3, first 2 shown]
	s_mov_b32 s2, 0
.LBB45_15:                              ; =>This Inner Loop Header: Depth=1
	v_ashrrev_i32_e32 v3, 31, v2
	v_dual_mov_b32 v13, v7 :: v_dual_add_nc_u32 v12, -10, v4
	s_delay_alu instid0(VALU_DEP_2) | instskip(SKIP_1) | instid1(VALU_DEP_3)
	v_lshlrev_b64 v[5:6], 2, v[2:3]
	v_add_nc_u32_e32 v2, 4, v2
	v_lshlrev_b64 v[12:13], 2, v[12:13]
	s_delay_alu instid0(VALU_DEP_3) | instskip(NEXT) | instid1(VALU_DEP_4)
	v_add_co_u32 v5, vcc_lo, s6, v5
	v_add_co_ci_u32_e32 v6, vcc_lo, s7, v6, vcc_lo
	global_load_b32 v3, v[5:6], off
	v_subrev_nc_u32_e32 v6, 21, v4
	s_delay_alu instid0(VALU_DEP_1) | instskip(NEXT) | instid1(VALU_DEP_1)
	v_lshlrev_b64 v[15:16], 2, v[6:7]
	v_add_co_u32 v15, vcc_lo, s8, v15
	s_delay_alu instid0(VALU_DEP_2)
	v_add_co_ci_u32_e32 v16, vcc_lo, s9, v16, vcc_lo
	v_add_co_u32 v12, vcc_lo, s8, v12
	v_add_co_ci_u32_e32 v13, vcc_lo, s9, v13, vcc_lo
	s_clause 0x1
	global_load_b64 v[15:16], v[15:16], off
	global_load_b32 v8, v[12:13], off
	v_mov_b32_e32 v14, v7
	s_waitcnt vmcnt(2)
	v_subrev_nc_u32_e32 v3, s18, v3
	s_delay_alu instid0(VALU_DEP_1) | instskip(SKIP_1) | instid1(VALU_DEP_1)
	v_mul_lo_u32 v13, v3, 11
	v_mov_b32_e32 v5, v7
	v_lshlrev_b64 v[5:6], 2, v[4:5]
	s_delay_alu instid0(VALU_DEP_3) | instskip(NEXT) | instid1(VALU_DEP_2)
	v_lshlrev_b64 v[19:20], 2, v[13:14]
	v_add_co_u32 v17, vcc_lo, s8, v5
	s_delay_alu instid0(VALU_DEP_3) | instskip(SKIP_1) | instid1(VALU_DEP_4)
	v_add_co_ci_u32_e32 v18, vcc_lo, s9, v6, vcc_lo
	v_add_nc_u32_e32 v6, 1, v13
	v_add_co_u32 v19, vcc_lo, s10, v19
	v_add_co_ci_u32_e32 v20, vcc_lo, s11, v20, vcc_lo
	s_delay_alu instid0(VALU_DEP_3)
	v_lshlrev_b64 v[21:22], 2, v[6:7]
	global_load_b32 v3, v[19:20], off
	v_add_nc_u32_e32 v6, -9, v4
	v_add_co_u32 v19, vcc_lo, s10, v21
	v_add_co_ci_u32_e32 v20, vcc_lo, s11, v22, vcc_lo
	global_load_b32 v14, v[19:20], off
	s_waitcnt vmcnt(1)
	v_fmac_f32_e32 v9, v15, v3
	v_lshlrev_b64 v[23:24], 2, v[6:7]
	v_subrev_nc_u32_e32 v6, 19, v4
	v_fmac_f32_e32 v11, v8, v3
	s_delay_alu instid0(VALU_DEP_3) | instskip(NEXT) | instid1(VALU_DEP_4)
	v_add_co_u32 v23, vcc_lo, s8, v23
	v_add_co_ci_u32_e32 v24, vcc_lo, s9, v24, vcc_lo
	s_delay_alu instid0(VALU_DEP_4)
	v_lshlrev_b64 v[21:22], 2, v[6:7]
	s_waitcnt vmcnt(0)
	v_dual_fmac_f32 v9, v16, v14 :: v_dual_add_nc_u32 v6, 2, v13
	global_load_b32 v25, v[23:24], off
	v_lshlrev_b64 v[19:20], 2, v[6:7]
	v_add_co_u32 v21, vcc_lo, s8, v21
	v_add_co_ci_u32_e32 v22, vcc_lo, s9, v22, vcc_lo
	s_delay_alu instid0(VALU_DEP_3)
	v_add_co_u32 v19, vcc_lo, s10, v19
	global_load_b32 v26, v[21:22], off
	v_add_co_ci_u32_e32 v20, vcc_lo, s11, v20, vcc_lo
	v_add_nc_u32_e32 v6, -8, v4
	global_load_b32 v27, v[19:20], off
	s_waitcnt vmcnt(2)
	v_fmac_f32_e32 v11, v25, v14
	v_lshlrev_b64 v[23:24], 2, v[6:7]
	v_subrev_nc_u32_e32 v6, 18, v4
	s_delay_alu instid0(VALU_DEP_2) | instskip(NEXT) | instid1(VALU_DEP_3)
	v_add_co_u32 v19, vcc_lo, s8, v23
	v_add_co_ci_u32_e32 v20, vcc_lo, s9, v24, vcc_lo
	global_load_b32 v28, v[19:20], off
	v_lshlrev_b64 v[21:22], 2, v[6:7]
	s_waitcnt vmcnt(1)
	v_dual_fmac_f32 v9, v26, v27 :: v_dual_add_nc_u32 v6, 3, v13
	s_delay_alu instid0(VALU_DEP_2) | instskip(NEXT) | instid1(VALU_DEP_2)
	v_add_co_u32 v21, vcc_lo, s8, v21
	v_lshlrev_b64 v[23:24], 2, v[6:7]
	s_delay_alu instid0(VALU_DEP_4)
	v_add_co_ci_u32_e32 v22, vcc_lo, s9, v22, vcc_lo
	v_add_nc_u32_e32 v6, -7, v4
	global_load_b32 v29, v[21:22], off
	v_add_co_u32 v21, vcc_lo, s10, v23
	v_add_co_ci_u32_e32 v22, vcc_lo, s11, v24, vcc_lo
	global_load_b32 v30, v[21:22], off
	s_waitcnt vmcnt(2)
	v_fmac_f32_e32 v11, v28, v27
	v_lshlrev_b64 v[19:20], 2, v[6:7]
	v_subrev_nc_u32_e32 v6, 17, v4
	s_delay_alu instid0(VALU_DEP_2) | instskip(NEXT) | instid1(VALU_DEP_3)
	v_add_co_u32 v19, vcc_lo, s8, v19
	v_add_co_ci_u32_e32 v20, vcc_lo, s9, v20, vcc_lo
	s_delay_alu instid0(VALU_DEP_3)
	v_lshlrev_b64 v[23:24], 2, v[6:7]
	v_add_nc_u32_e32 v6, 4, v13
	global_load_b32 v31, v[19:20], off
	v_add_co_u32 v19, vcc_lo, s8, v23
	v_add_co_ci_u32_e32 v20, vcc_lo, s9, v24, vcc_lo
	s_waitcnt vmcnt(1)
	v_fmac_f32_e32 v9, v29, v30
	v_lshlrev_b64 v[21:22], 2, v[6:7]
	global_load_b32 v32, v[19:20], off
	v_add_nc_u32_e32 v6, -6, v4
	v_add_co_u32 v21, vcc_lo, s10, v21
	v_add_co_ci_u32_e32 v22, vcc_lo, s11, v22, vcc_lo
	global_load_b32 v33, v[21:22], off
	s_waitcnt vmcnt(2)
	v_fmac_f32_e32 v11, v31, v30
	v_lshlrev_b64 v[23:24], 2, v[6:7]
	v_add_nc_u32_e32 v6, -16, v4
	s_delay_alu instid0(VALU_DEP_2) | instskip(NEXT) | instid1(VALU_DEP_3)
	v_add_co_u32 v21, vcc_lo, s8, v23
	v_add_co_ci_u32_e32 v22, vcc_lo, s9, v24, vcc_lo
	global_load_b32 v34, v[21:22], off
	s_waitcnt vmcnt(1)
	v_fmac_f32_e32 v9, v32, v33
	v_lshlrev_b64 v[19:20], 2, v[6:7]
	s_delay_alu instid0(VALU_DEP_1) | instskip(NEXT) | instid1(VALU_DEP_2)
	v_add_co_u32 v19, vcc_lo, s8, v19
	v_add_co_ci_u32_e32 v20, vcc_lo, s9, v20, vcc_lo
	global_load_b32 v35, v[19:20], off
	v_add_nc_u32_e32 v6, 5, v13
	s_delay_alu instid0(VALU_DEP_1) | instskip(SKIP_1) | instid1(VALU_DEP_2)
	v_lshlrev_b64 v[23:24], 2, v[6:7]
	v_add_nc_u32_e32 v6, -5, v4
	v_add_co_u32 v19, vcc_lo, s10, v23
	s_delay_alu instid0(VALU_DEP_3) | instskip(SKIP_4) | instid1(VALU_DEP_1)
	v_add_co_ci_u32_e32 v20, vcc_lo, s11, v24, vcc_lo
	global_load_b32 v36, v[19:20], off
	s_waitcnt vmcnt(2)
	v_fmac_f32_e32 v11, v34, v33
	v_lshlrev_b64 v[21:22], 2, v[6:7]
	v_add_co_u32 v21, vcc_lo, s8, v21
	s_delay_alu instid0(VALU_DEP_2) | instskip(SKIP_4) | instid1(VALU_DEP_1)
	v_add_co_ci_u32_e32 v22, vcc_lo, s9, v22, vcc_lo
	global_load_b32 v37, v[21:22], off
	s_waitcnt vmcnt(1)
	v_fmac_f32_e32 v9, v35, v36
	v_add_nc_u32_e32 v6, -15, v4
	v_lshlrev_b64 v[23:24], 2, v[6:7]
	v_add_nc_u32_e32 v6, 6, v13
	s_delay_alu instid0(VALU_DEP_2) | instskip(NEXT) | instid1(VALU_DEP_3)
	v_add_co_u32 v21, vcc_lo, s8, v23
	v_add_co_ci_u32_e32 v22, vcc_lo, s9, v24, vcc_lo
	global_load_b32 v38, v[21:22], off
	s_waitcnt vmcnt(1)
	v_fmac_f32_e32 v11, v37, v36
	v_lshlrev_b64 v[19:20], 2, v[6:7]
	s_delay_alu instid0(VALU_DEP_1) | instskip(NEXT) | instid1(VALU_DEP_2)
	v_add_co_u32 v19, vcc_lo, s10, v19
	v_add_co_ci_u32_e32 v20, vcc_lo, s11, v20, vcc_lo
	global_load_b32 v39, v[19:20], off
	v_add_nc_u32_e32 v6, -4, v4
	s_delay_alu instid0(VALU_DEP_1) | instskip(NEXT) | instid1(VALU_DEP_1)
	v_lshlrev_b64 v[23:24], 2, v[6:7]
	v_add_co_u32 v19, vcc_lo, s8, v23
	s_delay_alu instid0(VALU_DEP_2) | instskip(SKIP_3) | instid1(VALU_DEP_1)
	v_add_co_ci_u32_e32 v20, vcc_lo, s9, v24, vcc_lo
	global_load_b32 v40, v[19:20], off
	s_waitcnt vmcnt(1)
	v_dual_fmac_f32 v9, v38, v39 :: v_dual_add_nc_u32 v6, -14, v4
	v_lshlrev_b64 v[21:22], 2, v[6:7]
	s_delay_alu instid0(VALU_DEP_1) | instskip(NEXT) | instid1(VALU_DEP_2)
	v_add_co_u32 v21, vcc_lo, s8, v21
	v_add_co_ci_u32_e32 v22, vcc_lo, s9, v22, vcc_lo
	s_waitcnt vmcnt(0)
	v_dual_fmac_f32 v11, v40, v39 :: v_dual_add_nc_u32 v6, 7, v13
	global_load_b32 v41, v[21:22], off
	v_lshlrev_b64 v[23:24], 2, v[6:7]
	s_delay_alu instid0(VALU_DEP_1) | instskip(NEXT) | instid1(VALU_DEP_2)
	v_add_co_u32 v21, vcc_lo, s10, v23
	v_add_co_ci_u32_e32 v22, vcc_lo, s11, v24, vcc_lo
	global_load_b32 v42, v[21:22], off
	s_waitcnt vmcnt(0)
	v_dual_fmac_f32 v9, v41, v42 :: v_dual_add_nc_u32 v6, -3, v4
	s_delay_alu instid0(VALU_DEP_1) | instskip(NEXT) | instid1(VALU_DEP_1)
	v_lshlrev_b64 v[19:20], 2, v[6:7]
	v_add_co_u32 v19, vcc_lo, s8, v19
	s_delay_alu instid0(VALU_DEP_2) | instskip(SKIP_3) | instid1(VALU_DEP_1)
	v_add_co_ci_u32_e32 v20, vcc_lo, s9, v20, vcc_lo
	global_load_b32 v43, v[19:20], off
	s_waitcnt vmcnt(0)
	v_dual_fmac_f32 v11, v43, v42 :: v_dual_add_nc_u32 v6, -13, v4
	v_lshlrev_b64 v[23:24], 2, v[6:7]
	v_add_nc_u32_e32 v6, 8, v13
	s_delay_alu instid0(VALU_DEP_1) | instskip(SKIP_1) | instid1(VALU_DEP_4)
	v_lshlrev_b64 v[21:22], 2, v[6:7]
	v_add_nc_u32_e32 v6, -2, v4
	v_add_co_u32 v19, vcc_lo, s8, v23
	v_add_co_ci_u32_e32 v20, vcc_lo, s9, v24, vcc_lo
	s_delay_alu instid0(VALU_DEP_3)
	v_lshlrev_b64 v[23:24], 2, v[6:7]
	v_add_nc_u32_e32 v6, -12, v4
	v_add_co_u32 v21, vcc_lo, s10, v21
	v_add_co_ci_u32_e32 v22, vcc_lo, s11, v22, vcc_lo
	global_load_b32 v44, v[19:20], off
	v_lshlrev_b64 v[19:20], 2, v[6:7]
	v_add_nc_u32_e32 v6, 9, v13
	global_load_b32 v45, v[21:22], off
	v_add_co_u32 v21, vcc_lo, s8, v23
	v_add_co_ci_u32_e32 v22, vcc_lo, s9, v24, vcc_lo
	v_add_co_u32 v19, vcc_lo, s8, v19
	v_lshlrev_b64 v[23:24], 2, v[6:7]
	v_add_nc_u32_e32 v6, -1, v4
	v_add_co_ci_u32_e32 v20, vcc_lo, s9, v20, vcc_lo
	s_clause 0x1
	global_load_b32 v46, v[21:22], off
	global_load_b32 v47, v[19:20], off
	v_lshlrev_b64 v[21:22], 2, v[6:7]
	v_add_nc_u32_e32 v6, -11, v4
	v_add_co_u32 v19, vcc_lo, s10, v23
	v_add_co_ci_u32_e32 v20, vcc_lo, s11, v24, vcc_lo
	s_delay_alu instid0(VALU_DEP_3) | instskip(SKIP_3) | instid1(VALU_DEP_3)
	v_lshlrev_b64 v[23:24], 2, v[6:7]
	v_add_nc_u32_e32 v6, 10, v13
	v_add_co_u32 v12, vcc_lo, s8, v21
	v_add_co_ci_u32_e32 v13, vcc_lo, s9, v22, vcc_lo
	v_lshlrev_b64 v[5:6], 2, v[6:7]
	global_load_b32 v19, v[19:20], off
	v_add_nc_u32_e32 v4, 0x58, v4
	global_load_b32 v20, v[12:13], off
	v_add_co_u32 v12, vcc_lo, s8, v23
	v_add_co_ci_u32_e32 v13, vcc_lo, s9, v24, vcc_lo
	v_add_co_u32 v5, vcc_lo, s10, v5
	v_add_co_ci_u32_e32 v6, vcc_lo, s11, v6, vcc_lo
	s_clause 0x1
	global_load_b32 v17, v[17:18], off
	global_load_b32 v12, v[12:13], off
	;; [unrolled: 1-line block ×3, first 2 shown]
	v_cmp_ge_i32_e32 vcc_lo, v2, v10
	s_or_b32 s2, vcc_lo, s2
	s_waitcnt vmcnt(7)
	v_fmac_f32_e32 v9, v44, v45
	s_waitcnt vmcnt(6)
	v_fmac_f32_e32 v11, v46, v45
	s_waitcnt vmcnt(4)
	s_delay_alu instid0(VALU_DEP_2) | instskip(SKIP_1) | instid1(VALU_DEP_2)
	v_fmac_f32_e32 v9, v47, v19
	s_waitcnt vmcnt(3)
	v_fmac_f32_e32 v11, v20, v19
	s_waitcnt vmcnt(0)
	s_delay_alu instid0(VALU_DEP_2) | instskip(NEXT) | instid1(VALU_DEP_2)
	v_fmac_f32_e32 v9, v12, v5
	v_fmac_f32_e32 v11, v17, v5
	s_and_not1_b32 exec_lo, exec_lo, s2
	s_cbranch_execnz .LBB45_15
; %bb.16:
	s_or_b32 exec_lo, exec_lo, s2
.LBB45_17:
	s_delay_alu instid0(SALU_CYCLE_1)
	s_or_b32 exec_lo, exec_lo, s3
.LBB45_18:
	v_mbcnt_lo_u32_b32 v2, -1, 0
	s_mov_b32 s2, -1
	s_delay_alu instid0(VALU_DEP_1) | instskip(SKIP_1) | instid1(VALU_DEP_2)
	v_xor_b32_e32 v3, 2, v2
	v_xor_b32_e32 v5, 1, v2
	v_cmp_gt_i32_e32 vcc_lo, 32, v3
	v_cndmask_b32_e32 v3, v2, v3, vcc_lo
	s_delay_alu instid0(VALU_DEP_3) | instskip(NEXT) | instid1(VALU_DEP_2)
	v_cmp_gt_i32_e32 vcc_lo, 32, v5
	v_dual_cndmask_b32 v2, v2, v5 :: v_dual_lshlrev_b32 v3, 2, v3
	v_cmp_eq_u32_e32 vcc_lo, 3, v0
	ds_bpermute_b32 v4, v3, v9
	ds_bpermute_b32 v3, v3, v11
	s_waitcnt lgkmcnt(1)
	v_dual_add_f32 v2, v9, v4 :: v_dual_lshlrev_b32 v5, 2, v2
	s_waitcnt lgkmcnt(0)
	v_add_f32_e32 v3, v11, v3
	ds_bpermute_b32 v4, v5, v2
	ds_bpermute_b32 v5, v5, v3
	s_and_b32 exec_lo, exec_lo, vcc_lo
	s_cbranch_execz .LBB45_23
; %bb.19:
	s_load_b64 s[0:1], s[0:1], 0x38
	s_waitcnt lgkmcnt(0)
	v_dual_add_f32 v0, v2, v4 :: v_dual_add_f32 v3, v3, v5
	v_cmp_eq_f32_e64 s3, s12, 0
	s_delay_alu instid0(VALU_DEP_2) | instskip(SKIP_1) | instid1(VALU_DEP_3)
	v_dual_mul_f32 v2, s16, v0 :: v_dual_mul_f32 v3, s16, v3
	v_lshlrev_b32_e32 v0, 1, v1
	s_and_b32 vcc_lo, exec_lo, s3
	s_cbranch_vccz .LBB45_21
; %bb.20:
	s_delay_alu instid0(VALU_DEP_1) | instskip(SKIP_1) | instid1(VALU_DEP_1)
	v_ashrrev_i32_e32 v1, 31, v0
	s_mov_b32 s2, 0
	v_lshlrev_b64 v[4:5], 2, v[0:1]
	s_delay_alu instid0(VALU_DEP_1) | instskip(NEXT) | instid1(VALU_DEP_2)
	v_add_co_u32 v4, vcc_lo, s0, v4
	v_add_co_ci_u32_e32 v5, vcc_lo, s1, v5, vcc_lo
	global_store_b64 v[4:5], v[2:3], off
.LBB45_21:
	s_and_not1_b32 vcc_lo, exec_lo, s2
	s_cbranch_vccnz .LBB45_23
; %bb.22:
	v_ashrrev_i32_e32 v1, 31, v0
	s_delay_alu instid0(VALU_DEP_1) | instskip(NEXT) | instid1(VALU_DEP_1)
	v_lshlrev_b64 v[0:1], 2, v[0:1]
	v_add_co_u32 v0, vcc_lo, s0, v0
	s_delay_alu instid0(VALU_DEP_2)
	v_add_co_ci_u32_e32 v1, vcc_lo, s1, v1, vcc_lo
	global_load_b64 v[4:5], v[0:1], off
	s_waitcnt vmcnt(0)
	v_dual_fmac_f32 v2, s12, v4 :: v_dual_fmac_f32 v3, s12, v5
	global_store_b64 v[0:1], v[2:3], off
.LBB45_23:
	s_nop 0
	s_sendmsg sendmsg(MSG_DEALLOC_VGPRS)
	s_endpgm
	.section	.rodata,"a",@progbits
	.p2align	6, 0x0
	.amdhsa_kernel _ZN9rocsparseL19gebsrmvn_2xn_kernelILj128ELj11ELj4EfEEvi20rocsparse_direction_NS_24const_host_device_scalarIT2_EEPKiS6_PKS3_S8_S4_PS3_21rocsparse_index_base_b
		.amdhsa_group_segment_fixed_size 0
		.amdhsa_private_segment_fixed_size 0
		.amdhsa_kernarg_size 72
		.amdhsa_user_sgpr_count 15
		.amdhsa_user_sgpr_dispatch_ptr 0
		.amdhsa_user_sgpr_queue_ptr 0
		.amdhsa_user_sgpr_kernarg_segment_ptr 1
		.amdhsa_user_sgpr_dispatch_id 0
		.amdhsa_user_sgpr_private_segment_size 0
		.amdhsa_wavefront_size32 1
		.amdhsa_uses_dynamic_stack 0
		.amdhsa_enable_private_segment 0
		.amdhsa_system_sgpr_workgroup_id_x 1
		.amdhsa_system_sgpr_workgroup_id_y 0
		.amdhsa_system_sgpr_workgroup_id_z 0
		.amdhsa_system_sgpr_workgroup_info 0
		.amdhsa_system_vgpr_workitem_id 0
		.amdhsa_next_free_vgpr 48
		.amdhsa_next_free_sgpr 20
		.amdhsa_reserve_vcc 1
		.amdhsa_float_round_mode_32 0
		.amdhsa_float_round_mode_16_64 0
		.amdhsa_float_denorm_mode_32 3
		.amdhsa_float_denorm_mode_16_64 3
		.amdhsa_dx10_clamp 1
		.amdhsa_ieee_mode 1
		.amdhsa_fp16_overflow 0
		.amdhsa_workgroup_processor_mode 1
		.amdhsa_memory_ordered 1
		.amdhsa_forward_progress 0
		.amdhsa_shared_vgpr_count 0
		.amdhsa_exception_fp_ieee_invalid_op 0
		.amdhsa_exception_fp_denorm_src 0
		.amdhsa_exception_fp_ieee_div_zero 0
		.amdhsa_exception_fp_ieee_overflow 0
		.amdhsa_exception_fp_ieee_underflow 0
		.amdhsa_exception_fp_ieee_inexact 0
		.amdhsa_exception_int_div_zero 0
	.end_amdhsa_kernel
	.section	.text._ZN9rocsparseL19gebsrmvn_2xn_kernelILj128ELj11ELj4EfEEvi20rocsparse_direction_NS_24const_host_device_scalarIT2_EEPKiS6_PKS3_S8_S4_PS3_21rocsparse_index_base_b,"axG",@progbits,_ZN9rocsparseL19gebsrmvn_2xn_kernelILj128ELj11ELj4EfEEvi20rocsparse_direction_NS_24const_host_device_scalarIT2_EEPKiS6_PKS3_S8_S4_PS3_21rocsparse_index_base_b,comdat
.Lfunc_end45:
	.size	_ZN9rocsparseL19gebsrmvn_2xn_kernelILj128ELj11ELj4EfEEvi20rocsparse_direction_NS_24const_host_device_scalarIT2_EEPKiS6_PKS3_S8_S4_PS3_21rocsparse_index_base_b, .Lfunc_end45-_ZN9rocsparseL19gebsrmvn_2xn_kernelILj128ELj11ELj4EfEEvi20rocsparse_direction_NS_24const_host_device_scalarIT2_EEPKiS6_PKS3_S8_S4_PS3_21rocsparse_index_base_b
                                        ; -- End function
	.section	.AMDGPU.csdata,"",@progbits
; Kernel info:
; codeLenInByte = 3124
; NumSgprs: 22
; NumVgprs: 48
; ScratchSize: 0
; MemoryBound: 0
; FloatMode: 240
; IeeeMode: 1
; LDSByteSize: 0 bytes/workgroup (compile time only)
; SGPRBlocks: 2
; VGPRBlocks: 5
; NumSGPRsForWavesPerEU: 22
; NumVGPRsForWavesPerEU: 48
; Occupancy: 16
; WaveLimiterHint : 1
; COMPUTE_PGM_RSRC2:SCRATCH_EN: 0
; COMPUTE_PGM_RSRC2:USER_SGPR: 15
; COMPUTE_PGM_RSRC2:TRAP_HANDLER: 0
; COMPUTE_PGM_RSRC2:TGID_X_EN: 1
; COMPUTE_PGM_RSRC2:TGID_Y_EN: 0
; COMPUTE_PGM_RSRC2:TGID_Z_EN: 0
; COMPUTE_PGM_RSRC2:TIDIG_COMP_CNT: 0
	.section	.text._ZN9rocsparseL19gebsrmvn_2xn_kernelILj128ELj11ELj8EfEEvi20rocsparse_direction_NS_24const_host_device_scalarIT2_EEPKiS6_PKS3_S8_S4_PS3_21rocsparse_index_base_b,"axG",@progbits,_ZN9rocsparseL19gebsrmvn_2xn_kernelILj128ELj11ELj8EfEEvi20rocsparse_direction_NS_24const_host_device_scalarIT2_EEPKiS6_PKS3_S8_S4_PS3_21rocsparse_index_base_b,comdat
	.globl	_ZN9rocsparseL19gebsrmvn_2xn_kernelILj128ELj11ELj8EfEEvi20rocsparse_direction_NS_24const_host_device_scalarIT2_EEPKiS6_PKS3_S8_S4_PS3_21rocsparse_index_base_b ; -- Begin function _ZN9rocsparseL19gebsrmvn_2xn_kernelILj128ELj11ELj8EfEEvi20rocsparse_direction_NS_24const_host_device_scalarIT2_EEPKiS6_PKS3_S8_S4_PS3_21rocsparse_index_base_b
	.p2align	8
	.type	_ZN9rocsparseL19gebsrmvn_2xn_kernelILj128ELj11ELj8EfEEvi20rocsparse_direction_NS_24const_host_device_scalarIT2_EEPKiS6_PKS3_S8_S4_PS3_21rocsparse_index_base_b,@function
_ZN9rocsparseL19gebsrmvn_2xn_kernelILj128ELj11ELj8EfEEvi20rocsparse_direction_NS_24const_host_device_scalarIT2_EEPKiS6_PKS3_S8_S4_PS3_21rocsparse_index_base_b: ; @_ZN9rocsparseL19gebsrmvn_2xn_kernelILj128ELj11ELj8EfEEvi20rocsparse_direction_NS_24const_host_device_scalarIT2_EEPKiS6_PKS3_S8_S4_PS3_21rocsparse_index_base_b
; %bb.0:
	s_clause 0x2
	s_load_b64 s[18:19], s[0:1], 0x40
	s_load_b64 s[16:17], s[0:1], 0x8
	;; [unrolled: 1-line block ×3, first 2 shown]
	s_waitcnt lgkmcnt(0)
	s_bitcmp1_b32 s19, 0
	s_cselect_b32 s2, -1, 0
	s_delay_alu instid0(SALU_CYCLE_1)
	s_and_b32 vcc_lo, exec_lo, s2
	s_xor_b32 s2, s2, -1
	s_cbranch_vccnz .LBB46_2
; %bb.1:
	s_load_b32 s16, s[16:17], 0x0
.LBB46_2:
	s_and_not1_b32 vcc_lo, exec_lo, s2
	s_cbranch_vccnz .LBB46_4
; %bb.3:
	s_load_b32 s12, s[12:13], 0x0
.LBB46_4:
	s_waitcnt lgkmcnt(0)
	v_cmp_eq_f32_e64 s2, s16, 0
	v_cmp_eq_f32_e64 s3, s12, 1.0
	s_delay_alu instid0(VALU_DEP_1) | instskip(NEXT) | instid1(SALU_CYCLE_1)
	s_and_b32 s2, s2, s3
	s_and_b32 vcc_lo, exec_lo, s2
	s_cbranch_vccnz .LBB46_23
; %bb.5:
	s_load_b64 s[2:3], s[0:1], 0x0
	v_lshrrev_b32_e32 v1, 3, v0
	s_delay_alu instid0(VALU_DEP_1) | instskip(SKIP_1) | instid1(VALU_DEP_1)
	v_lshl_or_b32 v1, s15, 4, v1
	s_waitcnt lgkmcnt(0)
	v_cmp_gt_i32_e32 vcc_lo, s2, v1
	s_and_saveexec_b32 s2, vcc_lo
	s_cbranch_execz .LBB46_23
; %bb.6:
	s_load_b256 s[4:11], s[0:1], 0x10
	v_ashrrev_i32_e32 v2, 31, v1
	v_and_b32_e32 v0, 7, v0
	s_cmp_lg_u32 s3, 0
	s_delay_alu instid0(VALU_DEP_2) | instskip(SKIP_1) | instid1(VALU_DEP_1)
	v_lshlrev_b64 v[2:3], 2, v[1:2]
	s_waitcnt lgkmcnt(0)
	v_add_co_u32 v2, vcc_lo, s4, v2
	s_delay_alu instid0(VALU_DEP_2) | instskip(SKIP_4) | instid1(VALU_DEP_2)
	v_add_co_ci_u32_e32 v3, vcc_lo, s5, v3, vcc_lo
	global_load_b64 v[2:3], v[2:3], off
	s_waitcnt vmcnt(0)
	v_subrev_nc_u32_e32 v2, s18, v2
	v_subrev_nc_u32_e32 v11, s18, v3
	v_add_nc_u32_e32 v2, v2, v0
	s_delay_alu instid0(VALU_DEP_1)
	v_cmp_lt_i32_e64 s2, v2, v11
	s_cbranch_scc0 .LBB46_12
; %bb.7:
	v_dual_mov_b32 v9, 0 :: v_dual_mov_b32 v10, 0
	s_mov_b32 s3, 0
	s_delay_alu instid0(VALU_DEP_2)
	s_and_saveexec_b32 s4, s2
	s_cbranch_execz .LBB46_11
; %bb.8:
	v_mad_u64_u32 v[3:4], null, v2, 22, 20
	v_dual_mov_b32 v6, 0 :: v_dual_mov_b32 v7, v2
	v_dual_mov_b32 v9, 0 :: v_dual_mov_b32 v10, 0
	s_mov_b32 s5, 0
.LBB46_9:                               ; =>This Inner Loop Header: Depth=1
	s_delay_alu instid0(VALU_DEP_2) | instskip(NEXT) | instid1(VALU_DEP_1)
	v_ashrrev_i32_e32 v8, 31, v7
	v_lshlrev_b64 v[4:5], 2, v[7:8]
	v_add_nc_u32_e32 v7, 8, v7
	s_delay_alu instid0(VALU_DEP_2) | instskip(NEXT) | instid1(VALU_DEP_3)
	v_add_co_u32 v4, vcc_lo, s6, v4
	v_add_co_ci_u32_e32 v5, vcc_lo, s7, v5, vcc_lo
	global_load_b32 v8, v[4:5], off
	v_subrev_nc_u32_e32 v5, 20, v3
	v_mov_b32_e32 v4, v6
	s_delay_alu instid0(VALU_DEP_2) | instskip(SKIP_1) | instid1(VALU_DEP_3)
	v_lshlrev_b64 v[14:15], 2, v[5:6]
	v_subrev_nc_u32_e32 v5, 18, v3
	v_lshlrev_b64 v[16:17], 2, v[3:4]
	s_delay_alu instid0(VALU_DEP_2) | instskip(NEXT) | instid1(VALU_DEP_4)
	v_lshlrev_b64 v[4:5], 2, v[5:6]
	v_add_co_u32 v14, vcc_lo, s8, v14
	v_add_co_ci_u32_e32 v15, vcc_lo, s9, v15, vcc_lo
	s_delay_alu instid0(VALU_DEP_4)
	v_add_co_u32 v16, vcc_lo, s8, v16
	v_add_co_ci_u32_e32 v17, vcc_lo, s9, v17, vcc_lo
	v_add_co_u32 v4, vcc_lo, s8, v4
	v_add_co_ci_u32_e32 v5, vcc_lo, s9, v5, vcc_lo
	s_clause 0x1
	global_load_b64 v[14:15], v[14:15], off
	global_load_b64 v[18:19], v[4:5], off
	v_mov_b32_e32 v13, v6
	s_waitcnt vmcnt(2)
	v_subrev_nc_u32_e32 v4, s18, v8
	s_delay_alu instid0(VALU_DEP_1) | instskip(NEXT) | instid1(VALU_DEP_1)
	v_mul_lo_u32 v12, v4, 11
	v_add_nc_u32_e32 v5, 1, v12
	v_lshlrev_b64 v[20:21], 2, v[12:13]
	s_delay_alu instid0(VALU_DEP_2) | instskip(NEXT) | instid1(VALU_DEP_2)
	v_lshlrev_b64 v[22:23], 2, v[5:6]
	v_add_co_u32 v20, vcc_lo, s10, v20
	s_delay_alu instid0(VALU_DEP_3) | instskip(NEXT) | instid1(VALU_DEP_3)
	v_add_co_ci_u32_e32 v21, vcc_lo, s11, v21, vcc_lo
	v_add_co_u32 v22, vcc_lo, s10, v22
	s_delay_alu instid0(VALU_DEP_4)
	v_add_co_ci_u32_e32 v23, vcc_lo, s11, v23, vcc_lo
	s_clause 0x1
	global_load_b32 v8, v[20:21], off
	global_load_b32 v40, v[22:23], off
	s_waitcnt vmcnt(1)
	v_dual_fmac_f32 v10, v15, v8 :: v_dual_add_nc_u32 v5, -16, v3
	v_fmac_f32_e32 v9, v14, v8
	s_waitcnt vmcnt(0)
	s_delay_alu instid0(VALU_DEP_2) | instskip(NEXT) | instid1(VALU_DEP_3)
	v_fmac_f32_e32 v10, v19, v40
	v_lshlrev_b64 v[24:25], 2, v[5:6]
	s_delay_alu instid0(VALU_DEP_3) | instskip(NEXT) | instid1(VALU_DEP_2)
	v_fmac_f32_e32 v9, v18, v40
	v_add_co_u32 v22, vcc_lo, s8, v24
	s_delay_alu instid0(VALU_DEP_3) | instskip(SKIP_2) | instid1(VALU_DEP_1)
	v_add_co_ci_u32_e32 v23, vcc_lo, s9, v25, vcc_lo
	global_load_b64 v[22:23], v[22:23], off
	v_add_nc_u32_e32 v5, 2, v12
	v_lshlrev_b64 v[20:21], 2, v[5:6]
	v_add_nc_u32_e32 v5, -14, v3
	s_delay_alu instid0(VALU_DEP_1) | instskip(SKIP_1) | instid1(VALU_DEP_4)
	v_lshlrev_b64 v[24:25], 2, v[5:6]
	v_add_nc_u32_e32 v5, 3, v12
	v_add_co_u32 v20, vcc_lo, s10, v20
	v_add_co_ci_u32_e32 v21, vcc_lo, s11, v21, vcc_lo
	s_delay_alu instid0(VALU_DEP_3)
	v_lshlrev_b64 v[26:27], 2, v[5:6]
	v_add_nc_u32_e32 v5, -12, v3
	global_load_b32 v41, v[20:21], off
	v_add_co_u32 v20, vcc_lo, s8, v24
	v_add_co_ci_u32_e32 v21, vcc_lo, s9, v25, vcc_lo
	v_lshlrev_b64 v[24:25], 2, v[5:6]
	v_add_nc_u32_e32 v5, 4, v12
	v_add_co_u32 v26, vcc_lo, s10, v26
	v_add_co_ci_u32_e32 v27, vcc_lo, s11, v27, vcc_lo
	s_delay_alu instid0(VALU_DEP_3) | instskip(SKIP_3) | instid1(VALU_DEP_4)
	v_lshlrev_b64 v[28:29], 2, v[5:6]
	v_add_co_u32 v24, vcc_lo, s8, v24
	v_add_co_ci_u32_e32 v25, vcc_lo, s9, v25, vcc_lo
	v_add_nc_u32_e32 v5, -10, v3
	v_add_co_u32 v28, vcc_lo, s10, v28
	v_add_co_ci_u32_e32 v29, vcc_lo, s11, v29, vcc_lo
	global_load_b32 v42, v[26:27], off
	s_clause 0x1
	global_load_b64 v[24:25], v[24:25], off
	global_load_b64 v[20:21], v[20:21], off
	global_load_b32 v43, v[28:29], off
	v_lshlrev_b64 v[26:27], 2, v[5:6]
	v_add_nc_u32_e32 v5, 5, v12
	s_delay_alu instid0(VALU_DEP_1) | instskip(SKIP_1) | instid1(VALU_DEP_4)
	v_lshlrev_b64 v[30:31], 2, v[5:6]
	v_add_nc_u32_e32 v5, -8, v3
	v_add_co_u32 v26, vcc_lo, s8, v26
	v_add_co_ci_u32_e32 v27, vcc_lo, s9, v27, vcc_lo
	s_delay_alu instid0(VALU_DEP_3) | instskip(SKIP_3) | instid1(VALU_DEP_3)
	v_lshlrev_b64 v[28:29], 2, v[5:6]
	v_add_nc_u32_e32 v5, 6, v12
	v_add_co_u32 v30, vcc_lo, s10, v30
	v_add_co_ci_u32_e32 v31, vcc_lo, s11, v31, vcc_lo
	v_lshlrev_b64 v[32:33], 2, v[5:6]
	v_add_co_u32 v28, vcc_lo, s8, v28
	v_add_co_ci_u32_e32 v29, vcc_lo, s9, v29, vcc_lo
	v_add_nc_u32_e32 v5, -6, v3
	s_delay_alu instid0(VALU_DEP_4)
	v_add_co_u32 v32, vcc_lo, s10, v32
	v_add_co_ci_u32_e32 v33, vcc_lo, s11, v33, vcc_lo
	global_load_b32 v44, v[30:31], off
	s_clause 0x1
	global_load_b64 v[26:27], v[26:27], off
	global_load_b64 v[28:29], v[28:29], off
	global_load_b32 v45, v[32:33], off
	v_lshlrev_b64 v[30:31], 2, v[5:6]
	v_add_nc_u32_e32 v5, 7, v12
	s_delay_alu instid0(VALU_DEP_1) | instskip(SKIP_1) | instid1(VALU_DEP_4)
	v_lshlrev_b64 v[34:35], 2, v[5:6]
	v_add_nc_u32_e32 v5, -4, v3
	v_add_co_u32 v30, vcc_lo, s8, v30
	v_add_co_ci_u32_e32 v31, vcc_lo, s9, v31, vcc_lo
	s_delay_alu instid0(VALU_DEP_3) | instskip(SKIP_3) | instid1(VALU_DEP_3)
	v_lshlrev_b64 v[32:33], 2, v[5:6]
	v_add_nc_u32_e32 v5, 8, v12
	v_add_co_u32 v34, vcc_lo, s10, v34
	v_add_co_ci_u32_e32 v35, vcc_lo, s11, v35, vcc_lo
	v_lshlrev_b64 v[36:37], 2, v[5:6]
	v_add_co_u32 v32, vcc_lo, s8, v32
	v_add_co_ci_u32_e32 v33, vcc_lo, s9, v33, vcc_lo
	v_add_nc_u32_e32 v5, -2, v3
	s_delay_alu instid0(VALU_DEP_4)
	v_add_co_u32 v36, vcc_lo, s10, v36
	v_add_co_ci_u32_e32 v37, vcc_lo, s11, v37, vcc_lo
	global_load_b32 v46, v[34:35], off
	s_clause 0x1
	global_load_b64 v[30:31], v[30:31], off
	global_load_b64 v[32:33], v[32:33], off
	global_load_b32 v36, v[36:37], off
	v_lshlrev_b64 v[34:35], 2, v[5:6]
	v_add_nc_u32_e32 v5, 9, v12
	v_add_nc_u32_e32 v3, 0xb0, v3
	s_delay_alu instid0(VALU_DEP_2) | instskip(SKIP_3) | instid1(VALU_DEP_3)
	v_lshlrev_b64 v[38:39], 2, v[5:6]
	v_add_nc_u32_e32 v5, 10, v12
	v_add_co_u32 v12, vcc_lo, s8, v34
	v_add_co_ci_u32_e32 v13, vcc_lo, s9, v35, vcc_lo
	v_lshlrev_b64 v[4:5], 2, v[5:6]
	v_add_co_u32 v34, vcc_lo, s10, v38
	v_add_co_ci_u32_e32 v35, vcc_lo, s11, v39, vcc_lo
	global_load_b64 v[12:13], v[12:13], off
	global_load_b32 v34, v[34:35], off
	v_add_co_u32 v4, vcc_lo, s10, v4
	v_add_co_ci_u32_e32 v5, vcc_lo, s11, v5, vcc_lo
	global_load_b64 v[16:17], v[16:17], off
	global_load_b32 v4, v[4:5], off
	v_cmp_ge_i32_e32 vcc_lo, v7, v11
	s_or_b32 s5, vcc_lo, s5
	s_waitcnt vmcnt(16)
	v_fmac_f32_e32 v9, v22, v41
	s_waitcnt vmcnt(13)
	s_delay_alu instid0(VALU_DEP_1) | instskip(SKIP_1) | instid1(VALU_DEP_1)
	v_dual_fmac_f32 v10, v23, v41 :: v_dual_fmac_f32 v9, v20, v42
	s_waitcnt vmcnt(12)
	v_dual_fmac_f32 v10, v21, v42 :: v_dual_fmac_f32 v9, v24, v43
	s_waitcnt vmcnt(10)
	s_delay_alu instid0(VALU_DEP_1) | instskip(SKIP_1) | instid1(VALU_DEP_1)
	v_dual_fmac_f32 v10, v25, v43 :: v_dual_fmac_f32 v9, v26, v44
	s_waitcnt vmcnt(8)
	v_dual_fmac_f32 v10, v27, v44 :: v_dual_fmac_f32 v9, v28, v45
	;; [unrolled: 5-line block ×4, first 2 shown]
	s_delay_alu instid0(VALU_DEP_1)
	v_fmac_f32_e32 v10, v17, v4
	s_and_not1_b32 exec_lo, exec_lo, s5
	s_cbranch_execnz .LBB46_9
; %bb.10:
	s_or_b32 exec_lo, exec_lo, s5
.LBB46_11:
	s_delay_alu instid0(SALU_CYCLE_1) | instskip(NEXT) | instid1(SALU_CYCLE_1)
	s_or_b32 exec_lo, exec_lo, s4
	s_and_not1_b32 vcc_lo, exec_lo, s3
	s_cbranch_vccz .LBB46_13
	s_branch .LBB46_18
.LBB46_12:
                                        ; implicit-def: $vgpr9
                                        ; implicit-def: $vgpr10
.LBB46_13:
	v_dual_mov_b32 v9, 0 :: v_dual_mov_b32 v10, 0
	s_delay_alu instid0(VALU_DEP_2)
	s_and_saveexec_b32 s3, s2
	s_cbranch_execz .LBB46_17
; %bb.14:
	v_mad_u64_u32 v[4:5], null, v2, 22, 21
	v_dual_mov_b32 v7, 0 :: v_dual_mov_b32 v10, 0
	v_mov_b32_e32 v9, 0
	s_mov_b32 s2, 0
.LBB46_15:                              ; =>This Inner Loop Header: Depth=1
	v_ashrrev_i32_e32 v3, 31, v2
	s_delay_alu instid0(VALU_DEP_3) | instskip(SKIP_1) | instid1(VALU_DEP_3)
	v_dual_mov_b32 v13, v7 :: v_dual_add_nc_u32 v12, -10, v4
	v_mov_b32_e32 v14, v7
	v_lshlrev_b64 v[5:6], 2, v[2:3]
	v_add_nc_u32_e32 v2, 8, v2
	s_delay_alu instid0(VALU_DEP_4) | instskip(NEXT) | instid1(VALU_DEP_3)
	v_lshlrev_b64 v[12:13], 2, v[12:13]
	v_add_co_u32 v5, vcc_lo, s6, v5
	s_delay_alu instid0(VALU_DEP_4) | instskip(SKIP_2) | instid1(VALU_DEP_1)
	v_add_co_ci_u32_e32 v6, vcc_lo, s7, v6, vcc_lo
	global_load_b32 v3, v[5:6], off
	v_subrev_nc_u32_e32 v6, 21, v4
	v_lshlrev_b64 v[15:16], 2, v[6:7]
	s_delay_alu instid0(VALU_DEP_1) | instskip(NEXT) | instid1(VALU_DEP_2)
	v_add_co_u32 v15, vcc_lo, s8, v15
	v_add_co_ci_u32_e32 v16, vcc_lo, s9, v16, vcc_lo
	v_add_co_u32 v12, vcc_lo, s8, v12
	v_add_co_ci_u32_e32 v13, vcc_lo, s9, v13, vcc_lo
	s_clause 0x1
	global_load_b64 v[15:16], v[15:16], off
	global_load_b32 v8, v[12:13], off
	s_waitcnt vmcnt(2)
	v_subrev_nc_u32_e32 v3, s18, v3
	s_delay_alu instid0(VALU_DEP_1) | instskip(SKIP_1) | instid1(VALU_DEP_1)
	v_mul_lo_u32 v13, v3, 11
	v_mov_b32_e32 v5, v7
	v_lshlrev_b64 v[5:6], 2, v[4:5]
	s_delay_alu instid0(VALU_DEP_3) | instskip(NEXT) | instid1(VALU_DEP_2)
	v_lshlrev_b64 v[19:20], 2, v[13:14]
	v_add_co_u32 v17, vcc_lo, s8, v5
	s_delay_alu instid0(VALU_DEP_3) | instskip(SKIP_1) | instid1(VALU_DEP_4)
	v_add_co_ci_u32_e32 v18, vcc_lo, s9, v6, vcc_lo
	v_add_nc_u32_e32 v6, 1, v13
	v_add_co_u32 v19, vcc_lo, s10, v19
	v_add_co_ci_u32_e32 v20, vcc_lo, s11, v20, vcc_lo
	s_delay_alu instid0(VALU_DEP_3)
	v_lshlrev_b64 v[21:22], 2, v[6:7]
	global_load_b32 v3, v[19:20], off
	v_add_nc_u32_e32 v6, -9, v4
	v_add_co_u32 v19, vcc_lo, s10, v21
	v_add_co_ci_u32_e32 v20, vcc_lo, s11, v22, vcc_lo
	global_load_b32 v14, v[19:20], off
	s_waitcnt vmcnt(1)
	v_fmac_f32_e32 v9, v15, v3
	v_lshlrev_b64 v[23:24], 2, v[6:7]
	v_subrev_nc_u32_e32 v6, 19, v4
	v_fmac_f32_e32 v10, v8, v3
	s_delay_alu instid0(VALU_DEP_2)
	v_lshlrev_b64 v[21:22], 2, v[6:7]
	v_add_nc_u32_e32 v6, 2, v13
	v_add_co_u32 v23, vcc_lo, s8, v23
	s_waitcnt vmcnt(0)
	v_fmac_f32_e32 v9, v16, v14
	v_add_co_ci_u32_e32 v24, vcc_lo, s9, v24, vcc_lo
	v_lshlrev_b64 v[19:20], 2, v[6:7]
	v_add_co_u32 v21, vcc_lo, s8, v21
	v_add_nc_u32_e32 v6, -8, v4
	v_add_co_ci_u32_e32 v22, vcc_lo, s9, v22, vcc_lo
	s_delay_alu instid0(VALU_DEP_4)
	v_add_co_u32 v19, vcc_lo, s10, v19
	s_clause 0x1
	global_load_b32 v25, v[23:24], off
	global_load_b32 v26, v[21:22], off
	v_lshlrev_b64 v[23:24], 2, v[6:7]
	v_add_co_ci_u32_e32 v20, vcc_lo, s11, v20, vcc_lo
	v_subrev_nc_u32_e32 v6, 18, v4
	global_load_b32 v27, v[19:20], off
	v_add_co_u32 v19, vcc_lo, s8, v23
	v_add_co_ci_u32_e32 v20, vcc_lo, s9, v24, vcc_lo
	global_load_b32 v28, v[19:20], off
	v_lshlrev_b64 v[21:22], 2, v[6:7]
	v_add_nc_u32_e32 v6, 3, v13
	s_delay_alu instid0(VALU_DEP_2) | instskip(NEXT) | instid1(VALU_DEP_2)
	v_add_co_u32 v21, vcc_lo, s8, v21
	v_lshlrev_b64 v[23:24], 2, v[6:7]
	s_delay_alu instid0(VALU_DEP_4)
	v_add_co_ci_u32_e32 v22, vcc_lo, s9, v22, vcc_lo
	global_load_b32 v29, v[21:22], off
	v_add_co_u32 v21, vcc_lo, s10, v23
	v_add_co_ci_u32_e32 v22, vcc_lo, s11, v24, vcc_lo
	global_load_b32 v30, v[21:22], off
	s_waitcnt vmcnt(3)
	v_dual_fmac_f32 v10, v25, v14 :: v_dual_fmac_f32 v9, v26, v27
	s_waitcnt vmcnt(0)
	s_delay_alu instid0(VALU_DEP_1) | instskip(SKIP_1) | instid1(VALU_DEP_1)
	v_dual_fmac_f32 v10, v28, v27 :: v_dual_fmac_f32 v9, v29, v30
	v_add_nc_u32_e32 v6, -7, v4
	v_lshlrev_b64 v[19:20], 2, v[6:7]
	v_subrev_nc_u32_e32 v6, 17, v4
	s_delay_alu instid0(VALU_DEP_1) | instskip(SKIP_1) | instid1(VALU_DEP_4)
	v_lshlrev_b64 v[23:24], 2, v[6:7]
	v_add_nc_u32_e32 v6, 4, v13
	v_add_co_u32 v19, vcc_lo, s8, v19
	v_add_co_ci_u32_e32 v20, vcc_lo, s9, v20, vcc_lo
	s_delay_alu instid0(VALU_DEP_3)
	v_lshlrev_b64 v[21:22], 2, v[6:7]
	v_add_nc_u32_e32 v6, -6, v4
	global_load_b32 v31, v[19:20], off
	v_add_co_u32 v19, vcc_lo, s8, v23
	v_add_co_ci_u32_e32 v20, vcc_lo, s9, v24, vcc_lo
	v_lshlrev_b64 v[23:24], 2, v[6:7]
	v_add_nc_u32_e32 v6, -16, v4
	v_add_co_u32 v21, vcc_lo, s10, v21
	v_add_co_ci_u32_e32 v22, vcc_lo, s11, v22, vcc_lo
	global_load_b32 v32, v[19:20], off
	v_lshlrev_b64 v[19:20], 2, v[6:7]
	v_add_nc_u32_e32 v6, 5, v13
	global_load_b32 v33, v[21:22], off
	v_add_co_u32 v21, vcc_lo, s8, v23
	v_add_co_ci_u32_e32 v22, vcc_lo, s9, v24, vcc_lo
	v_add_co_u32 v19, vcc_lo, s8, v19
	v_lshlrev_b64 v[23:24], 2, v[6:7]
	v_add_nc_u32_e32 v6, -5, v4
	v_add_co_ci_u32_e32 v20, vcc_lo, s9, v20, vcc_lo
	s_clause 0x1
	global_load_b32 v34, v[21:22], off
	global_load_b32 v35, v[19:20], off
	v_lshlrev_b64 v[21:22], 2, v[6:7]
	v_add_nc_u32_e32 v6, -15, v4
	v_add_co_u32 v19, vcc_lo, s10, v23
	v_add_co_ci_u32_e32 v20, vcc_lo, s11, v24, vcc_lo
	s_delay_alu instid0(VALU_DEP_3)
	v_lshlrev_b64 v[23:24], 2, v[6:7]
	v_add_nc_u32_e32 v6, 6, v13
	v_add_co_u32 v21, vcc_lo, s8, v21
	v_add_co_ci_u32_e32 v22, vcc_lo, s9, v22, vcc_lo
	global_load_b32 v36, v[19:20], off
	v_lshlrev_b64 v[19:20], 2, v[6:7]
	v_add_nc_u32_e32 v6, -4, v4
	global_load_b32 v37, v[21:22], off
	v_add_co_u32 v21, vcc_lo, s8, v23
	v_add_co_ci_u32_e32 v22, vcc_lo, s9, v24, vcc_lo
	v_add_co_u32 v19, vcc_lo, s10, v19
	v_lshlrev_b64 v[23:24], 2, v[6:7]
	v_add_co_ci_u32_e32 v20, vcc_lo, s11, v20, vcc_lo
	v_add_nc_u32_e32 v6, -14, v4
	global_load_b32 v38, v[21:22], off
	global_load_b32 v39, v[19:20], off
	v_add_co_u32 v19, vcc_lo, s8, v23
	v_add_co_ci_u32_e32 v20, vcc_lo, s9, v24, vcc_lo
	global_load_b32 v40, v[19:20], off
	v_lshlrev_b64 v[21:22], 2, v[6:7]
	v_add_nc_u32_e32 v6, 7, v13
	s_delay_alu instid0(VALU_DEP_1) | instskip(SKIP_1) | instid1(VALU_DEP_4)
	v_lshlrev_b64 v[23:24], 2, v[6:7]
	v_add_nc_u32_e32 v6, -3, v4
	v_add_co_u32 v21, vcc_lo, s8, v21
	v_add_co_ci_u32_e32 v22, vcc_lo, s9, v22, vcc_lo
	s_delay_alu instid0(VALU_DEP_3)
	v_lshlrev_b64 v[19:20], 2, v[6:7]
	v_add_nc_u32_e32 v6, -13, v4
	global_load_b32 v41, v[21:22], off
	v_add_co_u32 v21, vcc_lo, s10, v23
	v_add_co_ci_u32_e32 v22, vcc_lo, s11, v24, vcc_lo
	v_lshlrev_b64 v[23:24], 2, v[6:7]
	v_add_nc_u32_e32 v6, 8, v13
	v_add_co_u32 v19, vcc_lo, s8, v19
	v_add_co_ci_u32_e32 v20, vcc_lo, s9, v20, vcc_lo
	global_load_b32 v42, v[21:22], off
	v_lshlrev_b64 v[21:22], 2, v[6:7]
	v_add_nc_u32_e32 v6, -2, v4
	global_load_b32 v43, v[19:20], off
	v_add_co_u32 v19, vcc_lo, s8, v23
	v_add_co_ci_u32_e32 v20, vcc_lo, s9, v24, vcc_lo
	v_lshlrev_b64 v[23:24], 2, v[6:7]
	v_add_nc_u32_e32 v6, -12, v4
	v_add_co_u32 v21, vcc_lo, s10, v21
	v_add_co_ci_u32_e32 v22, vcc_lo, s11, v22, vcc_lo
	global_load_b32 v44, v[19:20], off
	v_lshlrev_b64 v[19:20], 2, v[6:7]
	v_add_nc_u32_e32 v6, 9, v13
	global_load_b32 v45, v[21:22], off
	v_add_co_u32 v21, vcc_lo, s8, v23
	v_add_co_ci_u32_e32 v22, vcc_lo, s9, v24, vcc_lo
	v_add_co_u32 v19, vcc_lo, s8, v19
	v_lshlrev_b64 v[23:24], 2, v[6:7]
	v_add_nc_u32_e32 v6, -1, v4
	v_add_co_ci_u32_e32 v20, vcc_lo, s9, v20, vcc_lo
	s_clause 0x1
	global_load_b32 v46, v[21:22], off
	global_load_b32 v47, v[19:20], off
	v_lshlrev_b64 v[21:22], 2, v[6:7]
	v_add_nc_u32_e32 v6, -11, v4
	v_add_co_u32 v19, vcc_lo, s10, v23
	v_add_co_ci_u32_e32 v20, vcc_lo, s11, v24, vcc_lo
	s_delay_alu instid0(VALU_DEP_3) | instskip(SKIP_3) | instid1(VALU_DEP_3)
	v_lshlrev_b64 v[23:24], 2, v[6:7]
	v_add_nc_u32_e32 v6, 10, v13
	v_add_co_u32 v12, vcc_lo, s8, v21
	v_add_co_ci_u32_e32 v13, vcc_lo, s9, v22, vcc_lo
	v_lshlrev_b64 v[5:6], 2, v[6:7]
	global_load_b32 v19, v[19:20], off
	v_add_nc_u32_e32 v4, 0xb0, v4
	global_load_b32 v20, v[12:13], off
	v_add_co_u32 v12, vcc_lo, s8, v23
	v_add_co_ci_u32_e32 v13, vcc_lo, s9, v24, vcc_lo
	v_add_co_u32 v5, vcc_lo, s10, v5
	v_add_co_ci_u32_e32 v6, vcc_lo, s11, v6, vcc_lo
	s_clause 0x1
	global_load_b32 v17, v[17:18], off
	global_load_b32 v12, v[12:13], off
	;; [unrolled: 1-line block ×3, first 2 shown]
	v_cmp_ge_i32_e32 vcc_lo, v2, v11
	s_or_b32 s2, vcc_lo, s2
	s_waitcnt vmcnt(19)
	v_dual_fmac_f32 v10, v31, v30 :: v_dual_fmac_f32 v9, v32, v33
	s_waitcnt vmcnt(16)
	s_delay_alu instid0(VALU_DEP_1) | instskip(SKIP_1) | instid1(VALU_DEP_1)
	v_dual_fmac_f32 v10, v34, v33 :: v_dual_fmac_f32 v9, v35, v36
	s_waitcnt vmcnt(13)
	v_dual_fmac_f32 v10, v37, v36 :: v_dual_fmac_f32 v9, v38, v39
	s_waitcnt vmcnt(10)
	s_delay_alu instid0(VALU_DEP_1) | instskip(SKIP_1) | instid1(VALU_DEP_1)
	v_dual_fmac_f32 v10, v40, v39 :: v_dual_fmac_f32 v9, v41, v42
	s_waitcnt vmcnt(7)
	v_dual_fmac_f32 v10, v43, v42 :: v_dual_fmac_f32 v9, v44, v45
	s_waitcnt vmcnt(4)
	s_delay_alu instid0(VALU_DEP_1) | instskip(SKIP_1) | instid1(VALU_DEP_1)
	v_dual_fmac_f32 v10, v46, v45 :: v_dual_fmac_f32 v9, v47, v19
	s_waitcnt vmcnt(3)
	v_fmac_f32_e32 v10, v20, v19
	s_waitcnt vmcnt(0)
	s_delay_alu instid0(VALU_DEP_2) | instskip(NEXT) | instid1(VALU_DEP_2)
	v_fmac_f32_e32 v9, v12, v5
	v_fmac_f32_e32 v10, v17, v5
	s_and_not1_b32 exec_lo, exec_lo, s2
	s_cbranch_execnz .LBB46_15
; %bb.16:
	s_or_b32 exec_lo, exec_lo, s2
.LBB46_17:
	s_delay_alu instid0(SALU_CYCLE_1)
	s_or_b32 exec_lo, exec_lo, s3
.LBB46_18:
	v_mbcnt_lo_u32_b32 v2, -1, 0
	s_mov_b32 s2, -1
	s_delay_alu instid0(VALU_DEP_1) | instskip(SKIP_2) | instid1(VALU_DEP_3)
	v_xor_b32_e32 v3, 4, v2
	v_xor_b32_e32 v5, 2, v2
	v_xor_b32_e32 v7, 1, v2
	v_cmp_gt_i32_e32 vcc_lo, 32, v3
	v_cndmask_b32_e32 v3, v2, v3, vcc_lo
	s_delay_alu instid0(VALU_DEP_4) | instskip(NEXT) | instid1(VALU_DEP_2)
	v_cmp_gt_i32_e32 vcc_lo, 32, v5
	v_lshlrev_b32_e32 v3, 2, v3
	v_cndmask_b32_e32 v5, v2, v5, vcc_lo
	v_cmp_gt_i32_e32 vcc_lo, 32, v7
	ds_bpermute_b32 v4, v3, v9
	v_dual_cndmask_b32 v2, v2, v7 :: v_dual_lshlrev_b32 v5, 2, v5
	v_cmp_eq_u32_e32 vcc_lo, 7, v0
	s_waitcnt lgkmcnt(0)
	s_delay_alu instid0(VALU_DEP_2)
	v_dual_add_f32 v4, v9, v4 :: v_dual_lshlrev_b32 v7, 2, v2
	ds_bpermute_b32 v6, v5, v4
	s_waitcnt lgkmcnt(0)
	v_add_f32_e32 v2, v4, v6
	ds_bpermute_b32 v3, v3, v10
	ds_bpermute_b32 v4, v7, v2
	s_waitcnt lgkmcnt(1)
	v_add_f32_e32 v3, v10, v3
	ds_bpermute_b32 v5, v5, v3
	s_waitcnt lgkmcnt(0)
	v_add_f32_e32 v3, v3, v5
	ds_bpermute_b32 v5, v7, v3
	s_and_b32 exec_lo, exec_lo, vcc_lo
	s_cbranch_execz .LBB46_23
; %bb.19:
	s_load_b64 s[0:1], s[0:1], 0x38
	s_waitcnt lgkmcnt(0)
	v_dual_add_f32 v0, v2, v4 :: v_dual_add_f32 v3, v3, v5
	v_cmp_eq_f32_e64 s3, s12, 0
	s_delay_alu instid0(VALU_DEP_2) | instskip(SKIP_1) | instid1(VALU_DEP_3)
	v_dual_mul_f32 v2, s16, v0 :: v_dual_mul_f32 v3, s16, v3
	v_lshlrev_b32_e32 v0, 1, v1
	s_and_b32 vcc_lo, exec_lo, s3
	s_cbranch_vccz .LBB46_21
; %bb.20:
	s_delay_alu instid0(VALU_DEP_1) | instskip(SKIP_1) | instid1(VALU_DEP_1)
	v_ashrrev_i32_e32 v1, 31, v0
	s_mov_b32 s2, 0
	v_lshlrev_b64 v[4:5], 2, v[0:1]
	s_delay_alu instid0(VALU_DEP_1) | instskip(NEXT) | instid1(VALU_DEP_2)
	v_add_co_u32 v4, vcc_lo, s0, v4
	v_add_co_ci_u32_e32 v5, vcc_lo, s1, v5, vcc_lo
	global_store_b64 v[4:5], v[2:3], off
.LBB46_21:
	s_and_not1_b32 vcc_lo, exec_lo, s2
	s_cbranch_vccnz .LBB46_23
; %bb.22:
	v_ashrrev_i32_e32 v1, 31, v0
	s_delay_alu instid0(VALU_DEP_1) | instskip(NEXT) | instid1(VALU_DEP_1)
	v_lshlrev_b64 v[0:1], 2, v[0:1]
	v_add_co_u32 v0, vcc_lo, s0, v0
	s_delay_alu instid0(VALU_DEP_2)
	v_add_co_ci_u32_e32 v1, vcc_lo, s1, v1, vcc_lo
	global_load_b64 v[4:5], v[0:1], off
	s_waitcnt vmcnt(0)
	v_dual_fmac_f32 v2, s12, v4 :: v_dual_fmac_f32 v3, s12, v5
	global_store_b64 v[0:1], v[2:3], off
.LBB46_23:
	s_nop 0
	s_sendmsg sendmsg(MSG_DEALLOC_VGPRS)
	s_endpgm
	.section	.rodata,"a",@progbits
	.p2align	6, 0x0
	.amdhsa_kernel _ZN9rocsparseL19gebsrmvn_2xn_kernelILj128ELj11ELj8EfEEvi20rocsparse_direction_NS_24const_host_device_scalarIT2_EEPKiS6_PKS3_S8_S4_PS3_21rocsparse_index_base_b
		.amdhsa_group_segment_fixed_size 0
		.amdhsa_private_segment_fixed_size 0
		.amdhsa_kernarg_size 72
		.amdhsa_user_sgpr_count 15
		.amdhsa_user_sgpr_dispatch_ptr 0
		.amdhsa_user_sgpr_queue_ptr 0
		.amdhsa_user_sgpr_kernarg_segment_ptr 1
		.amdhsa_user_sgpr_dispatch_id 0
		.amdhsa_user_sgpr_private_segment_size 0
		.amdhsa_wavefront_size32 1
		.amdhsa_uses_dynamic_stack 0
		.amdhsa_enable_private_segment 0
		.amdhsa_system_sgpr_workgroup_id_x 1
		.amdhsa_system_sgpr_workgroup_id_y 0
		.amdhsa_system_sgpr_workgroup_id_z 0
		.amdhsa_system_sgpr_workgroup_info 0
		.amdhsa_system_vgpr_workitem_id 0
		.amdhsa_next_free_vgpr 48
		.amdhsa_next_free_sgpr 20
		.amdhsa_reserve_vcc 1
		.amdhsa_float_round_mode_32 0
		.amdhsa_float_round_mode_16_64 0
		.amdhsa_float_denorm_mode_32 3
		.amdhsa_float_denorm_mode_16_64 3
		.amdhsa_dx10_clamp 1
		.amdhsa_ieee_mode 1
		.amdhsa_fp16_overflow 0
		.amdhsa_workgroup_processor_mode 1
		.amdhsa_memory_ordered 1
		.amdhsa_forward_progress 0
		.amdhsa_shared_vgpr_count 0
		.amdhsa_exception_fp_ieee_invalid_op 0
		.amdhsa_exception_fp_denorm_src 0
		.amdhsa_exception_fp_ieee_div_zero 0
		.amdhsa_exception_fp_ieee_overflow 0
		.amdhsa_exception_fp_ieee_underflow 0
		.amdhsa_exception_fp_ieee_inexact 0
		.amdhsa_exception_int_div_zero 0
	.end_amdhsa_kernel
	.section	.text._ZN9rocsparseL19gebsrmvn_2xn_kernelILj128ELj11ELj8EfEEvi20rocsparse_direction_NS_24const_host_device_scalarIT2_EEPKiS6_PKS3_S8_S4_PS3_21rocsparse_index_base_b,"axG",@progbits,_ZN9rocsparseL19gebsrmvn_2xn_kernelILj128ELj11ELj8EfEEvi20rocsparse_direction_NS_24const_host_device_scalarIT2_EEPKiS6_PKS3_S8_S4_PS3_21rocsparse_index_base_b,comdat
.Lfunc_end46:
	.size	_ZN9rocsparseL19gebsrmvn_2xn_kernelILj128ELj11ELj8EfEEvi20rocsparse_direction_NS_24const_host_device_scalarIT2_EEPKiS6_PKS3_S8_S4_PS3_21rocsparse_index_base_b, .Lfunc_end46-_ZN9rocsparseL19gebsrmvn_2xn_kernelILj128ELj11ELj8EfEEvi20rocsparse_direction_NS_24const_host_device_scalarIT2_EEPKiS6_PKS3_S8_S4_PS3_21rocsparse_index_base_b
                                        ; -- End function
	.section	.AMDGPU.csdata,"",@progbits
; Kernel info:
; codeLenInByte = 3112
; NumSgprs: 22
; NumVgprs: 48
; ScratchSize: 0
; MemoryBound: 0
; FloatMode: 240
; IeeeMode: 1
; LDSByteSize: 0 bytes/workgroup (compile time only)
; SGPRBlocks: 2
; VGPRBlocks: 5
; NumSGPRsForWavesPerEU: 22
; NumVGPRsForWavesPerEU: 48
; Occupancy: 16
; WaveLimiterHint : 1
; COMPUTE_PGM_RSRC2:SCRATCH_EN: 0
; COMPUTE_PGM_RSRC2:USER_SGPR: 15
; COMPUTE_PGM_RSRC2:TRAP_HANDLER: 0
; COMPUTE_PGM_RSRC2:TGID_X_EN: 1
; COMPUTE_PGM_RSRC2:TGID_Y_EN: 0
; COMPUTE_PGM_RSRC2:TGID_Z_EN: 0
; COMPUTE_PGM_RSRC2:TIDIG_COMP_CNT: 0
	.section	.text._ZN9rocsparseL19gebsrmvn_2xn_kernelILj128ELj11ELj16EfEEvi20rocsparse_direction_NS_24const_host_device_scalarIT2_EEPKiS6_PKS3_S8_S4_PS3_21rocsparse_index_base_b,"axG",@progbits,_ZN9rocsparseL19gebsrmvn_2xn_kernelILj128ELj11ELj16EfEEvi20rocsparse_direction_NS_24const_host_device_scalarIT2_EEPKiS6_PKS3_S8_S4_PS3_21rocsparse_index_base_b,comdat
	.globl	_ZN9rocsparseL19gebsrmvn_2xn_kernelILj128ELj11ELj16EfEEvi20rocsparse_direction_NS_24const_host_device_scalarIT2_EEPKiS6_PKS3_S8_S4_PS3_21rocsparse_index_base_b ; -- Begin function _ZN9rocsparseL19gebsrmvn_2xn_kernelILj128ELj11ELj16EfEEvi20rocsparse_direction_NS_24const_host_device_scalarIT2_EEPKiS6_PKS3_S8_S4_PS3_21rocsparse_index_base_b
	.p2align	8
	.type	_ZN9rocsparseL19gebsrmvn_2xn_kernelILj128ELj11ELj16EfEEvi20rocsparse_direction_NS_24const_host_device_scalarIT2_EEPKiS6_PKS3_S8_S4_PS3_21rocsparse_index_base_b,@function
_ZN9rocsparseL19gebsrmvn_2xn_kernelILj128ELj11ELj16EfEEvi20rocsparse_direction_NS_24const_host_device_scalarIT2_EEPKiS6_PKS3_S8_S4_PS3_21rocsparse_index_base_b: ; @_ZN9rocsparseL19gebsrmvn_2xn_kernelILj128ELj11ELj16EfEEvi20rocsparse_direction_NS_24const_host_device_scalarIT2_EEPKiS6_PKS3_S8_S4_PS3_21rocsparse_index_base_b
; %bb.0:
	s_clause 0x2
	s_load_b64 s[18:19], s[0:1], 0x40
	s_load_b64 s[16:17], s[0:1], 0x8
	;; [unrolled: 1-line block ×3, first 2 shown]
	s_waitcnt lgkmcnt(0)
	s_bitcmp1_b32 s19, 0
	s_cselect_b32 s2, -1, 0
	s_delay_alu instid0(SALU_CYCLE_1)
	s_and_b32 vcc_lo, exec_lo, s2
	s_xor_b32 s2, s2, -1
	s_cbranch_vccnz .LBB47_2
; %bb.1:
	s_load_b32 s16, s[16:17], 0x0
.LBB47_2:
	s_and_not1_b32 vcc_lo, exec_lo, s2
	s_cbranch_vccnz .LBB47_4
; %bb.3:
	s_load_b32 s12, s[12:13], 0x0
.LBB47_4:
	s_waitcnt lgkmcnt(0)
	v_cmp_eq_f32_e64 s2, s16, 0
	v_cmp_eq_f32_e64 s3, s12, 1.0
	s_delay_alu instid0(VALU_DEP_1) | instskip(NEXT) | instid1(SALU_CYCLE_1)
	s_and_b32 s2, s2, s3
	s_and_b32 vcc_lo, exec_lo, s2
	s_cbranch_vccnz .LBB47_23
; %bb.5:
	s_load_b64 s[2:3], s[0:1], 0x0
	v_lshrrev_b32_e32 v1, 4, v0
	s_delay_alu instid0(VALU_DEP_1) | instskip(SKIP_1) | instid1(VALU_DEP_1)
	v_lshl_or_b32 v1, s15, 3, v1
	s_waitcnt lgkmcnt(0)
	v_cmp_gt_i32_e32 vcc_lo, s2, v1
	s_and_saveexec_b32 s2, vcc_lo
	s_cbranch_execz .LBB47_23
; %bb.6:
	s_load_b256 s[4:11], s[0:1], 0x10
	v_ashrrev_i32_e32 v2, 31, v1
	v_and_b32_e32 v0, 15, v0
	s_cmp_lg_u32 s3, 0
	s_delay_alu instid0(VALU_DEP_2) | instskip(SKIP_1) | instid1(VALU_DEP_1)
	v_lshlrev_b64 v[2:3], 2, v[1:2]
	s_waitcnt lgkmcnt(0)
	v_add_co_u32 v2, vcc_lo, s4, v2
	s_delay_alu instid0(VALU_DEP_2) | instskip(SKIP_4) | instid1(VALU_DEP_2)
	v_add_co_ci_u32_e32 v3, vcc_lo, s5, v3, vcc_lo
	global_load_b64 v[2:3], v[2:3], off
	s_waitcnt vmcnt(0)
	v_subrev_nc_u32_e32 v2, s18, v2
	v_subrev_nc_u32_e32 v11, s18, v3
	v_add_nc_u32_e32 v2, v2, v0
	s_delay_alu instid0(VALU_DEP_1)
	v_cmp_lt_i32_e64 s2, v2, v11
	s_cbranch_scc0 .LBB47_12
; %bb.7:
	v_dual_mov_b32 v9, 0 :: v_dual_mov_b32 v10, 0
	s_mov_b32 s3, 0
	s_delay_alu instid0(VALU_DEP_2)
	s_and_saveexec_b32 s4, s2
	s_cbranch_execz .LBB47_11
; %bb.8:
	v_mad_u64_u32 v[3:4], null, v2, 22, 20
	v_dual_mov_b32 v6, 0 :: v_dual_mov_b32 v7, v2
	v_dual_mov_b32 v9, 0 :: v_dual_mov_b32 v10, 0
	s_mov_b32 s5, 0
.LBB47_9:                               ; =>This Inner Loop Header: Depth=1
	s_delay_alu instid0(VALU_DEP_2) | instskip(NEXT) | instid1(VALU_DEP_1)
	v_ashrrev_i32_e32 v8, 31, v7
	v_lshlrev_b64 v[4:5], 2, v[7:8]
	v_add_nc_u32_e32 v7, 16, v7
	s_delay_alu instid0(VALU_DEP_2) | instskip(NEXT) | instid1(VALU_DEP_3)
	v_add_co_u32 v4, vcc_lo, s6, v4
	v_add_co_ci_u32_e32 v5, vcc_lo, s7, v5, vcc_lo
	global_load_b32 v8, v[4:5], off
	v_subrev_nc_u32_e32 v5, 20, v3
	v_mov_b32_e32 v4, v6
	s_delay_alu instid0(VALU_DEP_2) | instskip(SKIP_1) | instid1(VALU_DEP_3)
	v_lshlrev_b64 v[14:15], 2, v[5:6]
	v_subrev_nc_u32_e32 v5, 18, v3
	v_lshlrev_b64 v[16:17], 2, v[3:4]
	s_delay_alu instid0(VALU_DEP_2) | instskip(NEXT) | instid1(VALU_DEP_4)
	v_lshlrev_b64 v[4:5], 2, v[5:6]
	v_add_co_u32 v14, vcc_lo, s8, v14
	v_add_co_ci_u32_e32 v15, vcc_lo, s9, v15, vcc_lo
	s_delay_alu instid0(VALU_DEP_4)
	v_add_co_u32 v16, vcc_lo, s8, v16
	v_add_co_ci_u32_e32 v17, vcc_lo, s9, v17, vcc_lo
	v_add_co_u32 v4, vcc_lo, s8, v4
	v_add_co_ci_u32_e32 v5, vcc_lo, s9, v5, vcc_lo
	s_clause 0x1
	global_load_b64 v[14:15], v[14:15], off
	global_load_b64 v[18:19], v[4:5], off
	v_mov_b32_e32 v13, v6
	s_waitcnt vmcnt(2)
	v_subrev_nc_u32_e32 v4, s18, v8
	s_delay_alu instid0(VALU_DEP_1) | instskip(NEXT) | instid1(VALU_DEP_1)
	v_mul_lo_u32 v12, v4, 11
	v_add_nc_u32_e32 v5, 1, v12
	v_lshlrev_b64 v[20:21], 2, v[12:13]
	s_delay_alu instid0(VALU_DEP_2) | instskip(NEXT) | instid1(VALU_DEP_2)
	v_lshlrev_b64 v[22:23], 2, v[5:6]
	v_add_co_u32 v20, vcc_lo, s10, v20
	s_delay_alu instid0(VALU_DEP_3) | instskip(NEXT) | instid1(VALU_DEP_3)
	v_add_co_ci_u32_e32 v21, vcc_lo, s11, v21, vcc_lo
	v_add_co_u32 v22, vcc_lo, s10, v22
	s_delay_alu instid0(VALU_DEP_4)
	v_add_co_ci_u32_e32 v23, vcc_lo, s11, v23, vcc_lo
	s_clause 0x1
	global_load_b32 v8, v[20:21], off
	global_load_b32 v40, v[22:23], off
	s_waitcnt vmcnt(1)
	v_dual_fmac_f32 v10, v15, v8 :: v_dual_add_nc_u32 v5, -16, v3
	v_fmac_f32_e32 v9, v14, v8
	s_waitcnt vmcnt(0)
	s_delay_alu instid0(VALU_DEP_2) | instskip(NEXT) | instid1(VALU_DEP_3)
	v_fmac_f32_e32 v10, v19, v40
	v_lshlrev_b64 v[24:25], 2, v[5:6]
	s_delay_alu instid0(VALU_DEP_3) | instskip(NEXT) | instid1(VALU_DEP_2)
	v_fmac_f32_e32 v9, v18, v40
	v_add_co_u32 v22, vcc_lo, s8, v24
	s_delay_alu instid0(VALU_DEP_3) | instskip(SKIP_2) | instid1(VALU_DEP_1)
	v_add_co_ci_u32_e32 v23, vcc_lo, s9, v25, vcc_lo
	global_load_b64 v[22:23], v[22:23], off
	v_add_nc_u32_e32 v5, 2, v12
	v_lshlrev_b64 v[20:21], 2, v[5:6]
	v_add_nc_u32_e32 v5, -14, v3
	s_delay_alu instid0(VALU_DEP_1) | instskip(SKIP_1) | instid1(VALU_DEP_4)
	v_lshlrev_b64 v[24:25], 2, v[5:6]
	v_add_nc_u32_e32 v5, 3, v12
	v_add_co_u32 v20, vcc_lo, s10, v20
	v_add_co_ci_u32_e32 v21, vcc_lo, s11, v21, vcc_lo
	s_delay_alu instid0(VALU_DEP_3)
	v_lshlrev_b64 v[26:27], 2, v[5:6]
	v_add_nc_u32_e32 v5, -12, v3
	global_load_b32 v41, v[20:21], off
	v_add_co_u32 v20, vcc_lo, s8, v24
	v_add_co_ci_u32_e32 v21, vcc_lo, s9, v25, vcc_lo
	v_lshlrev_b64 v[24:25], 2, v[5:6]
	v_add_nc_u32_e32 v5, 4, v12
	v_add_co_u32 v26, vcc_lo, s10, v26
	v_add_co_ci_u32_e32 v27, vcc_lo, s11, v27, vcc_lo
	s_delay_alu instid0(VALU_DEP_3) | instskip(SKIP_3) | instid1(VALU_DEP_4)
	v_lshlrev_b64 v[28:29], 2, v[5:6]
	v_add_co_u32 v24, vcc_lo, s8, v24
	v_add_co_ci_u32_e32 v25, vcc_lo, s9, v25, vcc_lo
	v_add_nc_u32_e32 v5, -10, v3
	v_add_co_u32 v28, vcc_lo, s10, v28
	v_add_co_ci_u32_e32 v29, vcc_lo, s11, v29, vcc_lo
	global_load_b32 v42, v[26:27], off
	s_clause 0x1
	global_load_b64 v[24:25], v[24:25], off
	global_load_b64 v[20:21], v[20:21], off
	global_load_b32 v43, v[28:29], off
	v_lshlrev_b64 v[26:27], 2, v[5:6]
	v_add_nc_u32_e32 v5, 5, v12
	s_delay_alu instid0(VALU_DEP_1) | instskip(SKIP_1) | instid1(VALU_DEP_4)
	v_lshlrev_b64 v[30:31], 2, v[5:6]
	v_add_nc_u32_e32 v5, -8, v3
	v_add_co_u32 v26, vcc_lo, s8, v26
	v_add_co_ci_u32_e32 v27, vcc_lo, s9, v27, vcc_lo
	s_delay_alu instid0(VALU_DEP_3) | instskip(SKIP_3) | instid1(VALU_DEP_3)
	v_lshlrev_b64 v[28:29], 2, v[5:6]
	v_add_nc_u32_e32 v5, 6, v12
	v_add_co_u32 v30, vcc_lo, s10, v30
	v_add_co_ci_u32_e32 v31, vcc_lo, s11, v31, vcc_lo
	v_lshlrev_b64 v[32:33], 2, v[5:6]
	v_add_co_u32 v28, vcc_lo, s8, v28
	v_add_co_ci_u32_e32 v29, vcc_lo, s9, v29, vcc_lo
	v_add_nc_u32_e32 v5, -6, v3
	s_delay_alu instid0(VALU_DEP_4)
	v_add_co_u32 v32, vcc_lo, s10, v32
	v_add_co_ci_u32_e32 v33, vcc_lo, s11, v33, vcc_lo
	global_load_b32 v44, v[30:31], off
	s_clause 0x1
	global_load_b64 v[26:27], v[26:27], off
	global_load_b64 v[28:29], v[28:29], off
	global_load_b32 v45, v[32:33], off
	v_lshlrev_b64 v[30:31], 2, v[5:6]
	v_add_nc_u32_e32 v5, 7, v12
	s_delay_alu instid0(VALU_DEP_1) | instskip(SKIP_1) | instid1(VALU_DEP_4)
	v_lshlrev_b64 v[34:35], 2, v[5:6]
	v_add_nc_u32_e32 v5, -4, v3
	v_add_co_u32 v30, vcc_lo, s8, v30
	v_add_co_ci_u32_e32 v31, vcc_lo, s9, v31, vcc_lo
	s_delay_alu instid0(VALU_DEP_3) | instskip(SKIP_3) | instid1(VALU_DEP_3)
	v_lshlrev_b64 v[32:33], 2, v[5:6]
	v_add_nc_u32_e32 v5, 8, v12
	v_add_co_u32 v34, vcc_lo, s10, v34
	v_add_co_ci_u32_e32 v35, vcc_lo, s11, v35, vcc_lo
	v_lshlrev_b64 v[36:37], 2, v[5:6]
	v_add_co_u32 v32, vcc_lo, s8, v32
	v_add_co_ci_u32_e32 v33, vcc_lo, s9, v33, vcc_lo
	v_add_nc_u32_e32 v5, -2, v3
	s_delay_alu instid0(VALU_DEP_4)
	v_add_co_u32 v36, vcc_lo, s10, v36
	v_add_co_ci_u32_e32 v37, vcc_lo, s11, v37, vcc_lo
	global_load_b32 v46, v[34:35], off
	s_clause 0x1
	global_load_b64 v[30:31], v[30:31], off
	global_load_b64 v[32:33], v[32:33], off
	global_load_b32 v36, v[36:37], off
	v_lshlrev_b64 v[34:35], 2, v[5:6]
	v_add_nc_u32_e32 v5, 9, v12
	v_add_nc_u32_e32 v3, 0x160, v3
	s_delay_alu instid0(VALU_DEP_2) | instskip(SKIP_3) | instid1(VALU_DEP_3)
	v_lshlrev_b64 v[38:39], 2, v[5:6]
	v_add_nc_u32_e32 v5, 10, v12
	v_add_co_u32 v12, vcc_lo, s8, v34
	v_add_co_ci_u32_e32 v13, vcc_lo, s9, v35, vcc_lo
	v_lshlrev_b64 v[4:5], 2, v[5:6]
	v_add_co_u32 v34, vcc_lo, s10, v38
	v_add_co_ci_u32_e32 v35, vcc_lo, s11, v39, vcc_lo
	global_load_b64 v[12:13], v[12:13], off
	global_load_b32 v34, v[34:35], off
	v_add_co_u32 v4, vcc_lo, s10, v4
	v_add_co_ci_u32_e32 v5, vcc_lo, s11, v5, vcc_lo
	global_load_b64 v[16:17], v[16:17], off
	global_load_b32 v4, v[4:5], off
	v_cmp_ge_i32_e32 vcc_lo, v7, v11
	s_or_b32 s5, vcc_lo, s5
	s_waitcnt vmcnt(16)
	v_fmac_f32_e32 v9, v22, v41
	s_waitcnt vmcnt(13)
	s_delay_alu instid0(VALU_DEP_1) | instskip(SKIP_1) | instid1(VALU_DEP_1)
	v_dual_fmac_f32 v10, v23, v41 :: v_dual_fmac_f32 v9, v20, v42
	s_waitcnt vmcnt(12)
	v_dual_fmac_f32 v10, v21, v42 :: v_dual_fmac_f32 v9, v24, v43
	s_waitcnt vmcnt(10)
	s_delay_alu instid0(VALU_DEP_1) | instskip(SKIP_1) | instid1(VALU_DEP_1)
	v_dual_fmac_f32 v10, v25, v43 :: v_dual_fmac_f32 v9, v26, v44
	s_waitcnt vmcnt(8)
	v_dual_fmac_f32 v10, v27, v44 :: v_dual_fmac_f32 v9, v28, v45
	;; [unrolled: 5-line block ×4, first 2 shown]
	s_delay_alu instid0(VALU_DEP_1)
	v_fmac_f32_e32 v10, v17, v4
	s_and_not1_b32 exec_lo, exec_lo, s5
	s_cbranch_execnz .LBB47_9
; %bb.10:
	s_or_b32 exec_lo, exec_lo, s5
.LBB47_11:
	s_delay_alu instid0(SALU_CYCLE_1) | instskip(NEXT) | instid1(SALU_CYCLE_1)
	s_or_b32 exec_lo, exec_lo, s4
	s_and_not1_b32 vcc_lo, exec_lo, s3
	s_cbranch_vccz .LBB47_13
	s_branch .LBB47_18
.LBB47_12:
                                        ; implicit-def: $vgpr9
                                        ; implicit-def: $vgpr10
.LBB47_13:
	v_dual_mov_b32 v9, 0 :: v_dual_mov_b32 v10, 0
	s_delay_alu instid0(VALU_DEP_2)
	s_and_saveexec_b32 s3, s2
	s_cbranch_execz .LBB47_17
; %bb.14:
	v_mad_u64_u32 v[4:5], null, v2, 22, 21
	v_dual_mov_b32 v7, 0 :: v_dual_mov_b32 v10, 0
	v_mov_b32_e32 v9, 0
	s_mov_b32 s2, 0
.LBB47_15:                              ; =>This Inner Loop Header: Depth=1
	v_ashrrev_i32_e32 v3, 31, v2
	s_delay_alu instid0(VALU_DEP_3) | instskip(SKIP_1) | instid1(VALU_DEP_3)
	v_dual_mov_b32 v13, v7 :: v_dual_add_nc_u32 v12, -10, v4
	v_mov_b32_e32 v14, v7
	v_lshlrev_b64 v[5:6], 2, v[2:3]
	v_add_nc_u32_e32 v2, 16, v2
	s_delay_alu instid0(VALU_DEP_4) | instskip(NEXT) | instid1(VALU_DEP_3)
	v_lshlrev_b64 v[12:13], 2, v[12:13]
	v_add_co_u32 v5, vcc_lo, s6, v5
	s_delay_alu instid0(VALU_DEP_4) | instskip(SKIP_2) | instid1(VALU_DEP_1)
	v_add_co_ci_u32_e32 v6, vcc_lo, s7, v6, vcc_lo
	global_load_b32 v3, v[5:6], off
	v_subrev_nc_u32_e32 v6, 21, v4
	v_lshlrev_b64 v[15:16], 2, v[6:7]
	s_delay_alu instid0(VALU_DEP_1) | instskip(NEXT) | instid1(VALU_DEP_2)
	v_add_co_u32 v15, vcc_lo, s8, v15
	v_add_co_ci_u32_e32 v16, vcc_lo, s9, v16, vcc_lo
	v_add_co_u32 v12, vcc_lo, s8, v12
	v_add_co_ci_u32_e32 v13, vcc_lo, s9, v13, vcc_lo
	s_clause 0x1
	global_load_b64 v[15:16], v[15:16], off
	global_load_b32 v8, v[12:13], off
	s_waitcnt vmcnt(2)
	v_subrev_nc_u32_e32 v3, s18, v3
	s_delay_alu instid0(VALU_DEP_1) | instskip(SKIP_1) | instid1(VALU_DEP_1)
	v_mul_lo_u32 v13, v3, 11
	v_mov_b32_e32 v5, v7
	v_lshlrev_b64 v[5:6], 2, v[4:5]
	s_delay_alu instid0(VALU_DEP_3) | instskip(NEXT) | instid1(VALU_DEP_2)
	v_lshlrev_b64 v[19:20], 2, v[13:14]
	v_add_co_u32 v17, vcc_lo, s8, v5
	s_delay_alu instid0(VALU_DEP_3) | instskip(SKIP_1) | instid1(VALU_DEP_4)
	v_add_co_ci_u32_e32 v18, vcc_lo, s9, v6, vcc_lo
	v_add_nc_u32_e32 v6, 1, v13
	v_add_co_u32 v19, vcc_lo, s10, v19
	v_add_co_ci_u32_e32 v20, vcc_lo, s11, v20, vcc_lo
	s_delay_alu instid0(VALU_DEP_3)
	v_lshlrev_b64 v[21:22], 2, v[6:7]
	global_load_b32 v3, v[19:20], off
	v_add_nc_u32_e32 v6, -9, v4
	v_add_co_u32 v19, vcc_lo, s10, v21
	v_add_co_ci_u32_e32 v20, vcc_lo, s11, v22, vcc_lo
	global_load_b32 v14, v[19:20], off
	s_waitcnt vmcnt(1)
	v_fmac_f32_e32 v9, v15, v3
	v_lshlrev_b64 v[23:24], 2, v[6:7]
	v_subrev_nc_u32_e32 v6, 19, v4
	v_fmac_f32_e32 v10, v8, v3
	s_delay_alu instid0(VALU_DEP_2)
	v_lshlrev_b64 v[21:22], 2, v[6:7]
	v_add_nc_u32_e32 v6, 2, v13
	v_add_co_u32 v23, vcc_lo, s8, v23
	s_waitcnt vmcnt(0)
	v_fmac_f32_e32 v9, v16, v14
	v_add_co_ci_u32_e32 v24, vcc_lo, s9, v24, vcc_lo
	v_lshlrev_b64 v[19:20], 2, v[6:7]
	v_add_co_u32 v21, vcc_lo, s8, v21
	v_add_nc_u32_e32 v6, -8, v4
	v_add_co_ci_u32_e32 v22, vcc_lo, s9, v22, vcc_lo
	s_delay_alu instid0(VALU_DEP_4)
	v_add_co_u32 v19, vcc_lo, s10, v19
	s_clause 0x1
	global_load_b32 v25, v[23:24], off
	global_load_b32 v26, v[21:22], off
	v_lshlrev_b64 v[23:24], 2, v[6:7]
	v_add_co_ci_u32_e32 v20, vcc_lo, s11, v20, vcc_lo
	v_subrev_nc_u32_e32 v6, 18, v4
	global_load_b32 v27, v[19:20], off
	v_add_co_u32 v19, vcc_lo, s8, v23
	v_add_co_ci_u32_e32 v20, vcc_lo, s9, v24, vcc_lo
	global_load_b32 v28, v[19:20], off
	v_lshlrev_b64 v[21:22], 2, v[6:7]
	v_add_nc_u32_e32 v6, 3, v13
	s_delay_alu instid0(VALU_DEP_2) | instskip(NEXT) | instid1(VALU_DEP_2)
	v_add_co_u32 v21, vcc_lo, s8, v21
	v_lshlrev_b64 v[23:24], 2, v[6:7]
	s_delay_alu instid0(VALU_DEP_4)
	v_add_co_ci_u32_e32 v22, vcc_lo, s9, v22, vcc_lo
	global_load_b32 v29, v[21:22], off
	v_add_co_u32 v21, vcc_lo, s10, v23
	v_add_co_ci_u32_e32 v22, vcc_lo, s11, v24, vcc_lo
	global_load_b32 v30, v[21:22], off
	s_waitcnt vmcnt(3)
	v_dual_fmac_f32 v10, v25, v14 :: v_dual_fmac_f32 v9, v26, v27
	s_waitcnt vmcnt(0)
	s_delay_alu instid0(VALU_DEP_1) | instskip(SKIP_1) | instid1(VALU_DEP_1)
	v_dual_fmac_f32 v10, v28, v27 :: v_dual_fmac_f32 v9, v29, v30
	v_add_nc_u32_e32 v6, -7, v4
	v_lshlrev_b64 v[19:20], 2, v[6:7]
	v_subrev_nc_u32_e32 v6, 17, v4
	s_delay_alu instid0(VALU_DEP_1) | instskip(SKIP_1) | instid1(VALU_DEP_4)
	v_lshlrev_b64 v[23:24], 2, v[6:7]
	v_add_nc_u32_e32 v6, 4, v13
	v_add_co_u32 v19, vcc_lo, s8, v19
	v_add_co_ci_u32_e32 v20, vcc_lo, s9, v20, vcc_lo
	s_delay_alu instid0(VALU_DEP_3)
	v_lshlrev_b64 v[21:22], 2, v[6:7]
	v_add_nc_u32_e32 v6, -6, v4
	global_load_b32 v31, v[19:20], off
	v_add_co_u32 v19, vcc_lo, s8, v23
	v_add_co_ci_u32_e32 v20, vcc_lo, s9, v24, vcc_lo
	v_lshlrev_b64 v[23:24], 2, v[6:7]
	v_add_nc_u32_e32 v6, -16, v4
	v_add_co_u32 v21, vcc_lo, s10, v21
	v_add_co_ci_u32_e32 v22, vcc_lo, s11, v22, vcc_lo
	global_load_b32 v32, v[19:20], off
	v_lshlrev_b64 v[19:20], 2, v[6:7]
	v_add_nc_u32_e32 v6, 5, v13
	global_load_b32 v33, v[21:22], off
	v_add_co_u32 v21, vcc_lo, s8, v23
	v_add_co_ci_u32_e32 v22, vcc_lo, s9, v24, vcc_lo
	v_add_co_u32 v19, vcc_lo, s8, v19
	v_lshlrev_b64 v[23:24], 2, v[6:7]
	v_add_nc_u32_e32 v6, -5, v4
	v_add_co_ci_u32_e32 v20, vcc_lo, s9, v20, vcc_lo
	s_clause 0x1
	global_load_b32 v34, v[21:22], off
	global_load_b32 v35, v[19:20], off
	v_lshlrev_b64 v[21:22], 2, v[6:7]
	v_add_nc_u32_e32 v6, -15, v4
	v_add_co_u32 v19, vcc_lo, s10, v23
	v_add_co_ci_u32_e32 v20, vcc_lo, s11, v24, vcc_lo
	s_delay_alu instid0(VALU_DEP_3)
	v_lshlrev_b64 v[23:24], 2, v[6:7]
	v_add_nc_u32_e32 v6, 6, v13
	v_add_co_u32 v21, vcc_lo, s8, v21
	v_add_co_ci_u32_e32 v22, vcc_lo, s9, v22, vcc_lo
	global_load_b32 v36, v[19:20], off
	v_lshlrev_b64 v[19:20], 2, v[6:7]
	v_add_nc_u32_e32 v6, -4, v4
	global_load_b32 v37, v[21:22], off
	v_add_co_u32 v21, vcc_lo, s8, v23
	v_add_co_ci_u32_e32 v22, vcc_lo, s9, v24, vcc_lo
	v_add_co_u32 v19, vcc_lo, s10, v19
	v_lshlrev_b64 v[23:24], 2, v[6:7]
	v_add_co_ci_u32_e32 v20, vcc_lo, s11, v20, vcc_lo
	v_add_nc_u32_e32 v6, -14, v4
	global_load_b32 v38, v[21:22], off
	global_load_b32 v39, v[19:20], off
	v_add_co_u32 v19, vcc_lo, s8, v23
	v_add_co_ci_u32_e32 v20, vcc_lo, s9, v24, vcc_lo
	global_load_b32 v40, v[19:20], off
	v_lshlrev_b64 v[21:22], 2, v[6:7]
	v_add_nc_u32_e32 v6, 7, v13
	s_delay_alu instid0(VALU_DEP_1) | instskip(SKIP_1) | instid1(VALU_DEP_4)
	v_lshlrev_b64 v[23:24], 2, v[6:7]
	v_add_nc_u32_e32 v6, -3, v4
	v_add_co_u32 v21, vcc_lo, s8, v21
	v_add_co_ci_u32_e32 v22, vcc_lo, s9, v22, vcc_lo
	s_delay_alu instid0(VALU_DEP_3)
	v_lshlrev_b64 v[19:20], 2, v[6:7]
	v_add_nc_u32_e32 v6, -13, v4
	global_load_b32 v41, v[21:22], off
	v_add_co_u32 v21, vcc_lo, s10, v23
	v_add_co_ci_u32_e32 v22, vcc_lo, s11, v24, vcc_lo
	v_lshlrev_b64 v[23:24], 2, v[6:7]
	v_add_nc_u32_e32 v6, 8, v13
	v_add_co_u32 v19, vcc_lo, s8, v19
	v_add_co_ci_u32_e32 v20, vcc_lo, s9, v20, vcc_lo
	global_load_b32 v42, v[21:22], off
	v_lshlrev_b64 v[21:22], 2, v[6:7]
	v_add_nc_u32_e32 v6, -2, v4
	global_load_b32 v43, v[19:20], off
	v_add_co_u32 v19, vcc_lo, s8, v23
	v_add_co_ci_u32_e32 v20, vcc_lo, s9, v24, vcc_lo
	v_lshlrev_b64 v[23:24], 2, v[6:7]
	v_add_nc_u32_e32 v6, -12, v4
	v_add_co_u32 v21, vcc_lo, s10, v21
	v_add_co_ci_u32_e32 v22, vcc_lo, s11, v22, vcc_lo
	global_load_b32 v44, v[19:20], off
	v_lshlrev_b64 v[19:20], 2, v[6:7]
	v_add_nc_u32_e32 v6, 9, v13
	global_load_b32 v45, v[21:22], off
	v_add_co_u32 v21, vcc_lo, s8, v23
	v_add_co_ci_u32_e32 v22, vcc_lo, s9, v24, vcc_lo
	v_add_co_u32 v19, vcc_lo, s8, v19
	v_lshlrev_b64 v[23:24], 2, v[6:7]
	v_add_nc_u32_e32 v6, -1, v4
	v_add_co_ci_u32_e32 v20, vcc_lo, s9, v20, vcc_lo
	s_clause 0x1
	global_load_b32 v46, v[21:22], off
	global_load_b32 v47, v[19:20], off
	v_lshlrev_b64 v[21:22], 2, v[6:7]
	v_add_nc_u32_e32 v6, -11, v4
	v_add_co_u32 v19, vcc_lo, s10, v23
	v_add_co_ci_u32_e32 v20, vcc_lo, s11, v24, vcc_lo
	s_delay_alu instid0(VALU_DEP_3) | instskip(SKIP_3) | instid1(VALU_DEP_3)
	v_lshlrev_b64 v[23:24], 2, v[6:7]
	v_add_nc_u32_e32 v6, 10, v13
	v_add_co_u32 v12, vcc_lo, s8, v21
	v_add_co_ci_u32_e32 v13, vcc_lo, s9, v22, vcc_lo
	v_lshlrev_b64 v[5:6], 2, v[6:7]
	global_load_b32 v19, v[19:20], off
	v_add_nc_u32_e32 v4, 0x160, v4
	global_load_b32 v20, v[12:13], off
	v_add_co_u32 v12, vcc_lo, s8, v23
	v_add_co_ci_u32_e32 v13, vcc_lo, s9, v24, vcc_lo
	v_add_co_u32 v5, vcc_lo, s10, v5
	v_add_co_ci_u32_e32 v6, vcc_lo, s11, v6, vcc_lo
	s_clause 0x1
	global_load_b32 v17, v[17:18], off
	global_load_b32 v12, v[12:13], off
	;; [unrolled: 1-line block ×3, first 2 shown]
	v_cmp_ge_i32_e32 vcc_lo, v2, v11
	s_or_b32 s2, vcc_lo, s2
	s_waitcnt vmcnt(19)
	v_dual_fmac_f32 v10, v31, v30 :: v_dual_fmac_f32 v9, v32, v33
	s_waitcnt vmcnt(16)
	s_delay_alu instid0(VALU_DEP_1) | instskip(SKIP_1) | instid1(VALU_DEP_1)
	v_dual_fmac_f32 v10, v34, v33 :: v_dual_fmac_f32 v9, v35, v36
	s_waitcnt vmcnt(13)
	v_dual_fmac_f32 v10, v37, v36 :: v_dual_fmac_f32 v9, v38, v39
	s_waitcnt vmcnt(10)
	s_delay_alu instid0(VALU_DEP_1) | instskip(SKIP_1) | instid1(VALU_DEP_1)
	v_dual_fmac_f32 v10, v40, v39 :: v_dual_fmac_f32 v9, v41, v42
	;; [unrolled: 5-line block ×3, first 2 shown]
	s_waitcnt vmcnt(3)
	v_fmac_f32_e32 v10, v20, v19
	s_waitcnt vmcnt(0)
	s_delay_alu instid0(VALU_DEP_2) | instskip(NEXT) | instid1(VALU_DEP_2)
	v_fmac_f32_e32 v9, v12, v5
	v_fmac_f32_e32 v10, v17, v5
	s_and_not1_b32 exec_lo, exec_lo, s2
	s_cbranch_execnz .LBB47_15
; %bb.16:
	s_or_b32 exec_lo, exec_lo, s2
.LBB47_17:
	s_delay_alu instid0(SALU_CYCLE_1)
	s_or_b32 exec_lo, exec_lo, s3
.LBB47_18:
	v_mbcnt_lo_u32_b32 v2, -1, 0
	s_mov_b32 s2, -1
	s_delay_alu instid0(VALU_DEP_1) | instskip(SKIP_2) | instid1(VALU_DEP_3)
	v_xor_b32_e32 v3, 8, v2
	v_xor_b32_e32 v5, 4, v2
	;; [unrolled: 1-line block ×3, first 2 shown]
	v_cmp_gt_i32_e32 vcc_lo, 32, v3
	v_cndmask_b32_e32 v3, v2, v3, vcc_lo
	s_delay_alu instid0(VALU_DEP_4) | instskip(NEXT) | instid1(VALU_DEP_2)
	v_cmp_gt_i32_e32 vcc_lo, 32, v5
	v_lshlrev_b32_e32 v3, 2, v3
	v_cndmask_b32_e32 v5, v2, v5, vcc_lo
	v_cmp_gt_i32_e32 vcc_lo, 32, v7
	ds_bpermute_b32 v4, v3, v9
	v_lshlrev_b32_e32 v5, 2, v5
	v_cndmask_b32_e32 v7, v2, v7, vcc_lo
	s_waitcnt lgkmcnt(0)
	s_delay_alu instid0(VALU_DEP_1)
	v_dual_add_f32 v4, v9, v4 :: v_dual_lshlrev_b32 v7, 2, v7
	ds_bpermute_b32 v6, v5, v4
	s_waitcnt lgkmcnt(0)
	v_add_f32_e32 v4, v4, v6
	ds_bpermute_b32 v3, v3, v10
	s_waitcnt lgkmcnt(0)
	v_add_f32_e32 v3, v10, v3
	;; [unrolled: 3-line block ×3, first 2 shown]
	ds_bpermute_b32 v5, v7, v4
	ds_bpermute_b32 v6, v7, v3
	v_xor_b32_e32 v7, 1, v2
	s_delay_alu instid0(VALU_DEP_1) | instskip(SKIP_3) | instid1(VALU_DEP_2)
	v_cmp_gt_i32_e32 vcc_lo, 32, v7
	v_cndmask_b32_e32 v2, v2, v7, vcc_lo
	v_cmp_eq_u32_e32 vcc_lo, 15, v0
	s_waitcnt lgkmcnt(1)
	v_dual_add_f32 v2, v4, v5 :: v_dual_lshlrev_b32 v7, 2, v2
	s_waitcnt lgkmcnt(0)
	v_add_f32_e32 v3, v3, v6
	ds_bpermute_b32 v4, v7, v2
	ds_bpermute_b32 v5, v7, v3
	s_and_b32 exec_lo, exec_lo, vcc_lo
	s_cbranch_execz .LBB47_23
; %bb.19:
	s_load_b64 s[0:1], s[0:1], 0x38
	s_waitcnt lgkmcnt(0)
	v_dual_add_f32 v0, v2, v4 :: v_dual_add_f32 v3, v3, v5
	v_cmp_eq_f32_e64 s3, s12, 0
	s_delay_alu instid0(VALU_DEP_2) | instskip(SKIP_1) | instid1(VALU_DEP_3)
	v_dual_mul_f32 v2, s16, v0 :: v_dual_mul_f32 v3, s16, v3
	v_lshlrev_b32_e32 v0, 1, v1
	s_and_b32 vcc_lo, exec_lo, s3
	s_cbranch_vccz .LBB47_21
; %bb.20:
	s_delay_alu instid0(VALU_DEP_1) | instskip(SKIP_1) | instid1(VALU_DEP_1)
	v_ashrrev_i32_e32 v1, 31, v0
	s_mov_b32 s2, 0
	v_lshlrev_b64 v[4:5], 2, v[0:1]
	s_delay_alu instid0(VALU_DEP_1) | instskip(NEXT) | instid1(VALU_DEP_2)
	v_add_co_u32 v4, vcc_lo, s0, v4
	v_add_co_ci_u32_e32 v5, vcc_lo, s1, v5, vcc_lo
	global_store_b64 v[4:5], v[2:3], off
.LBB47_21:
	s_and_not1_b32 vcc_lo, exec_lo, s2
	s_cbranch_vccnz .LBB47_23
; %bb.22:
	v_ashrrev_i32_e32 v1, 31, v0
	s_delay_alu instid0(VALU_DEP_1) | instskip(NEXT) | instid1(VALU_DEP_1)
	v_lshlrev_b64 v[0:1], 2, v[0:1]
	v_add_co_u32 v0, vcc_lo, s0, v0
	s_delay_alu instid0(VALU_DEP_2)
	v_add_co_ci_u32_e32 v1, vcc_lo, s1, v1, vcc_lo
	global_load_b64 v[4:5], v[0:1], off
	s_waitcnt vmcnt(0)
	v_dual_fmac_f32 v2, s12, v4 :: v_dual_fmac_f32 v3, s12, v5
	global_store_b64 v[0:1], v[2:3], off
.LBB47_23:
	s_nop 0
	s_sendmsg sendmsg(MSG_DEALLOC_VGPRS)
	s_endpgm
	.section	.rodata,"a",@progbits
	.p2align	6, 0x0
	.amdhsa_kernel _ZN9rocsparseL19gebsrmvn_2xn_kernelILj128ELj11ELj16EfEEvi20rocsparse_direction_NS_24const_host_device_scalarIT2_EEPKiS6_PKS3_S8_S4_PS3_21rocsparse_index_base_b
		.amdhsa_group_segment_fixed_size 0
		.amdhsa_private_segment_fixed_size 0
		.amdhsa_kernarg_size 72
		.amdhsa_user_sgpr_count 15
		.amdhsa_user_sgpr_dispatch_ptr 0
		.amdhsa_user_sgpr_queue_ptr 0
		.amdhsa_user_sgpr_kernarg_segment_ptr 1
		.amdhsa_user_sgpr_dispatch_id 0
		.amdhsa_user_sgpr_private_segment_size 0
		.amdhsa_wavefront_size32 1
		.amdhsa_uses_dynamic_stack 0
		.amdhsa_enable_private_segment 0
		.amdhsa_system_sgpr_workgroup_id_x 1
		.amdhsa_system_sgpr_workgroup_id_y 0
		.amdhsa_system_sgpr_workgroup_id_z 0
		.amdhsa_system_sgpr_workgroup_info 0
		.amdhsa_system_vgpr_workitem_id 0
		.amdhsa_next_free_vgpr 48
		.amdhsa_next_free_sgpr 20
		.amdhsa_reserve_vcc 1
		.amdhsa_float_round_mode_32 0
		.amdhsa_float_round_mode_16_64 0
		.amdhsa_float_denorm_mode_32 3
		.amdhsa_float_denorm_mode_16_64 3
		.amdhsa_dx10_clamp 1
		.amdhsa_ieee_mode 1
		.amdhsa_fp16_overflow 0
		.amdhsa_workgroup_processor_mode 1
		.amdhsa_memory_ordered 1
		.amdhsa_forward_progress 0
		.amdhsa_shared_vgpr_count 0
		.amdhsa_exception_fp_ieee_invalid_op 0
		.amdhsa_exception_fp_denorm_src 0
		.amdhsa_exception_fp_ieee_div_zero 0
		.amdhsa_exception_fp_ieee_overflow 0
		.amdhsa_exception_fp_ieee_underflow 0
		.amdhsa_exception_fp_ieee_inexact 0
		.amdhsa_exception_int_div_zero 0
	.end_amdhsa_kernel
	.section	.text._ZN9rocsparseL19gebsrmvn_2xn_kernelILj128ELj11ELj16EfEEvi20rocsparse_direction_NS_24const_host_device_scalarIT2_EEPKiS6_PKS3_S8_S4_PS3_21rocsparse_index_base_b,"axG",@progbits,_ZN9rocsparseL19gebsrmvn_2xn_kernelILj128ELj11ELj16EfEEvi20rocsparse_direction_NS_24const_host_device_scalarIT2_EEPKiS6_PKS3_S8_S4_PS3_21rocsparse_index_base_b,comdat
.Lfunc_end47:
	.size	_ZN9rocsparseL19gebsrmvn_2xn_kernelILj128ELj11ELj16EfEEvi20rocsparse_direction_NS_24const_host_device_scalarIT2_EEPKiS6_PKS3_S8_S4_PS3_21rocsparse_index_base_b, .Lfunc_end47-_ZN9rocsparseL19gebsrmvn_2xn_kernelILj128ELj11ELj16EfEEvi20rocsparse_direction_NS_24const_host_device_scalarIT2_EEPKiS6_PKS3_S8_S4_PS3_21rocsparse_index_base_b
                                        ; -- End function
	.section	.AMDGPU.csdata,"",@progbits
; Kernel info:
; codeLenInByte = 3164
; NumSgprs: 22
; NumVgprs: 48
; ScratchSize: 0
; MemoryBound: 0
; FloatMode: 240
; IeeeMode: 1
; LDSByteSize: 0 bytes/workgroup (compile time only)
; SGPRBlocks: 2
; VGPRBlocks: 5
; NumSGPRsForWavesPerEU: 22
; NumVGPRsForWavesPerEU: 48
; Occupancy: 16
; WaveLimiterHint : 1
; COMPUTE_PGM_RSRC2:SCRATCH_EN: 0
; COMPUTE_PGM_RSRC2:USER_SGPR: 15
; COMPUTE_PGM_RSRC2:TRAP_HANDLER: 0
; COMPUTE_PGM_RSRC2:TGID_X_EN: 1
; COMPUTE_PGM_RSRC2:TGID_Y_EN: 0
; COMPUTE_PGM_RSRC2:TGID_Z_EN: 0
; COMPUTE_PGM_RSRC2:TIDIG_COMP_CNT: 0
	.section	.text._ZN9rocsparseL19gebsrmvn_2xn_kernelILj128ELj11ELj32EfEEvi20rocsparse_direction_NS_24const_host_device_scalarIT2_EEPKiS6_PKS3_S8_S4_PS3_21rocsparse_index_base_b,"axG",@progbits,_ZN9rocsparseL19gebsrmvn_2xn_kernelILj128ELj11ELj32EfEEvi20rocsparse_direction_NS_24const_host_device_scalarIT2_EEPKiS6_PKS3_S8_S4_PS3_21rocsparse_index_base_b,comdat
	.globl	_ZN9rocsparseL19gebsrmvn_2xn_kernelILj128ELj11ELj32EfEEvi20rocsparse_direction_NS_24const_host_device_scalarIT2_EEPKiS6_PKS3_S8_S4_PS3_21rocsparse_index_base_b ; -- Begin function _ZN9rocsparseL19gebsrmvn_2xn_kernelILj128ELj11ELj32EfEEvi20rocsparse_direction_NS_24const_host_device_scalarIT2_EEPKiS6_PKS3_S8_S4_PS3_21rocsparse_index_base_b
	.p2align	8
	.type	_ZN9rocsparseL19gebsrmvn_2xn_kernelILj128ELj11ELj32EfEEvi20rocsparse_direction_NS_24const_host_device_scalarIT2_EEPKiS6_PKS3_S8_S4_PS3_21rocsparse_index_base_b,@function
_ZN9rocsparseL19gebsrmvn_2xn_kernelILj128ELj11ELj32EfEEvi20rocsparse_direction_NS_24const_host_device_scalarIT2_EEPKiS6_PKS3_S8_S4_PS3_21rocsparse_index_base_b: ; @_ZN9rocsparseL19gebsrmvn_2xn_kernelILj128ELj11ELj32EfEEvi20rocsparse_direction_NS_24const_host_device_scalarIT2_EEPKiS6_PKS3_S8_S4_PS3_21rocsparse_index_base_b
; %bb.0:
	s_clause 0x2
	s_load_b64 s[18:19], s[0:1], 0x40
	s_load_b64 s[16:17], s[0:1], 0x8
	;; [unrolled: 1-line block ×3, first 2 shown]
	s_waitcnt lgkmcnt(0)
	s_bitcmp1_b32 s19, 0
	s_cselect_b32 s2, -1, 0
	s_delay_alu instid0(SALU_CYCLE_1)
	s_and_b32 vcc_lo, exec_lo, s2
	s_xor_b32 s2, s2, -1
	s_cbranch_vccnz .LBB48_2
; %bb.1:
	s_load_b32 s16, s[16:17], 0x0
.LBB48_2:
	s_and_not1_b32 vcc_lo, exec_lo, s2
	s_cbranch_vccnz .LBB48_4
; %bb.3:
	s_load_b32 s12, s[12:13], 0x0
.LBB48_4:
	s_waitcnt lgkmcnt(0)
	v_cmp_eq_f32_e64 s2, s16, 0
	v_cmp_eq_f32_e64 s3, s12, 1.0
	s_delay_alu instid0(VALU_DEP_1) | instskip(NEXT) | instid1(SALU_CYCLE_1)
	s_and_b32 s2, s2, s3
	s_and_b32 vcc_lo, exec_lo, s2
	s_cbranch_vccnz .LBB48_23
; %bb.5:
	s_load_b64 s[2:3], s[0:1], 0x0
	v_lshrrev_b32_e32 v1, 5, v0
	s_delay_alu instid0(VALU_DEP_1) | instskip(SKIP_1) | instid1(VALU_DEP_1)
	v_lshl_or_b32 v1, s15, 2, v1
	s_waitcnt lgkmcnt(0)
	v_cmp_gt_i32_e32 vcc_lo, s2, v1
	s_and_saveexec_b32 s2, vcc_lo
	s_cbranch_execz .LBB48_23
; %bb.6:
	s_load_b256 s[4:11], s[0:1], 0x10
	v_ashrrev_i32_e32 v2, 31, v1
	v_and_b32_e32 v0, 31, v0
	s_cmp_lg_u32 s3, 0
	s_delay_alu instid0(VALU_DEP_2) | instskip(SKIP_1) | instid1(VALU_DEP_1)
	v_lshlrev_b64 v[2:3], 2, v[1:2]
	s_waitcnt lgkmcnt(0)
	v_add_co_u32 v2, vcc_lo, s4, v2
	s_delay_alu instid0(VALU_DEP_2) | instskip(SKIP_4) | instid1(VALU_DEP_2)
	v_add_co_ci_u32_e32 v3, vcc_lo, s5, v3, vcc_lo
	global_load_b64 v[2:3], v[2:3], off
	s_waitcnt vmcnt(0)
	v_subrev_nc_u32_e32 v2, s18, v2
	v_subrev_nc_u32_e32 v11, s18, v3
	v_add_nc_u32_e32 v2, v2, v0
	s_delay_alu instid0(VALU_DEP_1)
	v_cmp_lt_i32_e64 s2, v2, v11
	s_cbranch_scc0 .LBB48_12
; %bb.7:
	v_dual_mov_b32 v9, 0 :: v_dual_mov_b32 v10, 0
	s_mov_b32 s3, 0
	s_delay_alu instid0(VALU_DEP_2)
	s_and_saveexec_b32 s4, s2
	s_cbranch_execz .LBB48_11
; %bb.8:
	v_mad_u64_u32 v[3:4], null, v2, 22, 20
	v_dual_mov_b32 v6, 0 :: v_dual_mov_b32 v7, v2
	v_dual_mov_b32 v9, 0 :: v_dual_mov_b32 v10, 0
	s_mov_b32 s5, 0
.LBB48_9:                               ; =>This Inner Loop Header: Depth=1
	s_delay_alu instid0(VALU_DEP_2) | instskip(NEXT) | instid1(VALU_DEP_1)
	v_ashrrev_i32_e32 v8, 31, v7
	v_lshlrev_b64 v[4:5], 2, v[7:8]
	v_add_nc_u32_e32 v7, 32, v7
	s_delay_alu instid0(VALU_DEP_2) | instskip(NEXT) | instid1(VALU_DEP_3)
	v_add_co_u32 v4, vcc_lo, s6, v4
	v_add_co_ci_u32_e32 v5, vcc_lo, s7, v5, vcc_lo
	global_load_b32 v8, v[4:5], off
	v_subrev_nc_u32_e32 v5, 20, v3
	v_mov_b32_e32 v4, v6
	s_delay_alu instid0(VALU_DEP_2) | instskip(SKIP_1) | instid1(VALU_DEP_3)
	v_lshlrev_b64 v[14:15], 2, v[5:6]
	v_subrev_nc_u32_e32 v5, 18, v3
	v_lshlrev_b64 v[16:17], 2, v[3:4]
	s_delay_alu instid0(VALU_DEP_2) | instskip(NEXT) | instid1(VALU_DEP_4)
	v_lshlrev_b64 v[4:5], 2, v[5:6]
	v_add_co_u32 v14, vcc_lo, s8, v14
	v_add_co_ci_u32_e32 v15, vcc_lo, s9, v15, vcc_lo
	s_delay_alu instid0(VALU_DEP_4)
	v_add_co_u32 v16, vcc_lo, s8, v16
	v_add_co_ci_u32_e32 v17, vcc_lo, s9, v17, vcc_lo
	v_add_co_u32 v4, vcc_lo, s8, v4
	v_add_co_ci_u32_e32 v5, vcc_lo, s9, v5, vcc_lo
	s_clause 0x1
	global_load_b64 v[14:15], v[14:15], off
	global_load_b64 v[18:19], v[4:5], off
	v_mov_b32_e32 v13, v6
	s_waitcnt vmcnt(2)
	v_subrev_nc_u32_e32 v4, s18, v8
	s_delay_alu instid0(VALU_DEP_1) | instskip(NEXT) | instid1(VALU_DEP_1)
	v_mul_lo_u32 v12, v4, 11
	v_add_nc_u32_e32 v5, 1, v12
	v_lshlrev_b64 v[20:21], 2, v[12:13]
	s_delay_alu instid0(VALU_DEP_2) | instskip(NEXT) | instid1(VALU_DEP_2)
	v_lshlrev_b64 v[22:23], 2, v[5:6]
	v_add_co_u32 v20, vcc_lo, s10, v20
	s_delay_alu instid0(VALU_DEP_3) | instskip(NEXT) | instid1(VALU_DEP_3)
	v_add_co_ci_u32_e32 v21, vcc_lo, s11, v21, vcc_lo
	v_add_co_u32 v22, vcc_lo, s10, v22
	s_delay_alu instid0(VALU_DEP_4)
	v_add_co_ci_u32_e32 v23, vcc_lo, s11, v23, vcc_lo
	s_clause 0x1
	global_load_b32 v8, v[20:21], off
	global_load_b32 v40, v[22:23], off
	s_waitcnt vmcnt(1)
	v_dual_fmac_f32 v10, v15, v8 :: v_dual_add_nc_u32 v5, -16, v3
	v_fmac_f32_e32 v9, v14, v8
	s_waitcnt vmcnt(0)
	s_delay_alu instid0(VALU_DEP_2) | instskip(NEXT) | instid1(VALU_DEP_3)
	v_fmac_f32_e32 v10, v19, v40
	v_lshlrev_b64 v[24:25], 2, v[5:6]
	s_delay_alu instid0(VALU_DEP_3) | instskip(NEXT) | instid1(VALU_DEP_2)
	v_fmac_f32_e32 v9, v18, v40
	v_add_co_u32 v22, vcc_lo, s8, v24
	s_delay_alu instid0(VALU_DEP_3) | instskip(SKIP_2) | instid1(VALU_DEP_1)
	v_add_co_ci_u32_e32 v23, vcc_lo, s9, v25, vcc_lo
	global_load_b64 v[22:23], v[22:23], off
	v_add_nc_u32_e32 v5, 2, v12
	v_lshlrev_b64 v[20:21], 2, v[5:6]
	v_add_nc_u32_e32 v5, -14, v3
	s_delay_alu instid0(VALU_DEP_1) | instskip(SKIP_1) | instid1(VALU_DEP_4)
	v_lshlrev_b64 v[24:25], 2, v[5:6]
	v_add_nc_u32_e32 v5, 3, v12
	v_add_co_u32 v20, vcc_lo, s10, v20
	v_add_co_ci_u32_e32 v21, vcc_lo, s11, v21, vcc_lo
	s_delay_alu instid0(VALU_DEP_3)
	v_lshlrev_b64 v[26:27], 2, v[5:6]
	v_add_nc_u32_e32 v5, -12, v3
	global_load_b32 v41, v[20:21], off
	v_add_co_u32 v20, vcc_lo, s8, v24
	v_add_co_ci_u32_e32 v21, vcc_lo, s9, v25, vcc_lo
	v_lshlrev_b64 v[24:25], 2, v[5:6]
	v_add_nc_u32_e32 v5, 4, v12
	v_add_co_u32 v26, vcc_lo, s10, v26
	v_add_co_ci_u32_e32 v27, vcc_lo, s11, v27, vcc_lo
	s_delay_alu instid0(VALU_DEP_3) | instskip(SKIP_3) | instid1(VALU_DEP_4)
	v_lshlrev_b64 v[28:29], 2, v[5:6]
	v_add_co_u32 v24, vcc_lo, s8, v24
	v_add_co_ci_u32_e32 v25, vcc_lo, s9, v25, vcc_lo
	v_add_nc_u32_e32 v5, -10, v3
	v_add_co_u32 v28, vcc_lo, s10, v28
	v_add_co_ci_u32_e32 v29, vcc_lo, s11, v29, vcc_lo
	global_load_b32 v42, v[26:27], off
	s_clause 0x1
	global_load_b64 v[24:25], v[24:25], off
	global_load_b64 v[20:21], v[20:21], off
	global_load_b32 v43, v[28:29], off
	v_lshlrev_b64 v[26:27], 2, v[5:6]
	v_add_nc_u32_e32 v5, 5, v12
	s_delay_alu instid0(VALU_DEP_1) | instskip(SKIP_1) | instid1(VALU_DEP_4)
	v_lshlrev_b64 v[30:31], 2, v[5:6]
	v_add_nc_u32_e32 v5, -8, v3
	v_add_co_u32 v26, vcc_lo, s8, v26
	v_add_co_ci_u32_e32 v27, vcc_lo, s9, v27, vcc_lo
	s_delay_alu instid0(VALU_DEP_3) | instskip(SKIP_3) | instid1(VALU_DEP_3)
	v_lshlrev_b64 v[28:29], 2, v[5:6]
	v_add_nc_u32_e32 v5, 6, v12
	v_add_co_u32 v30, vcc_lo, s10, v30
	v_add_co_ci_u32_e32 v31, vcc_lo, s11, v31, vcc_lo
	v_lshlrev_b64 v[32:33], 2, v[5:6]
	v_add_co_u32 v28, vcc_lo, s8, v28
	v_add_co_ci_u32_e32 v29, vcc_lo, s9, v29, vcc_lo
	v_add_nc_u32_e32 v5, -6, v3
	s_delay_alu instid0(VALU_DEP_4)
	v_add_co_u32 v32, vcc_lo, s10, v32
	v_add_co_ci_u32_e32 v33, vcc_lo, s11, v33, vcc_lo
	global_load_b32 v44, v[30:31], off
	s_clause 0x1
	global_load_b64 v[26:27], v[26:27], off
	global_load_b64 v[28:29], v[28:29], off
	global_load_b32 v45, v[32:33], off
	v_lshlrev_b64 v[30:31], 2, v[5:6]
	v_add_nc_u32_e32 v5, 7, v12
	s_delay_alu instid0(VALU_DEP_1) | instskip(SKIP_1) | instid1(VALU_DEP_4)
	v_lshlrev_b64 v[34:35], 2, v[5:6]
	v_add_nc_u32_e32 v5, -4, v3
	v_add_co_u32 v30, vcc_lo, s8, v30
	v_add_co_ci_u32_e32 v31, vcc_lo, s9, v31, vcc_lo
	s_delay_alu instid0(VALU_DEP_3) | instskip(SKIP_3) | instid1(VALU_DEP_3)
	v_lshlrev_b64 v[32:33], 2, v[5:6]
	v_add_nc_u32_e32 v5, 8, v12
	v_add_co_u32 v34, vcc_lo, s10, v34
	v_add_co_ci_u32_e32 v35, vcc_lo, s11, v35, vcc_lo
	v_lshlrev_b64 v[36:37], 2, v[5:6]
	v_add_co_u32 v32, vcc_lo, s8, v32
	v_add_co_ci_u32_e32 v33, vcc_lo, s9, v33, vcc_lo
	v_add_nc_u32_e32 v5, -2, v3
	s_delay_alu instid0(VALU_DEP_4)
	v_add_co_u32 v36, vcc_lo, s10, v36
	v_add_co_ci_u32_e32 v37, vcc_lo, s11, v37, vcc_lo
	global_load_b32 v46, v[34:35], off
	s_clause 0x1
	global_load_b64 v[30:31], v[30:31], off
	global_load_b64 v[32:33], v[32:33], off
	global_load_b32 v36, v[36:37], off
	v_lshlrev_b64 v[34:35], 2, v[5:6]
	v_add_nc_u32_e32 v5, 9, v12
	v_add_nc_u32_e32 v3, 0x2c0, v3
	s_delay_alu instid0(VALU_DEP_2) | instskip(SKIP_3) | instid1(VALU_DEP_3)
	v_lshlrev_b64 v[38:39], 2, v[5:6]
	v_add_nc_u32_e32 v5, 10, v12
	v_add_co_u32 v12, vcc_lo, s8, v34
	v_add_co_ci_u32_e32 v13, vcc_lo, s9, v35, vcc_lo
	v_lshlrev_b64 v[4:5], 2, v[5:6]
	v_add_co_u32 v34, vcc_lo, s10, v38
	v_add_co_ci_u32_e32 v35, vcc_lo, s11, v39, vcc_lo
	global_load_b64 v[12:13], v[12:13], off
	global_load_b32 v34, v[34:35], off
	v_add_co_u32 v4, vcc_lo, s10, v4
	v_add_co_ci_u32_e32 v5, vcc_lo, s11, v5, vcc_lo
	global_load_b64 v[16:17], v[16:17], off
	global_load_b32 v4, v[4:5], off
	v_cmp_ge_i32_e32 vcc_lo, v7, v11
	s_or_b32 s5, vcc_lo, s5
	s_waitcnt vmcnt(16)
	v_fmac_f32_e32 v9, v22, v41
	s_waitcnt vmcnt(13)
	s_delay_alu instid0(VALU_DEP_1) | instskip(SKIP_1) | instid1(VALU_DEP_1)
	v_dual_fmac_f32 v10, v23, v41 :: v_dual_fmac_f32 v9, v20, v42
	s_waitcnt vmcnt(12)
	v_dual_fmac_f32 v10, v21, v42 :: v_dual_fmac_f32 v9, v24, v43
	s_waitcnt vmcnt(10)
	s_delay_alu instid0(VALU_DEP_1) | instskip(SKIP_1) | instid1(VALU_DEP_1)
	v_dual_fmac_f32 v10, v25, v43 :: v_dual_fmac_f32 v9, v26, v44
	s_waitcnt vmcnt(8)
	v_dual_fmac_f32 v10, v27, v44 :: v_dual_fmac_f32 v9, v28, v45
	;; [unrolled: 5-line block ×4, first 2 shown]
	s_delay_alu instid0(VALU_DEP_1)
	v_fmac_f32_e32 v10, v17, v4
	s_and_not1_b32 exec_lo, exec_lo, s5
	s_cbranch_execnz .LBB48_9
; %bb.10:
	s_or_b32 exec_lo, exec_lo, s5
.LBB48_11:
	s_delay_alu instid0(SALU_CYCLE_1) | instskip(NEXT) | instid1(SALU_CYCLE_1)
	s_or_b32 exec_lo, exec_lo, s4
	s_and_not1_b32 vcc_lo, exec_lo, s3
	s_cbranch_vccz .LBB48_13
	s_branch .LBB48_18
.LBB48_12:
                                        ; implicit-def: $vgpr9
                                        ; implicit-def: $vgpr10
.LBB48_13:
	v_dual_mov_b32 v9, 0 :: v_dual_mov_b32 v10, 0
	s_delay_alu instid0(VALU_DEP_2)
	s_and_saveexec_b32 s3, s2
	s_cbranch_execz .LBB48_17
; %bb.14:
	v_mad_u64_u32 v[4:5], null, v2, 22, 21
	v_dual_mov_b32 v7, 0 :: v_dual_mov_b32 v10, 0
	v_mov_b32_e32 v9, 0
	s_mov_b32 s2, 0
.LBB48_15:                              ; =>This Inner Loop Header: Depth=1
	v_ashrrev_i32_e32 v3, 31, v2
	s_delay_alu instid0(VALU_DEP_3) | instskip(SKIP_1) | instid1(VALU_DEP_3)
	v_dual_mov_b32 v13, v7 :: v_dual_add_nc_u32 v12, -10, v4
	v_mov_b32_e32 v14, v7
	v_lshlrev_b64 v[5:6], 2, v[2:3]
	v_add_nc_u32_e32 v2, 32, v2
	s_delay_alu instid0(VALU_DEP_4) | instskip(NEXT) | instid1(VALU_DEP_3)
	v_lshlrev_b64 v[12:13], 2, v[12:13]
	v_add_co_u32 v5, vcc_lo, s6, v5
	s_delay_alu instid0(VALU_DEP_4) | instskip(SKIP_2) | instid1(VALU_DEP_1)
	v_add_co_ci_u32_e32 v6, vcc_lo, s7, v6, vcc_lo
	global_load_b32 v3, v[5:6], off
	v_subrev_nc_u32_e32 v6, 21, v4
	v_lshlrev_b64 v[15:16], 2, v[6:7]
	s_delay_alu instid0(VALU_DEP_1) | instskip(NEXT) | instid1(VALU_DEP_2)
	v_add_co_u32 v15, vcc_lo, s8, v15
	v_add_co_ci_u32_e32 v16, vcc_lo, s9, v16, vcc_lo
	v_add_co_u32 v12, vcc_lo, s8, v12
	v_add_co_ci_u32_e32 v13, vcc_lo, s9, v13, vcc_lo
	s_clause 0x1
	global_load_b64 v[15:16], v[15:16], off
	global_load_b32 v8, v[12:13], off
	s_waitcnt vmcnt(2)
	v_subrev_nc_u32_e32 v3, s18, v3
	s_delay_alu instid0(VALU_DEP_1) | instskip(SKIP_1) | instid1(VALU_DEP_1)
	v_mul_lo_u32 v13, v3, 11
	v_mov_b32_e32 v5, v7
	v_lshlrev_b64 v[5:6], 2, v[4:5]
	s_delay_alu instid0(VALU_DEP_3) | instskip(NEXT) | instid1(VALU_DEP_2)
	v_lshlrev_b64 v[19:20], 2, v[13:14]
	v_add_co_u32 v17, vcc_lo, s8, v5
	s_delay_alu instid0(VALU_DEP_3) | instskip(SKIP_1) | instid1(VALU_DEP_4)
	v_add_co_ci_u32_e32 v18, vcc_lo, s9, v6, vcc_lo
	v_add_nc_u32_e32 v6, 1, v13
	v_add_co_u32 v19, vcc_lo, s10, v19
	v_add_co_ci_u32_e32 v20, vcc_lo, s11, v20, vcc_lo
	s_delay_alu instid0(VALU_DEP_3)
	v_lshlrev_b64 v[21:22], 2, v[6:7]
	global_load_b32 v3, v[19:20], off
	v_add_nc_u32_e32 v6, -9, v4
	v_add_co_u32 v19, vcc_lo, s10, v21
	v_add_co_ci_u32_e32 v20, vcc_lo, s11, v22, vcc_lo
	global_load_b32 v14, v[19:20], off
	s_waitcnt vmcnt(1)
	v_fmac_f32_e32 v9, v15, v3
	v_lshlrev_b64 v[23:24], 2, v[6:7]
	v_subrev_nc_u32_e32 v6, 19, v4
	v_fmac_f32_e32 v10, v8, v3
	s_delay_alu instid0(VALU_DEP_2)
	v_lshlrev_b64 v[21:22], 2, v[6:7]
	v_add_nc_u32_e32 v6, 2, v13
	v_add_co_u32 v23, vcc_lo, s8, v23
	s_waitcnt vmcnt(0)
	v_fmac_f32_e32 v9, v16, v14
	v_add_co_ci_u32_e32 v24, vcc_lo, s9, v24, vcc_lo
	v_lshlrev_b64 v[19:20], 2, v[6:7]
	v_add_co_u32 v21, vcc_lo, s8, v21
	v_add_nc_u32_e32 v6, -8, v4
	v_add_co_ci_u32_e32 v22, vcc_lo, s9, v22, vcc_lo
	s_delay_alu instid0(VALU_DEP_4)
	v_add_co_u32 v19, vcc_lo, s10, v19
	s_clause 0x1
	global_load_b32 v25, v[23:24], off
	global_load_b32 v26, v[21:22], off
	v_lshlrev_b64 v[23:24], 2, v[6:7]
	v_add_co_ci_u32_e32 v20, vcc_lo, s11, v20, vcc_lo
	v_subrev_nc_u32_e32 v6, 18, v4
	global_load_b32 v27, v[19:20], off
	v_add_co_u32 v19, vcc_lo, s8, v23
	v_add_co_ci_u32_e32 v20, vcc_lo, s9, v24, vcc_lo
	global_load_b32 v28, v[19:20], off
	v_lshlrev_b64 v[21:22], 2, v[6:7]
	v_add_nc_u32_e32 v6, 3, v13
	s_delay_alu instid0(VALU_DEP_2) | instskip(NEXT) | instid1(VALU_DEP_2)
	v_add_co_u32 v21, vcc_lo, s8, v21
	v_lshlrev_b64 v[23:24], 2, v[6:7]
	s_delay_alu instid0(VALU_DEP_4)
	v_add_co_ci_u32_e32 v22, vcc_lo, s9, v22, vcc_lo
	global_load_b32 v29, v[21:22], off
	v_add_co_u32 v21, vcc_lo, s10, v23
	v_add_co_ci_u32_e32 v22, vcc_lo, s11, v24, vcc_lo
	global_load_b32 v30, v[21:22], off
	s_waitcnt vmcnt(3)
	v_dual_fmac_f32 v10, v25, v14 :: v_dual_fmac_f32 v9, v26, v27
	s_waitcnt vmcnt(0)
	s_delay_alu instid0(VALU_DEP_1) | instskip(SKIP_1) | instid1(VALU_DEP_1)
	v_dual_fmac_f32 v10, v28, v27 :: v_dual_fmac_f32 v9, v29, v30
	v_add_nc_u32_e32 v6, -7, v4
	v_lshlrev_b64 v[19:20], 2, v[6:7]
	v_subrev_nc_u32_e32 v6, 17, v4
	s_delay_alu instid0(VALU_DEP_1) | instskip(SKIP_1) | instid1(VALU_DEP_4)
	v_lshlrev_b64 v[23:24], 2, v[6:7]
	v_add_nc_u32_e32 v6, 4, v13
	v_add_co_u32 v19, vcc_lo, s8, v19
	v_add_co_ci_u32_e32 v20, vcc_lo, s9, v20, vcc_lo
	s_delay_alu instid0(VALU_DEP_3)
	v_lshlrev_b64 v[21:22], 2, v[6:7]
	v_add_nc_u32_e32 v6, -6, v4
	global_load_b32 v31, v[19:20], off
	v_add_co_u32 v19, vcc_lo, s8, v23
	v_add_co_ci_u32_e32 v20, vcc_lo, s9, v24, vcc_lo
	v_lshlrev_b64 v[23:24], 2, v[6:7]
	v_add_nc_u32_e32 v6, -16, v4
	v_add_co_u32 v21, vcc_lo, s10, v21
	v_add_co_ci_u32_e32 v22, vcc_lo, s11, v22, vcc_lo
	global_load_b32 v32, v[19:20], off
	v_lshlrev_b64 v[19:20], 2, v[6:7]
	v_add_nc_u32_e32 v6, 5, v13
	global_load_b32 v33, v[21:22], off
	v_add_co_u32 v21, vcc_lo, s8, v23
	v_add_co_ci_u32_e32 v22, vcc_lo, s9, v24, vcc_lo
	v_add_co_u32 v19, vcc_lo, s8, v19
	v_lshlrev_b64 v[23:24], 2, v[6:7]
	v_add_nc_u32_e32 v6, -5, v4
	v_add_co_ci_u32_e32 v20, vcc_lo, s9, v20, vcc_lo
	s_clause 0x1
	global_load_b32 v34, v[21:22], off
	global_load_b32 v35, v[19:20], off
	v_lshlrev_b64 v[21:22], 2, v[6:7]
	v_add_nc_u32_e32 v6, -15, v4
	v_add_co_u32 v19, vcc_lo, s10, v23
	v_add_co_ci_u32_e32 v20, vcc_lo, s11, v24, vcc_lo
	s_delay_alu instid0(VALU_DEP_3)
	v_lshlrev_b64 v[23:24], 2, v[6:7]
	v_add_nc_u32_e32 v6, 6, v13
	v_add_co_u32 v21, vcc_lo, s8, v21
	v_add_co_ci_u32_e32 v22, vcc_lo, s9, v22, vcc_lo
	global_load_b32 v36, v[19:20], off
	v_lshlrev_b64 v[19:20], 2, v[6:7]
	v_add_nc_u32_e32 v6, -4, v4
	global_load_b32 v37, v[21:22], off
	v_add_co_u32 v21, vcc_lo, s8, v23
	v_add_co_ci_u32_e32 v22, vcc_lo, s9, v24, vcc_lo
	v_add_co_u32 v19, vcc_lo, s10, v19
	v_lshlrev_b64 v[23:24], 2, v[6:7]
	v_add_co_ci_u32_e32 v20, vcc_lo, s11, v20, vcc_lo
	v_add_nc_u32_e32 v6, -14, v4
	global_load_b32 v38, v[21:22], off
	global_load_b32 v39, v[19:20], off
	v_add_co_u32 v19, vcc_lo, s8, v23
	v_add_co_ci_u32_e32 v20, vcc_lo, s9, v24, vcc_lo
	global_load_b32 v40, v[19:20], off
	v_lshlrev_b64 v[21:22], 2, v[6:7]
	v_add_nc_u32_e32 v6, 7, v13
	s_delay_alu instid0(VALU_DEP_1) | instskip(SKIP_1) | instid1(VALU_DEP_4)
	v_lshlrev_b64 v[23:24], 2, v[6:7]
	v_add_nc_u32_e32 v6, -3, v4
	v_add_co_u32 v21, vcc_lo, s8, v21
	v_add_co_ci_u32_e32 v22, vcc_lo, s9, v22, vcc_lo
	s_delay_alu instid0(VALU_DEP_3)
	v_lshlrev_b64 v[19:20], 2, v[6:7]
	v_add_nc_u32_e32 v6, -13, v4
	global_load_b32 v41, v[21:22], off
	v_add_co_u32 v21, vcc_lo, s10, v23
	v_add_co_ci_u32_e32 v22, vcc_lo, s11, v24, vcc_lo
	v_lshlrev_b64 v[23:24], 2, v[6:7]
	v_add_nc_u32_e32 v6, 8, v13
	v_add_co_u32 v19, vcc_lo, s8, v19
	v_add_co_ci_u32_e32 v20, vcc_lo, s9, v20, vcc_lo
	global_load_b32 v42, v[21:22], off
	v_lshlrev_b64 v[21:22], 2, v[6:7]
	v_add_nc_u32_e32 v6, -2, v4
	global_load_b32 v43, v[19:20], off
	v_add_co_u32 v19, vcc_lo, s8, v23
	v_add_co_ci_u32_e32 v20, vcc_lo, s9, v24, vcc_lo
	v_lshlrev_b64 v[23:24], 2, v[6:7]
	v_add_nc_u32_e32 v6, -12, v4
	v_add_co_u32 v21, vcc_lo, s10, v21
	v_add_co_ci_u32_e32 v22, vcc_lo, s11, v22, vcc_lo
	global_load_b32 v44, v[19:20], off
	v_lshlrev_b64 v[19:20], 2, v[6:7]
	v_add_nc_u32_e32 v6, 9, v13
	global_load_b32 v45, v[21:22], off
	v_add_co_u32 v21, vcc_lo, s8, v23
	v_add_co_ci_u32_e32 v22, vcc_lo, s9, v24, vcc_lo
	v_add_co_u32 v19, vcc_lo, s8, v19
	v_lshlrev_b64 v[23:24], 2, v[6:7]
	v_add_nc_u32_e32 v6, -1, v4
	v_add_co_ci_u32_e32 v20, vcc_lo, s9, v20, vcc_lo
	s_clause 0x1
	global_load_b32 v46, v[21:22], off
	global_load_b32 v47, v[19:20], off
	v_lshlrev_b64 v[21:22], 2, v[6:7]
	v_add_nc_u32_e32 v6, -11, v4
	v_add_co_u32 v19, vcc_lo, s10, v23
	v_add_co_ci_u32_e32 v20, vcc_lo, s11, v24, vcc_lo
	s_delay_alu instid0(VALU_DEP_3) | instskip(SKIP_3) | instid1(VALU_DEP_3)
	v_lshlrev_b64 v[23:24], 2, v[6:7]
	v_add_nc_u32_e32 v6, 10, v13
	v_add_co_u32 v12, vcc_lo, s8, v21
	v_add_co_ci_u32_e32 v13, vcc_lo, s9, v22, vcc_lo
	v_lshlrev_b64 v[5:6], 2, v[6:7]
	global_load_b32 v19, v[19:20], off
	v_add_nc_u32_e32 v4, 0x2c0, v4
	global_load_b32 v20, v[12:13], off
	v_add_co_u32 v12, vcc_lo, s8, v23
	v_add_co_ci_u32_e32 v13, vcc_lo, s9, v24, vcc_lo
	v_add_co_u32 v5, vcc_lo, s10, v5
	v_add_co_ci_u32_e32 v6, vcc_lo, s11, v6, vcc_lo
	s_clause 0x1
	global_load_b32 v17, v[17:18], off
	global_load_b32 v12, v[12:13], off
	global_load_b32 v5, v[5:6], off
	v_cmp_ge_i32_e32 vcc_lo, v2, v11
	s_or_b32 s2, vcc_lo, s2
	s_waitcnt vmcnt(19)
	v_dual_fmac_f32 v10, v31, v30 :: v_dual_fmac_f32 v9, v32, v33
	s_waitcnt vmcnt(16)
	s_delay_alu instid0(VALU_DEP_1) | instskip(SKIP_1) | instid1(VALU_DEP_1)
	v_dual_fmac_f32 v10, v34, v33 :: v_dual_fmac_f32 v9, v35, v36
	s_waitcnt vmcnt(13)
	v_dual_fmac_f32 v10, v37, v36 :: v_dual_fmac_f32 v9, v38, v39
	s_waitcnt vmcnt(10)
	s_delay_alu instid0(VALU_DEP_1) | instskip(SKIP_1) | instid1(VALU_DEP_1)
	v_dual_fmac_f32 v10, v40, v39 :: v_dual_fmac_f32 v9, v41, v42
	;; [unrolled: 5-line block ×3, first 2 shown]
	s_waitcnt vmcnt(3)
	v_fmac_f32_e32 v10, v20, v19
	s_waitcnt vmcnt(0)
	s_delay_alu instid0(VALU_DEP_2) | instskip(NEXT) | instid1(VALU_DEP_2)
	v_fmac_f32_e32 v9, v12, v5
	v_fmac_f32_e32 v10, v17, v5
	s_and_not1_b32 exec_lo, exec_lo, s2
	s_cbranch_execnz .LBB48_15
; %bb.16:
	s_or_b32 exec_lo, exec_lo, s2
.LBB48_17:
	s_delay_alu instid0(SALU_CYCLE_1)
	s_or_b32 exec_lo, exec_lo, s3
.LBB48_18:
	v_mbcnt_lo_u32_b32 v2, -1, 0
	s_mov_b32 s2, -1
	s_delay_alu instid0(VALU_DEP_1) | instskip(SKIP_2) | instid1(VALU_DEP_3)
	v_xor_b32_e32 v3, 16, v2
	v_xor_b32_e32 v5, 8, v2
	;; [unrolled: 1-line block ×3, first 2 shown]
	v_cmp_gt_i32_e32 vcc_lo, 32, v3
	v_cndmask_b32_e32 v3, v2, v3, vcc_lo
	s_delay_alu instid0(VALU_DEP_4) | instskip(NEXT) | instid1(VALU_DEP_2)
	v_cmp_gt_i32_e32 vcc_lo, 32, v5
	v_lshlrev_b32_e32 v3, 2, v3
	v_cndmask_b32_e32 v5, v2, v5, vcc_lo
	v_cmp_gt_i32_e32 vcc_lo, 32, v7
	ds_bpermute_b32 v4, v3, v9
	v_lshlrev_b32_e32 v5, 2, v5
	v_cndmask_b32_e32 v7, v2, v7, vcc_lo
	s_waitcnt lgkmcnt(0)
	s_delay_alu instid0(VALU_DEP_1)
	v_dual_add_f32 v4, v9, v4 :: v_dual_lshlrev_b32 v7, 2, v7
	ds_bpermute_b32 v6, v5, v4
	s_waitcnt lgkmcnt(0)
	v_add_f32_e32 v4, v4, v6
	ds_bpermute_b32 v3, v3, v10
	s_waitcnt lgkmcnt(0)
	v_add_f32_e32 v3, v10, v3
	;; [unrolled: 3-line block ×3, first 2 shown]
	ds_bpermute_b32 v5, v7, v4
	ds_bpermute_b32 v6, v7, v3
	v_xor_b32_e32 v7, 2, v2
	s_delay_alu instid0(VALU_DEP_1) | instskip(SKIP_2) | instid1(VALU_DEP_1)
	v_cmp_gt_i32_e32 vcc_lo, 32, v7
	s_waitcnt lgkmcnt(1)
	v_dual_cndmask_b32 v7, v2, v7 :: v_dual_add_f32 v4, v4, v5
	v_lshlrev_b32_e32 v7, 2, v7
	s_waitcnt lgkmcnt(0)
	v_add_f32_e32 v3, v3, v6
	ds_bpermute_b32 v5, v7, v4
	ds_bpermute_b32 v6, v7, v3
	v_xor_b32_e32 v7, 1, v2
	s_delay_alu instid0(VALU_DEP_1) | instskip(SKIP_3) | instid1(VALU_DEP_2)
	v_cmp_gt_i32_e32 vcc_lo, 32, v7
	v_cndmask_b32_e32 v2, v2, v7, vcc_lo
	v_cmp_eq_u32_e32 vcc_lo, 31, v0
	s_waitcnt lgkmcnt(1)
	v_dual_add_f32 v2, v4, v5 :: v_dual_lshlrev_b32 v7, 2, v2
	s_waitcnt lgkmcnt(0)
	v_add_f32_e32 v3, v3, v6
	ds_bpermute_b32 v4, v7, v2
	ds_bpermute_b32 v5, v7, v3
	s_and_b32 exec_lo, exec_lo, vcc_lo
	s_cbranch_execz .LBB48_23
; %bb.19:
	s_load_b64 s[0:1], s[0:1], 0x38
	s_waitcnt lgkmcnt(0)
	v_dual_add_f32 v0, v2, v4 :: v_dual_add_f32 v3, v3, v5
	v_cmp_eq_f32_e64 s3, s12, 0
	s_delay_alu instid0(VALU_DEP_2) | instskip(SKIP_1) | instid1(VALU_DEP_3)
	v_dual_mul_f32 v2, s16, v0 :: v_dual_mul_f32 v3, s16, v3
	v_lshlrev_b32_e32 v0, 1, v1
	s_and_b32 vcc_lo, exec_lo, s3
	s_cbranch_vccz .LBB48_21
; %bb.20:
	s_delay_alu instid0(VALU_DEP_1) | instskip(SKIP_1) | instid1(VALU_DEP_1)
	v_ashrrev_i32_e32 v1, 31, v0
	s_mov_b32 s2, 0
	v_lshlrev_b64 v[4:5], 2, v[0:1]
	s_delay_alu instid0(VALU_DEP_1) | instskip(NEXT) | instid1(VALU_DEP_2)
	v_add_co_u32 v4, vcc_lo, s0, v4
	v_add_co_ci_u32_e32 v5, vcc_lo, s1, v5, vcc_lo
	global_store_b64 v[4:5], v[2:3], off
.LBB48_21:
	s_and_not1_b32 vcc_lo, exec_lo, s2
	s_cbranch_vccnz .LBB48_23
; %bb.22:
	v_ashrrev_i32_e32 v1, 31, v0
	s_delay_alu instid0(VALU_DEP_1) | instskip(NEXT) | instid1(VALU_DEP_1)
	v_lshlrev_b64 v[0:1], 2, v[0:1]
	v_add_co_u32 v0, vcc_lo, s0, v0
	s_delay_alu instid0(VALU_DEP_2)
	v_add_co_ci_u32_e32 v1, vcc_lo, s1, v1, vcc_lo
	global_load_b64 v[4:5], v[0:1], off
	s_waitcnt vmcnt(0)
	v_dual_fmac_f32 v2, s12, v4 :: v_dual_fmac_f32 v3, s12, v5
	global_store_b64 v[0:1], v[2:3], off
.LBB48_23:
	s_nop 0
	s_sendmsg sendmsg(MSG_DEALLOC_VGPRS)
	s_endpgm
	.section	.rodata,"a",@progbits
	.p2align	6, 0x0
	.amdhsa_kernel _ZN9rocsparseL19gebsrmvn_2xn_kernelILj128ELj11ELj32EfEEvi20rocsparse_direction_NS_24const_host_device_scalarIT2_EEPKiS6_PKS3_S8_S4_PS3_21rocsparse_index_base_b
		.amdhsa_group_segment_fixed_size 0
		.amdhsa_private_segment_fixed_size 0
		.amdhsa_kernarg_size 72
		.amdhsa_user_sgpr_count 15
		.amdhsa_user_sgpr_dispatch_ptr 0
		.amdhsa_user_sgpr_queue_ptr 0
		.amdhsa_user_sgpr_kernarg_segment_ptr 1
		.amdhsa_user_sgpr_dispatch_id 0
		.amdhsa_user_sgpr_private_segment_size 0
		.amdhsa_wavefront_size32 1
		.amdhsa_uses_dynamic_stack 0
		.amdhsa_enable_private_segment 0
		.amdhsa_system_sgpr_workgroup_id_x 1
		.amdhsa_system_sgpr_workgroup_id_y 0
		.amdhsa_system_sgpr_workgroup_id_z 0
		.amdhsa_system_sgpr_workgroup_info 0
		.amdhsa_system_vgpr_workitem_id 0
		.amdhsa_next_free_vgpr 48
		.amdhsa_next_free_sgpr 20
		.amdhsa_reserve_vcc 1
		.amdhsa_float_round_mode_32 0
		.amdhsa_float_round_mode_16_64 0
		.amdhsa_float_denorm_mode_32 3
		.amdhsa_float_denorm_mode_16_64 3
		.amdhsa_dx10_clamp 1
		.amdhsa_ieee_mode 1
		.amdhsa_fp16_overflow 0
		.amdhsa_workgroup_processor_mode 1
		.amdhsa_memory_ordered 1
		.amdhsa_forward_progress 0
		.amdhsa_shared_vgpr_count 0
		.amdhsa_exception_fp_ieee_invalid_op 0
		.amdhsa_exception_fp_denorm_src 0
		.amdhsa_exception_fp_ieee_div_zero 0
		.amdhsa_exception_fp_ieee_overflow 0
		.amdhsa_exception_fp_ieee_underflow 0
		.amdhsa_exception_fp_ieee_inexact 0
		.amdhsa_exception_int_div_zero 0
	.end_amdhsa_kernel
	.section	.text._ZN9rocsparseL19gebsrmvn_2xn_kernelILj128ELj11ELj32EfEEvi20rocsparse_direction_NS_24const_host_device_scalarIT2_EEPKiS6_PKS3_S8_S4_PS3_21rocsparse_index_base_b,"axG",@progbits,_ZN9rocsparseL19gebsrmvn_2xn_kernelILj128ELj11ELj32EfEEvi20rocsparse_direction_NS_24const_host_device_scalarIT2_EEPKiS6_PKS3_S8_S4_PS3_21rocsparse_index_base_b,comdat
.Lfunc_end48:
	.size	_ZN9rocsparseL19gebsrmvn_2xn_kernelILj128ELj11ELj32EfEEvi20rocsparse_direction_NS_24const_host_device_scalarIT2_EEPKiS6_PKS3_S8_S4_PS3_21rocsparse_index_base_b, .Lfunc_end48-_ZN9rocsparseL19gebsrmvn_2xn_kernelILj128ELj11ELj32EfEEvi20rocsparse_direction_NS_24const_host_device_scalarIT2_EEPKiS6_PKS3_S8_S4_PS3_21rocsparse_index_base_b
                                        ; -- End function
	.section	.AMDGPU.csdata,"",@progbits
; Kernel info:
; codeLenInByte = 3216
; NumSgprs: 22
; NumVgprs: 48
; ScratchSize: 0
; MemoryBound: 0
; FloatMode: 240
; IeeeMode: 1
; LDSByteSize: 0 bytes/workgroup (compile time only)
; SGPRBlocks: 2
; VGPRBlocks: 5
; NumSGPRsForWavesPerEU: 22
; NumVGPRsForWavesPerEU: 48
; Occupancy: 16
; WaveLimiterHint : 1
; COMPUTE_PGM_RSRC2:SCRATCH_EN: 0
; COMPUTE_PGM_RSRC2:USER_SGPR: 15
; COMPUTE_PGM_RSRC2:TRAP_HANDLER: 0
; COMPUTE_PGM_RSRC2:TGID_X_EN: 1
; COMPUTE_PGM_RSRC2:TGID_Y_EN: 0
; COMPUTE_PGM_RSRC2:TGID_Z_EN: 0
; COMPUTE_PGM_RSRC2:TIDIG_COMP_CNT: 0
	.section	.text._ZN9rocsparseL19gebsrmvn_2xn_kernelILj128ELj11ELj64EfEEvi20rocsparse_direction_NS_24const_host_device_scalarIT2_EEPKiS6_PKS3_S8_S4_PS3_21rocsparse_index_base_b,"axG",@progbits,_ZN9rocsparseL19gebsrmvn_2xn_kernelILj128ELj11ELj64EfEEvi20rocsparse_direction_NS_24const_host_device_scalarIT2_EEPKiS6_PKS3_S8_S4_PS3_21rocsparse_index_base_b,comdat
	.globl	_ZN9rocsparseL19gebsrmvn_2xn_kernelILj128ELj11ELj64EfEEvi20rocsparse_direction_NS_24const_host_device_scalarIT2_EEPKiS6_PKS3_S8_S4_PS3_21rocsparse_index_base_b ; -- Begin function _ZN9rocsparseL19gebsrmvn_2xn_kernelILj128ELj11ELj64EfEEvi20rocsparse_direction_NS_24const_host_device_scalarIT2_EEPKiS6_PKS3_S8_S4_PS3_21rocsparse_index_base_b
	.p2align	8
	.type	_ZN9rocsparseL19gebsrmvn_2xn_kernelILj128ELj11ELj64EfEEvi20rocsparse_direction_NS_24const_host_device_scalarIT2_EEPKiS6_PKS3_S8_S4_PS3_21rocsparse_index_base_b,@function
_ZN9rocsparseL19gebsrmvn_2xn_kernelILj128ELj11ELj64EfEEvi20rocsparse_direction_NS_24const_host_device_scalarIT2_EEPKiS6_PKS3_S8_S4_PS3_21rocsparse_index_base_b: ; @_ZN9rocsparseL19gebsrmvn_2xn_kernelILj128ELj11ELj64EfEEvi20rocsparse_direction_NS_24const_host_device_scalarIT2_EEPKiS6_PKS3_S8_S4_PS3_21rocsparse_index_base_b
; %bb.0:
	s_clause 0x2
	s_load_b64 s[18:19], s[0:1], 0x40
	s_load_b64 s[16:17], s[0:1], 0x8
	;; [unrolled: 1-line block ×3, first 2 shown]
	s_waitcnt lgkmcnt(0)
	s_bitcmp1_b32 s19, 0
	s_cselect_b32 s2, -1, 0
	s_delay_alu instid0(SALU_CYCLE_1)
	s_and_b32 vcc_lo, exec_lo, s2
	s_xor_b32 s2, s2, -1
	s_cbranch_vccnz .LBB49_2
; %bb.1:
	s_load_b32 s16, s[16:17], 0x0
.LBB49_2:
	s_and_not1_b32 vcc_lo, exec_lo, s2
	s_cbranch_vccnz .LBB49_4
; %bb.3:
	s_load_b32 s12, s[12:13], 0x0
.LBB49_4:
	s_waitcnt lgkmcnt(0)
	v_cmp_eq_f32_e64 s2, s16, 0
	v_cmp_eq_f32_e64 s3, s12, 1.0
	s_delay_alu instid0(VALU_DEP_1) | instskip(NEXT) | instid1(SALU_CYCLE_1)
	s_and_b32 s2, s2, s3
	s_and_b32 vcc_lo, exec_lo, s2
	s_cbranch_vccnz .LBB49_23
; %bb.5:
	s_load_b64 s[2:3], s[0:1], 0x0
	v_lshrrev_b32_e32 v1, 6, v0
	s_delay_alu instid0(VALU_DEP_1) | instskip(SKIP_1) | instid1(VALU_DEP_1)
	v_lshl_or_b32 v1, s15, 1, v1
	s_waitcnt lgkmcnt(0)
	v_cmp_gt_i32_e32 vcc_lo, s2, v1
	s_and_saveexec_b32 s2, vcc_lo
	s_cbranch_execz .LBB49_23
; %bb.6:
	s_load_b256 s[4:11], s[0:1], 0x10
	v_ashrrev_i32_e32 v2, 31, v1
	v_and_b32_e32 v0, 63, v0
	s_cmp_lg_u32 s3, 0
	s_delay_alu instid0(VALU_DEP_2) | instskip(SKIP_1) | instid1(VALU_DEP_1)
	v_lshlrev_b64 v[2:3], 2, v[1:2]
	s_waitcnt lgkmcnt(0)
	v_add_co_u32 v2, vcc_lo, s4, v2
	s_delay_alu instid0(VALU_DEP_2) | instskip(SKIP_4) | instid1(VALU_DEP_2)
	v_add_co_ci_u32_e32 v3, vcc_lo, s5, v3, vcc_lo
	global_load_b64 v[2:3], v[2:3], off
	s_waitcnt vmcnt(0)
	v_subrev_nc_u32_e32 v2, s18, v2
	v_subrev_nc_u32_e32 v11, s18, v3
	v_add_nc_u32_e32 v2, v2, v0
	s_delay_alu instid0(VALU_DEP_1)
	v_cmp_lt_i32_e64 s2, v2, v11
	s_cbranch_scc0 .LBB49_12
; %bb.7:
	v_dual_mov_b32 v9, 0 :: v_dual_mov_b32 v10, 0
	s_mov_b32 s3, 0
	s_delay_alu instid0(VALU_DEP_2)
	s_and_saveexec_b32 s4, s2
	s_cbranch_execz .LBB49_11
; %bb.8:
	v_mad_u64_u32 v[3:4], null, v2, 22, 20
	v_dual_mov_b32 v6, 0 :: v_dual_mov_b32 v7, v2
	v_dual_mov_b32 v9, 0 :: v_dual_mov_b32 v10, 0
	s_mov_b32 s5, 0
.LBB49_9:                               ; =>This Inner Loop Header: Depth=1
	s_delay_alu instid0(VALU_DEP_2) | instskip(NEXT) | instid1(VALU_DEP_1)
	v_ashrrev_i32_e32 v8, 31, v7
	v_lshlrev_b64 v[4:5], 2, v[7:8]
	v_add_nc_u32_e32 v7, 64, v7
	s_delay_alu instid0(VALU_DEP_2) | instskip(NEXT) | instid1(VALU_DEP_3)
	v_add_co_u32 v4, vcc_lo, s6, v4
	v_add_co_ci_u32_e32 v5, vcc_lo, s7, v5, vcc_lo
	global_load_b32 v8, v[4:5], off
	v_subrev_nc_u32_e32 v5, 20, v3
	v_mov_b32_e32 v4, v6
	s_delay_alu instid0(VALU_DEP_2) | instskip(SKIP_1) | instid1(VALU_DEP_3)
	v_lshlrev_b64 v[14:15], 2, v[5:6]
	v_subrev_nc_u32_e32 v5, 18, v3
	v_lshlrev_b64 v[16:17], 2, v[3:4]
	s_delay_alu instid0(VALU_DEP_2) | instskip(NEXT) | instid1(VALU_DEP_4)
	v_lshlrev_b64 v[4:5], 2, v[5:6]
	v_add_co_u32 v14, vcc_lo, s8, v14
	v_add_co_ci_u32_e32 v15, vcc_lo, s9, v15, vcc_lo
	s_delay_alu instid0(VALU_DEP_4)
	v_add_co_u32 v16, vcc_lo, s8, v16
	v_add_co_ci_u32_e32 v17, vcc_lo, s9, v17, vcc_lo
	v_add_co_u32 v4, vcc_lo, s8, v4
	v_add_co_ci_u32_e32 v5, vcc_lo, s9, v5, vcc_lo
	s_clause 0x1
	global_load_b64 v[14:15], v[14:15], off
	global_load_b64 v[18:19], v[4:5], off
	v_mov_b32_e32 v13, v6
	s_waitcnt vmcnt(2)
	v_subrev_nc_u32_e32 v4, s18, v8
	s_delay_alu instid0(VALU_DEP_1) | instskip(NEXT) | instid1(VALU_DEP_1)
	v_mul_lo_u32 v12, v4, 11
	v_add_nc_u32_e32 v5, 1, v12
	v_lshlrev_b64 v[20:21], 2, v[12:13]
	s_delay_alu instid0(VALU_DEP_2) | instskip(NEXT) | instid1(VALU_DEP_2)
	v_lshlrev_b64 v[22:23], 2, v[5:6]
	v_add_co_u32 v20, vcc_lo, s10, v20
	s_delay_alu instid0(VALU_DEP_3) | instskip(NEXT) | instid1(VALU_DEP_3)
	v_add_co_ci_u32_e32 v21, vcc_lo, s11, v21, vcc_lo
	v_add_co_u32 v22, vcc_lo, s10, v22
	s_delay_alu instid0(VALU_DEP_4)
	v_add_co_ci_u32_e32 v23, vcc_lo, s11, v23, vcc_lo
	s_clause 0x1
	global_load_b32 v8, v[20:21], off
	global_load_b32 v40, v[22:23], off
	s_waitcnt vmcnt(1)
	v_dual_fmac_f32 v10, v15, v8 :: v_dual_add_nc_u32 v5, -16, v3
	v_fmac_f32_e32 v9, v14, v8
	s_waitcnt vmcnt(0)
	s_delay_alu instid0(VALU_DEP_2) | instskip(NEXT) | instid1(VALU_DEP_3)
	v_fmac_f32_e32 v10, v19, v40
	v_lshlrev_b64 v[24:25], 2, v[5:6]
	s_delay_alu instid0(VALU_DEP_3) | instskip(NEXT) | instid1(VALU_DEP_2)
	v_fmac_f32_e32 v9, v18, v40
	v_add_co_u32 v22, vcc_lo, s8, v24
	s_delay_alu instid0(VALU_DEP_3) | instskip(SKIP_2) | instid1(VALU_DEP_1)
	v_add_co_ci_u32_e32 v23, vcc_lo, s9, v25, vcc_lo
	global_load_b64 v[22:23], v[22:23], off
	v_add_nc_u32_e32 v5, 2, v12
	v_lshlrev_b64 v[20:21], 2, v[5:6]
	v_add_nc_u32_e32 v5, -14, v3
	s_delay_alu instid0(VALU_DEP_1) | instskip(SKIP_1) | instid1(VALU_DEP_4)
	v_lshlrev_b64 v[24:25], 2, v[5:6]
	v_add_nc_u32_e32 v5, 3, v12
	v_add_co_u32 v20, vcc_lo, s10, v20
	v_add_co_ci_u32_e32 v21, vcc_lo, s11, v21, vcc_lo
	s_delay_alu instid0(VALU_DEP_3)
	v_lshlrev_b64 v[26:27], 2, v[5:6]
	v_add_nc_u32_e32 v5, -12, v3
	global_load_b32 v41, v[20:21], off
	v_add_co_u32 v20, vcc_lo, s8, v24
	v_add_co_ci_u32_e32 v21, vcc_lo, s9, v25, vcc_lo
	v_lshlrev_b64 v[24:25], 2, v[5:6]
	v_add_nc_u32_e32 v5, 4, v12
	v_add_co_u32 v26, vcc_lo, s10, v26
	v_add_co_ci_u32_e32 v27, vcc_lo, s11, v27, vcc_lo
	s_delay_alu instid0(VALU_DEP_3) | instskip(SKIP_3) | instid1(VALU_DEP_4)
	v_lshlrev_b64 v[28:29], 2, v[5:6]
	v_add_co_u32 v24, vcc_lo, s8, v24
	v_add_co_ci_u32_e32 v25, vcc_lo, s9, v25, vcc_lo
	v_add_nc_u32_e32 v5, -10, v3
	v_add_co_u32 v28, vcc_lo, s10, v28
	v_add_co_ci_u32_e32 v29, vcc_lo, s11, v29, vcc_lo
	global_load_b32 v42, v[26:27], off
	s_clause 0x1
	global_load_b64 v[24:25], v[24:25], off
	global_load_b64 v[20:21], v[20:21], off
	global_load_b32 v43, v[28:29], off
	v_lshlrev_b64 v[26:27], 2, v[5:6]
	v_add_nc_u32_e32 v5, 5, v12
	s_delay_alu instid0(VALU_DEP_1) | instskip(SKIP_1) | instid1(VALU_DEP_4)
	v_lshlrev_b64 v[30:31], 2, v[5:6]
	v_add_nc_u32_e32 v5, -8, v3
	v_add_co_u32 v26, vcc_lo, s8, v26
	v_add_co_ci_u32_e32 v27, vcc_lo, s9, v27, vcc_lo
	s_delay_alu instid0(VALU_DEP_3) | instskip(SKIP_3) | instid1(VALU_DEP_3)
	v_lshlrev_b64 v[28:29], 2, v[5:6]
	v_add_nc_u32_e32 v5, 6, v12
	v_add_co_u32 v30, vcc_lo, s10, v30
	v_add_co_ci_u32_e32 v31, vcc_lo, s11, v31, vcc_lo
	v_lshlrev_b64 v[32:33], 2, v[5:6]
	v_add_co_u32 v28, vcc_lo, s8, v28
	v_add_co_ci_u32_e32 v29, vcc_lo, s9, v29, vcc_lo
	v_add_nc_u32_e32 v5, -6, v3
	s_delay_alu instid0(VALU_DEP_4)
	v_add_co_u32 v32, vcc_lo, s10, v32
	v_add_co_ci_u32_e32 v33, vcc_lo, s11, v33, vcc_lo
	global_load_b32 v44, v[30:31], off
	s_clause 0x1
	global_load_b64 v[26:27], v[26:27], off
	global_load_b64 v[28:29], v[28:29], off
	global_load_b32 v45, v[32:33], off
	v_lshlrev_b64 v[30:31], 2, v[5:6]
	v_add_nc_u32_e32 v5, 7, v12
	s_delay_alu instid0(VALU_DEP_1) | instskip(SKIP_1) | instid1(VALU_DEP_4)
	v_lshlrev_b64 v[34:35], 2, v[5:6]
	v_add_nc_u32_e32 v5, -4, v3
	v_add_co_u32 v30, vcc_lo, s8, v30
	v_add_co_ci_u32_e32 v31, vcc_lo, s9, v31, vcc_lo
	s_delay_alu instid0(VALU_DEP_3) | instskip(SKIP_3) | instid1(VALU_DEP_3)
	v_lshlrev_b64 v[32:33], 2, v[5:6]
	v_add_nc_u32_e32 v5, 8, v12
	v_add_co_u32 v34, vcc_lo, s10, v34
	v_add_co_ci_u32_e32 v35, vcc_lo, s11, v35, vcc_lo
	v_lshlrev_b64 v[36:37], 2, v[5:6]
	v_add_co_u32 v32, vcc_lo, s8, v32
	v_add_co_ci_u32_e32 v33, vcc_lo, s9, v33, vcc_lo
	v_add_nc_u32_e32 v5, -2, v3
	s_delay_alu instid0(VALU_DEP_4)
	v_add_co_u32 v36, vcc_lo, s10, v36
	v_add_co_ci_u32_e32 v37, vcc_lo, s11, v37, vcc_lo
	global_load_b32 v46, v[34:35], off
	s_clause 0x1
	global_load_b64 v[30:31], v[30:31], off
	global_load_b64 v[32:33], v[32:33], off
	global_load_b32 v36, v[36:37], off
	v_lshlrev_b64 v[34:35], 2, v[5:6]
	v_add_nc_u32_e32 v5, 9, v12
	v_add_nc_u32_e32 v3, 0x580, v3
	s_delay_alu instid0(VALU_DEP_2) | instskip(SKIP_3) | instid1(VALU_DEP_3)
	v_lshlrev_b64 v[38:39], 2, v[5:6]
	v_add_nc_u32_e32 v5, 10, v12
	v_add_co_u32 v12, vcc_lo, s8, v34
	v_add_co_ci_u32_e32 v13, vcc_lo, s9, v35, vcc_lo
	v_lshlrev_b64 v[4:5], 2, v[5:6]
	v_add_co_u32 v34, vcc_lo, s10, v38
	v_add_co_ci_u32_e32 v35, vcc_lo, s11, v39, vcc_lo
	global_load_b64 v[12:13], v[12:13], off
	global_load_b32 v34, v[34:35], off
	v_add_co_u32 v4, vcc_lo, s10, v4
	v_add_co_ci_u32_e32 v5, vcc_lo, s11, v5, vcc_lo
	global_load_b64 v[16:17], v[16:17], off
	global_load_b32 v4, v[4:5], off
	v_cmp_ge_i32_e32 vcc_lo, v7, v11
	s_or_b32 s5, vcc_lo, s5
	s_waitcnt vmcnt(16)
	v_fmac_f32_e32 v9, v22, v41
	s_waitcnt vmcnt(13)
	s_delay_alu instid0(VALU_DEP_1) | instskip(SKIP_1) | instid1(VALU_DEP_1)
	v_dual_fmac_f32 v10, v23, v41 :: v_dual_fmac_f32 v9, v20, v42
	s_waitcnt vmcnt(12)
	v_dual_fmac_f32 v10, v21, v42 :: v_dual_fmac_f32 v9, v24, v43
	s_waitcnt vmcnt(10)
	s_delay_alu instid0(VALU_DEP_1) | instskip(SKIP_1) | instid1(VALU_DEP_1)
	v_dual_fmac_f32 v10, v25, v43 :: v_dual_fmac_f32 v9, v26, v44
	s_waitcnt vmcnt(8)
	v_dual_fmac_f32 v10, v27, v44 :: v_dual_fmac_f32 v9, v28, v45
	;; [unrolled: 5-line block ×4, first 2 shown]
	s_delay_alu instid0(VALU_DEP_1)
	v_fmac_f32_e32 v10, v17, v4
	s_and_not1_b32 exec_lo, exec_lo, s5
	s_cbranch_execnz .LBB49_9
; %bb.10:
	s_or_b32 exec_lo, exec_lo, s5
.LBB49_11:
	s_delay_alu instid0(SALU_CYCLE_1) | instskip(NEXT) | instid1(SALU_CYCLE_1)
	s_or_b32 exec_lo, exec_lo, s4
	s_and_not1_b32 vcc_lo, exec_lo, s3
	s_cbranch_vccz .LBB49_13
	s_branch .LBB49_18
.LBB49_12:
                                        ; implicit-def: $vgpr9
                                        ; implicit-def: $vgpr10
.LBB49_13:
	v_dual_mov_b32 v9, 0 :: v_dual_mov_b32 v10, 0
	s_delay_alu instid0(VALU_DEP_2)
	s_and_saveexec_b32 s3, s2
	s_cbranch_execz .LBB49_17
; %bb.14:
	v_mad_u64_u32 v[4:5], null, v2, 22, 21
	v_dual_mov_b32 v7, 0 :: v_dual_mov_b32 v10, 0
	v_mov_b32_e32 v9, 0
	s_mov_b32 s2, 0
.LBB49_15:                              ; =>This Inner Loop Header: Depth=1
	v_ashrrev_i32_e32 v3, 31, v2
	s_delay_alu instid0(VALU_DEP_3) | instskip(SKIP_1) | instid1(VALU_DEP_3)
	v_dual_mov_b32 v13, v7 :: v_dual_add_nc_u32 v12, -10, v4
	v_mov_b32_e32 v14, v7
	v_lshlrev_b64 v[5:6], 2, v[2:3]
	v_add_nc_u32_e32 v2, 64, v2
	s_delay_alu instid0(VALU_DEP_4) | instskip(NEXT) | instid1(VALU_DEP_3)
	v_lshlrev_b64 v[12:13], 2, v[12:13]
	v_add_co_u32 v5, vcc_lo, s6, v5
	s_delay_alu instid0(VALU_DEP_4) | instskip(SKIP_2) | instid1(VALU_DEP_1)
	v_add_co_ci_u32_e32 v6, vcc_lo, s7, v6, vcc_lo
	global_load_b32 v3, v[5:6], off
	v_subrev_nc_u32_e32 v6, 21, v4
	v_lshlrev_b64 v[15:16], 2, v[6:7]
	s_delay_alu instid0(VALU_DEP_1) | instskip(NEXT) | instid1(VALU_DEP_2)
	v_add_co_u32 v15, vcc_lo, s8, v15
	v_add_co_ci_u32_e32 v16, vcc_lo, s9, v16, vcc_lo
	v_add_co_u32 v12, vcc_lo, s8, v12
	v_add_co_ci_u32_e32 v13, vcc_lo, s9, v13, vcc_lo
	s_clause 0x1
	global_load_b64 v[15:16], v[15:16], off
	global_load_b32 v8, v[12:13], off
	s_waitcnt vmcnt(2)
	v_subrev_nc_u32_e32 v3, s18, v3
	s_delay_alu instid0(VALU_DEP_1) | instskip(SKIP_1) | instid1(VALU_DEP_1)
	v_mul_lo_u32 v13, v3, 11
	v_mov_b32_e32 v5, v7
	v_lshlrev_b64 v[5:6], 2, v[4:5]
	s_delay_alu instid0(VALU_DEP_3) | instskip(NEXT) | instid1(VALU_DEP_2)
	v_lshlrev_b64 v[19:20], 2, v[13:14]
	v_add_co_u32 v17, vcc_lo, s8, v5
	s_delay_alu instid0(VALU_DEP_3) | instskip(SKIP_1) | instid1(VALU_DEP_4)
	v_add_co_ci_u32_e32 v18, vcc_lo, s9, v6, vcc_lo
	v_add_nc_u32_e32 v6, 1, v13
	v_add_co_u32 v19, vcc_lo, s10, v19
	v_add_co_ci_u32_e32 v20, vcc_lo, s11, v20, vcc_lo
	s_delay_alu instid0(VALU_DEP_3)
	v_lshlrev_b64 v[21:22], 2, v[6:7]
	global_load_b32 v3, v[19:20], off
	v_add_nc_u32_e32 v6, -9, v4
	v_add_co_u32 v19, vcc_lo, s10, v21
	v_add_co_ci_u32_e32 v20, vcc_lo, s11, v22, vcc_lo
	global_load_b32 v14, v[19:20], off
	s_waitcnt vmcnt(1)
	v_fmac_f32_e32 v9, v15, v3
	v_lshlrev_b64 v[23:24], 2, v[6:7]
	v_subrev_nc_u32_e32 v6, 19, v4
	v_fmac_f32_e32 v10, v8, v3
	s_delay_alu instid0(VALU_DEP_2)
	v_lshlrev_b64 v[21:22], 2, v[6:7]
	v_add_nc_u32_e32 v6, 2, v13
	v_add_co_u32 v23, vcc_lo, s8, v23
	s_waitcnt vmcnt(0)
	v_fmac_f32_e32 v9, v16, v14
	v_add_co_ci_u32_e32 v24, vcc_lo, s9, v24, vcc_lo
	v_lshlrev_b64 v[19:20], 2, v[6:7]
	v_add_co_u32 v21, vcc_lo, s8, v21
	v_add_nc_u32_e32 v6, -8, v4
	v_add_co_ci_u32_e32 v22, vcc_lo, s9, v22, vcc_lo
	s_delay_alu instid0(VALU_DEP_4)
	v_add_co_u32 v19, vcc_lo, s10, v19
	s_clause 0x1
	global_load_b32 v25, v[23:24], off
	global_load_b32 v26, v[21:22], off
	v_lshlrev_b64 v[23:24], 2, v[6:7]
	v_add_co_ci_u32_e32 v20, vcc_lo, s11, v20, vcc_lo
	v_subrev_nc_u32_e32 v6, 18, v4
	global_load_b32 v27, v[19:20], off
	v_add_co_u32 v19, vcc_lo, s8, v23
	v_add_co_ci_u32_e32 v20, vcc_lo, s9, v24, vcc_lo
	global_load_b32 v28, v[19:20], off
	v_lshlrev_b64 v[21:22], 2, v[6:7]
	v_add_nc_u32_e32 v6, 3, v13
	s_delay_alu instid0(VALU_DEP_2) | instskip(NEXT) | instid1(VALU_DEP_2)
	v_add_co_u32 v21, vcc_lo, s8, v21
	v_lshlrev_b64 v[23:24], 2, v[6:7]
	s_delay_alu instid0(VALU_DEP_4)
	v_add_co_ci_u32_e32 v22, vcc_lo, s9, v22, vcc_lo
	global_load_b32 v29, v[21:22], off
	v_add_co_u32 v21, vcc_lo, s10, v23
	v_add_co_ci_u32_e32 v22, vcc_lo, s11, v24, vcc_lo
	global_load_b32 v30, v[21:22], off
	s_waitcnt vmcnt(3)
	v_dual_fmac_f32 v10, v25, v14 :: v_dual_fmac_f32 v9, v26, v27
	s_waitcnt vmcnt(0)
	s_delay_alu instid0(VALU_DEP_1) | instskip(SKIP_1) | instid1(VALU_DEP_1)
	v_dual_fmac_f32 v10, v28, v27 :: v_dual_fmac_f32 v9, v29, v30
	v_add_nc_u32_e32 v6, -7, v4
	v_lshlrev_b64 v[19:20], 2, v[6:7]
	v_subrev_nc_u32_e32 v6, 17, v4
	s_delay_alu instid0(VALU_DEP_1) | instskip(SKIP_1) | instid1(VALU_DEP_4)
	v_lshlrev_b64 v[23:24], 2, v[6:7]
	v_add_nc_u32_e32 v6, 4, v13
	v_add_co_u32 v19, vcc_lo, s8, v19
	v_add_co_ci_u32_e32 v20, vcc_lo, s9, v20, vcc_lo
	s_delay_alu instid0(VALU_DEP_3)
	v_lshlrev_b64 v[21:22], 2, v[6:7]
	v_add_nc_u32_e32 v6, -6, v4
	global_load_b32 v31, v[19:20], off
	v_add_co_u32 v19, vcc_lo, s8, v23
	v_add_co_ci_u32_e32 v20, vcc_lo, s9, v24, vcc_lo
	v_lshlrev_b64 v[23:24], 2, v[6:7]
	v_add_nc_u32_e32 v6, -16, v4
	v_add_co_u32 v21, vcc_lo, s10, v21
	v_add_co_ci_u32_e32 v22, vcc_lo, s11, v22, vcc_lo
	global_load_b32 v32, v[19:20], off
	v_lshlrev_b64 v[19:20], 2, v[6:7]
	v_add_nc_u32_e32 v6, 5, v13
	global_load_b32 v33, v[21:22], off
	v_add_co_u32 v21, vcc_lo, s8, v23
	v_add_co_ci_u32_e32 v22, vcc_lo, s9, v24, vcc_lo
	v_add_co_u32 v19, vcc_lo, s8, v19
	v_lshlrev_b64 v[23:24], 2, v[6:7]
	v_add_nc_u32_e32 v6, -5, v4
	v_add_co_ci_u32_e32 v20, vcc_lo, s9, v20, vcc_lo
	s_clause 0x1
	global_load_b32 v34, v[21:22], off
	global_load_b32 v35, v[19:20], off
	v_lshlrev_b64 v[21:22], 2, v[6:7]
	v_add_nc_u32_e32 v6, -15, v4
	v_add_co_u32 v19, vcc_lo, s10, v23
	v_add_co_ci_u32_e32 v20, vcc_lo, s11, v24, vcc_lo
	s_delay_alu instid0(VALU_DEP_3)
	v_lshlrev_b64 v[23:24], 2, v[6:7]
	v_add_nc_u32_e32 v6, 6, v13
	v_add_co_u32 v21, vcc_lo, s8, v21
	v_add_co_ci_u32_e32 v22, vcc_lo, s9, v22, vcc_lo
	global_load_b32 v36, v[19:20], off
	v_lshlrev_b64 v[19:20], 2, v[6:7]
	v_add_nc_u32_e32 v6, -4, v4
	global_load_b32 v37, v[21:22], off
	v_add_co_u32 v21, vcc_lo, s8, v23
	v_add_co_ci_u32_e32 v22, vcc_lo, s9, v24, vcc_lo
	v_add_co_u32 v19, vcc_lo, s10, v19
	v_lshlrev_b64 v[23:24], 2, v[6:7]
	v_add_co_ci_u32_e32 v20, vcc_lo, s11, v20, vcc_lo
	v_add_nc_u32_e32 v6, -14, v4
	global_load_b32 v38, v[21:22], off
	global_load_b32 v39, v[19:20], off
	v_add_co_u32 v19, vcc_lo, s8, v23
	v_add_co_ci_u32_e32 v20, vcc_lo, s9, v24, vcc_lo
	global_load_b32 v40, v[19:20], off
	v_lshlrev_b64 v[21:22], 2, v[6:7]
	v_add_nc_u32_e32 v6, 7, v13
	s_delay_alu instid0(VALU_DEP_1) | instskip(SKIP_1) | instid1(VALU_DEP_4)
	v_lshlrev_b64 v[23:24], 2, v[6:7]
	v_add_nc_u32_e32 v6, -3, v4
	v_add_co_u32 v21, vcc_lo, s8, v21
	v_add_co_ci_u32_e32 v22, vcc_lo, s9, v22, vcc_lo
	s_delay_alu instid0(VALU_DEP_3)
	v_lshlrev_b64 v[19:20], 2, v[6:7]
	v_add_nc_u32_e32 v6, -13, v4
	global_load_b32 v41, v[21:22], off
	v_add_co_u32 v21, vcc_lo, s10, v23
	v_add_co_ci_u32_e32 v22, vcc_lo, s11, v24, vcc_lo
	v_lshlrev_b64 v[23:24], 2, v[6:7]
	v_add_nc_u32_e32 v6, 8, v13
	v_add_co_u32 v19, vcc_lo, s8, v19
	v_add_co_ci_u32_e32 v20, vcc_lo, s9, v20, vcc_lo
	global_load_b32 v42, v[21:22], off
	v_lshlrev_b64 v[21:22], 2, v[6:7]
	v_add_nc_u32_e32 v6, -2, v4
	global_load_b32 v43, v[19:20], off
	v_add_co_u32 v19, vcc_lo, s8, v23
	v_add_co_ci_u32_e32 v20, vcc_lo, s9, v24, vcc_lo
	v_lshlrev_b64 v[23:24], 2, v[6:7]
	v_add_nc_u32_e32 v6, -12, v4
	v_add_co_u32 v21, vcc_lo, s10, v21
	v_add_co_ci_u32_e32 v22, vcc_lo, s11, v22, vcc_lo
	global_load_b32 v44, v[19:20], off
	v_lshlrev_b64 v[19:20], 2, v[6:7]
	v_add_nc_u32_e32 v6, 9, v13
	global_load_b32 v45, v[21:22], off
	v_add_co_u32 v21, vcc_lo, s8, v23
	v_add_co_ci_u32_e32 v22, vcc_lo, s9, v24, vcc_lo
	v_add_co_u32 v19, vcc_lo, s8, v19
	v_lshlrev_b64 v[23:24], 2, v[6:7]
	v_add_nc_u32_e32 v6, -1, v4
	v_add_co_ci_u32_e32 v20, vcc_lo, s9, v20, vcc_lo
	s_clause 0x1
	global_load_b32 v46, v[21:22], off
	global_load_b32 v47, v[19:20], off
	v_lshlrev_b64 v[21:22], 2, v[6:7]
	v_add_nc_u32_e32 v6, -11, v4
	v_add_co_u32 v19, vcc_lo, s10, v23
	v_add_co_ci_u32_e32 v20, vcc_lo, s11, v24, vcc_lo
	s_delay_alu instid0(VALU_DEP_3) | instskip(SKIP_3) | instid1(VALU_DEP_3)
	v_lshlrev_b64 v[23:24], 2, v[6:7]
	v_add_nc_u32_e32 v6, 10, v13
	v_add_co_u32 v12, vcc_lo, s8, v21
	v_add_co_ci_u32_e32 v13, vcc_lo, s9, v22, vcc_lo
	v_lshlrev_b64 v[5:6], 2, v[6:7]
	global_load_b32 v19, v[19:20], off
	v_add_nc_u32_e32 v4, 0x580, v4
	global_load_b32 v20, v[12:13], off
	v_add_co_u32 v12, vcc_lo, s8, v23
	v_add_co_ci_u32_e32 v13, vcc_lo, s9, v24, vcc_lo
	v_add_co_u32 v5, vcc_lo, s10, v5
	v_add_co_ci_u32_e32 v6, vcc_lo, s11, v6, vcc_lo
	s_clause 0x1
	global_load_b32 v17, v[17:18], off
	global_load_b32 v12, v[12:13], off
	;; [unrolled: 1-line block ×3, first 2 shown]
	v_cmp_ge_i32_e32 vcc_lo, v2, v11
	s_or_b32 s2, vcc_lo, s2
	s_waitcnt vmcnt(19)
	v_dual_fmac_f32 v10, v31, v30 :: v_dual_fmac_f32 v9, v32, v33
	s_waitcnt vmcnt(16)
	s_delay_alu instid0(VALU_DEP_1) | instskip(SKIP_1) | instid1(VALU_DEP_1)
	v_dual_fmac_f32 v10, v34, v33 :: v_dual_fmac_f32 v9, v35, v36
	s_waitcnt vmcnt(13)
	v_dual_fmac_f32 v10, v37, v36 :: v_dual_fmac_f32 v9, v38, v39
	s_waitcnt vmcnt(10)
	s_delay_alu instid0(VALU_DEP_1) | instskip(SKIP_1) | instid1(VALU_DEP_1)
	v_dual_fmac_f32 v10, v40, v39 :: v_dual_fmac_f32 v9, v41, v42
	;; [unrolled: 5-line block ×3, first 2 shown]
	s_waitcnt vmcnt(3)
	v_fmac_f32_e32 v10, v20, v19
	s_waitcnt vmcnt(0)
	s_delay_alu instid0(VALU_DEP_2) | instskip(NEXT) | instid1(VALU_DEP_2)
	v_fmac_f32_e32 v9, v12, v5
	v_fmac_f32_e32 v10, v17, v5
	s_and_not1_b32 exec_lo, exec_lo, s2
	s_cbranch_execnz .LBB49_15
; %bb.16:
	s_or_b32 exec_lo, exec_lo, s2
.LBB49_17:
	s_delay_alu instid0(SALU_CYCLE_1)
	s_or_b32 exec_lo, exec_lo, s3
.LBB49_18:
	v_mbcnt_lo_u32_b32 v2, -1, 0
	s_mov_b32 s2, -1
	s_delay_alu instid0(VALU_DEP_1) | instskip(SKIP_2) | instid1(VALU_DEP_3)
	v_or_b32_e32 v3, 32, v2
	v_xor_b32_e32 v5, 16, v2
	v_xor_b32_e32 v7, 8, v2
	v_cmp_gt_i32_e32 vcc_lo, 32, v3
	v_cndmask_b32_e32 v3, v2, v3, vcc_lo
	s_delay_alu instid0(VALU_DEP_4) | instskip(NEXT) | instid1(VALU_DEP_2)
	v_cmp_gt_i32_e32 vcc_lo, 32, v5
	v_lshlrev_b32_e32 v3, 2, v3
	v_cndmask_b32_e32 v5, v2, v5, vcc_lo
	v_cmp_gt_i32_e32 vcc_lo, 32, v7
	ds_bpermute_b32 v4, v3, v9
	v_lshlrev_b32_e32 v5, 2, v5
	v_cndmask_b32_e32 v7, v2, v7, vcc_lo
	s_waitcnt lgkmcnt(0)
	s_delay_alu instid0(VALU_DEP_1)
	v_dual_add_f32 v4, v9, v4 :: v_dual_lshlrev_b32 v7, 2, v7
	ds_bpermute_b32 v6, v5, v4
	s_waitcnt lgkmcnt(0)
	v_add_f32_e32 v4, v4, v6
	ds_bpermute_b32 v3, v3, v10
	s_waitcnt lgkmcnt(0)
	v_add_f32_e32 v3, v10, v3
	;; [unrolled: 3-line block ×3, first 2 shown]
	ds_bpermute_b32 v5, v7, v4
	ds_bpermute_b32 v6, v7, v3
	v_xor_b32_e32 v7, 4, v2
	s_delay_alu instid0(VALU_DEP_1) | instskip(SKIP_2) | instid1(VALU_DEP_1)
	v_cmp_gt_i32_e32 vcc_lo, 32, v7
	s_waitcnt lgkmcnt(1)
	v_dual_cndmask_b32 v7, v2, v7 :: v_dual_add_f32 v4, v4, v5
	v_lshlrev_b32_e32 v7, 2, v7
	s_waitcnt lgkmcnt(0)
	v_add_f32_e32 v3, v3, v6
	ds_bpermute_b32 v5, v7, v4
	ds_bpermute_b32 v6, v7, v3
	v_xor_b32_e32 v7, 2, v2
	s_delay_alu instid0(VALU_DEP_1) | instskip(SKIP_2) | instid1(VALU_DEP_1)
	v_cmp_gt_i32_e32 vcc_lo, 32, v7
	v_cndmask_b32_e32 v7, v2, v7, vcc_lo
	s_waitcnt lgkmcnt(1)
	v_dual_add_f32 v4, v4, v5 :: v_dual_lshlrev_b32 v7, 2, v7
	s_waitcnt lgkmcnt(0)
	v_add_f32_e32 v3, v3, v6
	ds_bpermute_b32 v5, v7, v4
	ds_bpermute_b32 v6, v7, v3
	v_xor_b32_e32 v7, 1, v2
	s_delay_alu instid0(VALU_DEP_1) | instskip(SKIP_3) | instid1(VALU_DEP_2)
	v_cmp_gt_i32_e32 vcc_lo, 32, v7
	v_cndmask_b32_e32 v2, v2, v7, vcc_lo
	v_cmp_eq_u32_e32 vcc_lo, 63, v0
	s_waitcnt lgkmcnt(1)
	v_dual_add_f32 v2, v4, v5 :: v_dual_lshlrev_b32 v7, 2, v2
	s_waitcnt lgkmcnt(0)
	v_add_f32_e32 v3, v3, v6
	ds_bpermute_b32 v4, v7, v2
	ds_bpermute_b32 v5, v7, v3
	s_and_b32 exec_lo, exec_lo, vcc_lo
	s_cbranch_execz .LBB49_23
; %bb.19:
	s_load_b64 s[0:1], s[0:1], 0x38
	s_waitcnt lgkmcnt(0)
	v_dual_add_f32 v0, v2, v4 :: v_dual_add_f32 v3, v3, v5
	v_cmp_eq_f32_e64 s3, s12, 0
	s_delay_alu instid0(VALU_DEP_2) | instskip(SKIP_1) | instid1(VALU_DEP_3)
	v_dual_mul_f32 v2, s16, v0 :: v_dual_mul_f32 v3, s16, v3
	v_lshlrev_b32_e32 v0, 1, v1
	s_and_b32 vcc_lo, exec_lo, s3
	s_cbranch_vccz .LBB49_21
; %bb.20:
	s_delay_alu instid0(VALU_DEP_1) | instskip(SKIP_1) | instid1(VALU_DEP_1)
	v_ashrrev_i32_e32 v1, 31, v0
	s_mov_b32 s2, 0
	v_lshlrev_b64 v[4:5], 2, v[0:1]
	s_delay_alu instid0(VALU_DEP_1) | instskip(NEXT) | instid1(VALU_DEP_2)
	v_add_co_u32 v4, vcc_lo, s0, v4
	v_add_co_ci_u32_e32 v5, vcc_lo, s1, v5, vcc_lo
	global_store_b64 v[4:5], v[2:3], off
.LBB49_21:
	s_and_not1_b32 vcc_lo, exec_lo, s2
	s_cbranch_vccnz .LBB49_23
; %bb.22:
	v_ashrrev_i32_e32 v1, 31, v0
	s_delay_alu instid0(VALU_DEP_1) | instskip(NEXT) | instid1(VALU_DEP_1)
	v_lshlrev_b64 v[0:1], 2, v[0:1]
	v_add_co_u32 v0, vcc_lo, s0, v0
	s_delay_alu instid0(VALU_DEP_2)
	v_add_co_ci_u32_e32 v1, vcc_lo, s1, v1, vcc_lo
	global_load_b64 v[4:5], v[0:1], off
	s_waitcnt vmcnt(0)
	v_dual_fmac_f32 v2, s12, v4 :: v_dual_fmac_f32 v3, s12, v5
	global_store_b64 v[0:1], v[2:3], off
.LBB49_23:
	s_nop 0
	s_sendmsg sendmsg(MSG_DEALLOC_VGPRS)
	s_endpgm
	.section	.rodata,"a",@progbits
	.p2align	6, 0x0
	.amdhsa_kernel _ZN9rocsparseL19gebsrmvn_2xn_kernelILj128ELj11ELj64EfEEvi20rocsparse_direction_NS_24const_host_device_scalarIT2_EEPKiS6_PKS3_S8_S4_PS3_21rocsparse_index_base_b
		.amdhsa_group_segment_fixed_size 0
		.amdhsa_private_segment_fixed_size 0
		.amdhsa_kernarg_size 72
		.amdhsa_user_sgpr_count 15
		.amdhsa_user_sgpr_dispatch_ptr 0
		.amdhsa_user_sgpr_queue_ptr 0
		.amdhsa_user_sgpr_kernarg_segment_ptr 1
		.amdhsa_user_sgpr_dispatch_id 0
		.amdhsa_user_sgpr_private_segment_size 0
		.amdhsa_wavefront_size32 1
		.amdhsa_uses_dynamic_stack 0
		.amdhsa_enable_private_segment 0
		.amdhsa_system_sgpr_workgroup_id_x 1
		.amdhsa_system_sgpr_workgroup_id_y 0
		.amdhsa_system_sgpr_workgroup_id_z 0
		.amdhsa_system_sgpr_workgroup_info 0
		.amdhsa_system_vgpr_workitem_id 0
		.amdhsa_next_free_vgpr 48
		.amdhsa_next_free_sgpr 20
		.amdhsa_reserve_vcc 1
		.amdhsa_float_round_mode_32 0
		.amdhsa_float_round_mode_16_64 0
		.amdhsa_float_denorm_mode_32 3
		.amdhsa_float_denorm_mode_16_64 3
		.amdhsa_dx10_clamp 1
		.amdhsa_ieee_mode 1
		.amdhsa_fp16_overflow 0
		.amdhsa_workgroup_processor_mode 1
		.amdhsa_memory_ordered 1
		.amdhsa_forward_progress 0
		.amdhsa_shared_vgpr_count 0
		.amdhsa_exception_fp_ieee_invalid_op 0
		.amdhsa_exception_fp_denorm_src 0
		.amdhsa_exception_fp_ieee_div_zero 0
		.amdhsa_exception_fp_ieee_overflow 0
		.amdhsa_exception_fp_ieee_underflow 0
		.amdhsa_exception_fp_ieee_inexact 0
		.amdhsa_exception_int_div_zero 0
	.end_amdhsa_kernel
	.section	.text._ZN9rocsparseL19gebsrmvn_2xn_kernelILj128ELj11ELj64EfEEvi20rocsparse_direction_NS_24const_host_device_scalarIT2_EEPKiS6_PKS3_S8_S4_PS3_21rocsparse_index_base_b,"axG",@progbits,_ZN9rocsparseL19gebsrmvn_2xn_kernelILj128ELj11ELj64EfEEvi20rocsparse_direction_NS_24const_host_device_scalarIT2_EEPKiS6_PKS3_S8_S4_PS3_21rocsparse_index_base_b,comdat
.Lfunc_end49:
	.size	_ZN9rocsparseL19gebsrmvn_2xn_kernelILj128ELj11ELj64EfEEvi20rocsparse_direction_NS_24const_host_device_scalarIT2_EEPKiS6_PKS3_S8_S4_PS3_21rocsparse_index_base_b, .Lfunc_end49-_ZN9rocsparseL19gebsrmvn_2xn_kernelILj128ELj11ELj64EfEEvi20rocsparse_direction_NS_24const_host_device_scalarIT2_EEPKiS6_PKS3_S8_S4_PS3_21rocsparse_index_base_b
                                        ; -- End function
	.section	.AMDGPU.csdata,"",@progbits
; Kernel info:
; codeLenInByte = 3268
; NumSgprs: 22
; NumVgprs: 48
; ScratchSize: 0
; MemoryBound: 0
; FloatMode: 240
; IeeeMode: 1
; LDSByteSize: 0 bytes/workgroup (compile time only)
; SGPRBlocks: 2
; VGPRBlocks: 5
; NumSGPRsForWavesPerEU: 22
; NumVGPRsForWavesPerEU: 48
; Occupancy: 16
; WaveLimiterHint : 1
; COMPUTE_PGM_RSRC2:SCRATCH_EN: 0
; COMPUTE_PGM_RSRC2:USER_SGPR: 15
; COMPUTE_PGM_RSRC2:TRAP_HANDLER: 0
; COMPUTE_PGM_RSRC2:TGID_X_EN: 1
; COMPUTE_PGM_RSRC2:TGID_Y_EN: 0
; COMPUTE_PGM_RSRC2:TGID_Z_EN: 0
; COMPUTE_PGM_RSRC2:TIDIG_COMP_CNT: 0
	.section	.text._ZN9rocsparseL19gebsrmvn_2xn_kernelILj128ELj12ELj4EfEEvi20rocsparse_direction_NS_24const_host_device_scalarIT2_EEPKiS6_PKS3_S8_S4_PS3_21rocsparse_index_base_b,"axG",@progbits,_ZN9rocsparseL19gebsrmvn_2xn_kernelILj128ELj12ELj4EfEEvi20rocsparse_direction_NS_24const_host_device_scalarIT2_EEPKiS6_PKS3_S8_S4_PS3_21rocsparse_index_base_b,comdat
	.globl	_ZN9rocsparseL19gebsrmvn_2xn_kernelILj128ELj12ELj4EfEEvi20rocsparse_direction_NS_24const_host_device_scalarIT2_EEPKiS6_PKS3_S8_S4_PS3_21rocsparse_index_base_b ; -- Begin function _ZN9rocsparseL19gebsrmvn_2xn_kernelILj128ELj12ELj4EfEEvi20rocsparse_direction_NS_24const_host_device_scalarIT2_EEPKiS6_PKS3_S8_S4_PS3_21rocsparse_index_base_b
	.p2align	8
	.type	_ZN9rocsparseL19gebsrmvn_2xn_kernelILj128ELj12ELj4EfEEvi20rocsparse_direction_NS_24const_host_device_scalarIT2_EEPKiS6_PKS3_S8_S4_PS3_21rocsparse_index_base_b,@function
_ZN9rocsparseL19gebsrmvn_2xn_kernelILj128ELj12ELj4EfEEvi20rocsparse_direction_NS_24const_host_device_scalarIT2_EEPKiS6_PKS3_S8_S4_PS3_21rocsparse_index_base_b: ; @_ZN9rocsparseL19gebsrmvn_2xn_kernelILj128ELj12ELj4EfEEvi20rocsparse_direction_NS_24const_host_device_scalarIT2_EEPKiS6_PKS3_S8_S4_PS3_21rocsparse_index_base_b
; %bb.0:
	s_clause 0x2
	s_load_b64 s[18:19], s[0:1], 0x40
	s_load_b64 s[16:17], s[0:1], 0x8
	;; [unrolled: 1-line block ×3, first 2 shown]
	s_waitcnt lgkmcnt(0)
	s_bitcmp1_b32 s19, 0
	s_cselect_b32 s2, -1, 0
	s_delay_alu instid0(SALU_CYCLE_1)
	s_and_b32 vcc_lo, exec_lo, s2
	s_xor_b32 s2, s2, -1
	s_cbranch_vccnz .LBB50_2
; %bb.1:
	s_load_b32 s16, s[16:17], 0x0
.LBB50_2:
	s_and_not1_b32 vcc_lo, exec_lo, s2
	s_cbranch_vccnz .LBB50_4
; %bb.3:
	s_load_b32 s12, s[12:13], 0x0
.LBB50_4:
	s_waitcnt lgkmcnt(0)
	v_cmp_eq_f32_e64 s2, s16, 0
	v_cmp_eq_f32_e64 s3, s12, 1.0
	s_delay_alu instid0(VALU_DEP_1) | instskip(NEXT) | instid1(SALU_CYCLE_1)
	s_and_b32 s2, s2, s3
	s_and_b32 vcc_lo, exec_lo, s2
	s_cbranch_vccnz .LBB50_23
; %bb.5:
	s_load_b64 s[2:3], s[0:1], 0x0
	v_lshrrev_b32_e32 v1, 2, v0
	s_delay_alu instid0(VALU_DEP_1) | instskip(SKIP_1) | instid1(VALU_DEP_1)
	v_lshl_or_b32 v1, s15, 5, v1
	s_waitcnt lgkmcnt(0)
	v_cmp_gt_i32_e32 vcc_lo, s2, v1
	s_and_saveexec_b32 s2, vcc_lo
	s_cbranch_execz .LBB50_23
; %bb.6:
	s_load_b256 s[4:11], s[0:1], 0x10
	v_ashrrev_i32_e32 v2, 31, v1
	v_and_b32_e32 v0, 3, v0
	s_cmp_lg_u32 s3, 0
	s_delay_alu instid0(VALU_DEP_2) | instskip(SKIP_1) | instid1(VALU_DEP_1)
	v_lshlrev_b64 v[2:3], 2, v[1:2]
	s_waitcnt lgkmcnt(0)
	v_add_co_u32 v2, vcc_lo, s4, v2
	s_delay_alu instid0(VALU_DEP_2) | instskip(SKIP_4) | instid1(VALU_DEP_2)
	v_add_co_ci_u32_e32 v3, vcc_lo, s5, v3, vcc_lo
	global_load_b64 v[2:3], v[2:3], off
	s_waitcnt vmcnt(0)
	v_subrev_nc_u32_e32 v2, s18, v2
	v_subrev_nc_u32_e32 v10, s18, v3
	v_add_nc_u32_e32 v2, v2, v0
	s_delay_alu instid0(VALU_DEP_1)
	v_cmp_lt_i32_e64 s2, v2, v10
	s_cbranch_scc0 .LBB50_12
; %bb.7:
	v_mov_b32_e32 v9, 0
	v_mov_b32_e32 v11, 0
	s_mov_b32 s3, 0
	s_and_saveexec_b32 s4, s2
	s_cbranch_execz .LBB50_11
; %bb.8:
	v_mad_u64_u32 v[3:4], null, v2, 24, 22
	v_dual_mov_b32 v6, 0 :: v_dual_mov_b32 v7, v2
	v_mov_b32_e32 v9, 0
	v_mov_b32_e32 v11, 0
	s_mov_b32 s5, 0
.LBB50_9:                               ; =>This Inner Loop Header: Depth=1
	s_delay_alu instid0(VALU_DEP_3) | instskip(SKIP_1) | instid1(VALU_DEP_2)
	v_ashrrev_i32_e32 v8, 31, v7
	v_mov_b32_e32 v29, v6
	v_lshlrev_b64 v[4:5], 2, v[7:8]
	v_add_nc_u32_e32 v7, 4, v7
	s_delay_alu instid0(VALU_DEP_2) | instskip(NEXT) | instid1(VALU_DEP_3)
	v_add_co_u32 v4, vcc_lo, s6, v4
	v_add_co_ci_u32_e32 v5, vcc_lo, s7, v5, vcc_lo
	global_load_b32 v8, v[4:5], off
	v_subrev_nc_u32_e32 v5, 22, v3
	v_mov_b32_e32 v4, v6
	s_delay_alu instid0(VALU_DEP_2) | instskip(SKIP_1) | instid1(VALU_DEP_3)
	v_lshlrev_b64 v[12:13], 2, v[5:6]
	v_add_nc_u32_e32 v5, -14, v3
	v_lshlrev_b64 v[32:33], 2, v[3:4]
	s_delay_alu instid0(VALU_DEP_2) | instskip(NEXT) | instid1(VALU_DEP_4)
	v_lshlrev_b64 v[4:5], 2, v[5:6]
	v_add_co_u32 v16, vcc_lo, s8, v12
	v_add_co_ci_u32_e32 v17, vcc_lo, s9, v13, vcc_lo
	s_delay_alu instid0(VALU_DEP_3) | instskip(NEXT) | instid1(VALU_DEP_4)
	v_add_co_u32 v4, vcc_lo, s8, v4
	v_add_co_ci_u32_e32 v5, vcc_lo, s9, v5, vcc_lo
	s_clause 0x2
	global_load_b128 v[12:15], v[16:17], off offset:16
	global_load_b128 v[16:19], v[16:17], off
	global_load_b64 v[34:35], v[4:5], off
	s_waitcnt vmcnt(3)
	v_subrev_nc_u32_e32 v4, s18, v8
	s_delay_alu instid0(VALU_DEP_1) | instskip(NEXT) | instid1(VALU_DEP_1)
	v_mul_lo_u32 v28, v4, 12
	v_add_nc_u32_e32 v5, 4, v28
	v_lshlrev_b64 v[20:21], 2, v[28:29]
	s_delay_alu instid0(VALU_DEP_2) | instskip(SKIP_1) | instid1(VALU_DEP_3)
	v_lshlrev_b64 v[22:23], 2, v[5:6]
	v_add_nc_u32_e32 v5, -12, v3
	v_add_co_u32 v20, vcc_lo, s10, v20
	s_delay_alu instid0(VALU_DEP_4) | instskip(NEXT) | instid1(VALU_DEP_3)
	v_add_co_ci_u32_e32 v21, vcc_lo, s11, v21, vcc_lo
	v_lshlrev_b64 v[29:30], 2, v[5:6]
	v_add_nc_u32_e32 v5, -10, v3
	v_add_co_u32 v24, vcc_lo, s10, v22
	v_add_co_ci_u32_e32 v25, vcc_lo, s11, v23, vcc_lo
	global_load_b128 v[20:23], v[20:21], off
	v_lshlrev_b64 v[36:37], 2, v[5:6]
	v_add_nc_u32_e32 v5, -8, v3
	global_load_b128 v[24:27], v[24:25], off
	v_add_co_u32 v29, vcc_lo, s8, v29
	v_add_co_ci_u32_e32 v30, vcc_lo, s9, v30, vcc_lo
	v_lshlrev_b64 v[38:39], 2, v[5:6]
	v_add_co_u32 v36, vcc_lo, s8, v36
	v_add_co_ci_u32_e32 v37, vcc_lo, s9, v37, vcc_lo
	v_add_nc_u32_e32 v5, -6, v3
	s_delay_alu instid0(VALU_DEP_4)
	v_add_co_u32 v38, vcc_lo, s8, v38
	v_add_co_ci_u32_e32 v39, vcc_lo, s9, v39, vcc_lo
	s_clause 0x2
	global_load_b64 v[40:41], v[29:30], off
	global_load_b64 v[36:37], v[36:37], off
	;; [unrolled: 1-line block ×3, first 2 shown]
	v_lshlrev_b64 v[29:30], 2, v[5:6]
	v_add_nc_u32_e32 v5, 8, v28
	s_delay_alu instid0(VALU_DEP_1) | instskip(SKIP_1) | instid1(VALU_DEP_4)
	v_lshlrev_b64 v[42:43], 2, v[5:6]
	v_add_nc_u32_e32 v5, -4, v3
	v_add_co_u32 v28, vcc_lo, s8, v29
	v_add_co_ci_u32_e32 v29, vcc_lo, s9, v30, vcc_lo
	s_delay_alu instid0(VALU_DEP_3)
	v_lshlrev_b64 v[30:31], 2, v[5:6]
	v_add_nc_u32_e32 v5, -2, v3
	v_add_nc_u32_e32 v3, 0x60, v3
	global_load_b64 v[44:45], v[28:29], off
	v_add_co_u32 v28, vcc_lo, s10, v42
	v_add_co_ci_u32_e32 v29, vcc_lo, s11, v43, vcc_lo
	v_add_co_u32 v42, vcc_lo, s8, v30
	v_lshlrev_b64 v[4:5], 2, v[5:6]
	v_add_co_ci_u32_e32 v43, vcc_lo, s9, v31, vcc_lo
	global_load_b128 v[28:31], v[28:29], off
	global_load_b64 v[42:43], v[42:43], off
	v_add_co_u32 v4, vcc_lo, s8, v4
	v_add_co_ci_u32_e32 v5, vcc_lo, s9, v5, vcc_lo
	v_add_co_u32 v32, vcc_lo, s8, v32
	v_add_co_ci_u32_e32 v33, vcc_lo, s9, v33, vcc_lo
	s_clause 0x1
	global_load_b64 v[4:5], v[4:5], off
	global_load_b64 v[32:33], v[32:33], off
	v_cmp_ge_i32_e32 vcc_lo, v7, v10
	s_or_b32 s5, vcc_lo, s5
	s_waitcnt vmcnt(9)
	v_fmac_f32_e32 v9, v16, v20
	v_fmac_f32_e32 v11, v17, v20
	s_delay_alu instid0(VALU_DEP_2) | instskip(NEXT) | instid1(VALU_DEP_2)
	v_fmac_f32_e32 v9, v18, v21
	v_fmac_f32_e32 v11, v19, v21
	s_delay_alu instid0(VALU_DEP_2) | instskip(NEXT) | instid1(VALU_DEP_2)
	;; [unrolled: 3-line block ×3, first 2 shown]
	v_fmac_f32_e32 v9, v14, v23
	v_fmac_f32_e32 v11, v15, v23
	s_waitcnt vmcnt(8)
	s_delay_alu instid0(VALU_DEP_2) | instskip(NEXT) | instid1(VALU_DEP_2)
	v_fmac_f32_e32 v9, v34, v24
	v_fmac_f32_e32 v11, v35, v24
	s_waitcnt vmcnt(7)
	s_delay_alu instid0(VALU_DEP_2) | instskip(NEXT) | instid1(VALU_DEP_2)
	;; [unrolled: 4-line block ×8, first 2 shown]
	v_fmac_f32_e32 v9, v32, v31
	v_fmac_f32_e32 v11, v33, v31
	s_and_not1_b32 exec_lo, exec_lo, s5
	s_cbranch_execnz .LBB50_9
; %bb.10:
	s_or_b32 exec_lo, exec_lo, s5
.LBB50_11:
	s_delay_alu instid0(SALU_CYCLE_1) | instskip(NEXT) | instid1(SALU_CYCLE_1)
	s_or_b32 exec_lo, exec_lo, s4
	s_and_not1_b32 vcc_lo, exec_lo, s3
	s_cbranch_vccz .LBB50_13
	s_branch .LBB50_18
.LBB50_12:
                                        ; implicit-def: $vgpr9
                                        ; implicit-def: $vgpr11
.LBB50_13:
	v_mov_b32_e32 v9, 0
	v_mov_b32_e32 v11, 0
	s_delay_alu instid0(VALU_DEP_3)
	s_and_saveexec_b32 s3, s2
	s_cbranch_execz .LBB50_17
; %bb.14:
	v_mad_u64_u32 v[4:5], null, v2, 24, 23
	v_mov_b32_e32 v7, 0
	v_mov_b32_e32 v9, 0
	v_mov_b32_e32 v11, 0
	s_mov_b32 s2, 0
.LBB50_15:                              ; =>This Inner Loop Header: Depth=1
	v_ashrrev_i32_e32 v3, 31, v2
	v_dual_mov_b32 v29, v7 :: v_dual_add_nc_u32 v12, -11, v4
	v_mov_b32_e32 v13, v7
	s_delay_alu instid0(VALU_DEP_3) | instskip(SKIP_1) | instid1(VALU_DEP_2)
	v_lshlrev_b64 v[5:6], 2, v[2:3]
	v_add_nc_u32_e32 v2, 4, v2
	v_add_co_u32 v5, vcc_lo, s6, v5
	s_delay_alu instid0(VALU_DEP_3) | instskip(SKIP_3) | instid1(VALU_DEP_2)
	v_add_co_ci_u32_e32 v6, vcc_lo, s7, v6, vcc_lo
	global_load_b32 v3, v[5:6], off
	v_subrev_nc_u32_e32 v6, 23, v4
	v_mov_b32_e32 v5, v7
	v_lshlrev_b64 v[14:15], 2, v[6:7]
	v_add_nc_u32_e32 v6, -10, v4
	v_lshlrev_b64 v[12:13], 2, v[12:13]
	s_delay_alu instid0(VALU_DEP_2)
	v_lshlrev_b64 v[18:19], 2, v[6:7]
	v_add_nc_u32_e32 v6, -9, v4
	v_lshlrev_b64 v[16:17], 2, v[4:5]
	v_add_co_u32 v20, vcc_lo, s8, v14
	v_add_co_ci_u32_e32 v21, vcc_lo, s9, v15, vcc_lo
	v_add_co_u32 v22, vcc_lo, s8, v12
	v_add_co_ci_u32_e32 v23, vcc_lo, s9, v13, vcc_lo
	;; [unrolled: 2-line block ×3, first 2 shown]
	v_add_co_u32 v26, vcc_lo, s8, v18
	v_lshlrev_b64 v[24:25], 2, v[6:7]
	v_add_co_ci_u32_e32 v27, vcc_lo, s9, v19, vcc_lo
	s_clause 0x2
	global_load_b128 v[12:15], v[20:21], off offset:16
	global_load_b128 v[16:19], v[20:21], off
	global_load_b32 v8, v[22:23], off
	v_add_nc_u32_e32 v6, -8, v4
	v_add_co_u32 v20, vcc_lo, s8, v24
	v_add_co_ci_u32_e32 v21, vcc_lo, s9, v25, vcc_lo
	s_delay_alu instid0(VALU_DEP_3)
	v_lshlrev_b64 v[5:6], 2, v[6:7]
	global_load_b32 v40, v[26:27], off
	v_add_co_u32 v5, vcc_lo, s8, v5
	v_add_co_ci_u32_e32 v6, vcc_lo, s9, v6, vcc_lo
	s_clause 0x1
	global_load_b32 v41, v[20:21], off
	global_load_b32 v42, v[5:6], off
	s_waitcnt vmcnt(6)
	v_subrev_nc_u32_e32 v3, s18, v3
	s_delay_alu instid0(VALU_DEP_1) | instskip(NEXT) | instid1(VALU_DEP_1)
	v_mul_lo_u32 v28, v3, 12
	v_add_nc_u32_e32 v6, 4, v28
	v_lshlrev_b64 v[20:21], 2, v[28:29]
	s_delay_alu instid0(VALU_DEP_2) | instskip(NEXT) | instid1(VALU_DEP_2)
	v_lshlrev_b64 v[22:23], 2, v[6:7]
	v_add_co_u32 v20, vcc_lo, s10, v20
	s_delay_alu instid0(VALU_DEP_3) | instskip(NEXT) | instid1(VALU_DEP_3)
	v_add_co_ci_u32_e32 v21, vcc_lo, s11, v21, vcc_lo
	v_add_co_u32 v24, vcc_lo, s10, v22
	s_delay_alu instid0(VALU_DEP_4)
	v_add_co_ci_u32_e32 v25, vcc_lo, s11, v23, vcc_lo
	s_clause 0x1
	global_load_b128 v[20:23], v[20:21], off
	global_load_b128 v[24:27], v[24:25], off
	s_waitcnt vmcnt(1)
	v_fmac_f32_e32 v9, v16, v20
	v_fmac_f32_e32 v11, v8, v20
	s_delay_alu instid0(VALU_DEP_2) | instskip(NEXT) | instid1(VALU_DEP_2)
	v_dual_fmac_f32 v9, v17, v21 :: v_dual_add_nc_u32 v6, -7, v4
	v_fmac_f32_e32 v11, v40, v21
	s_delay_alu instid0(VALU_DEP_2) | instskip(NEXT) | instid1(VALU_DEP_3)
	v_fmac_f32_e32 v9, v18, v22
	v_lshlrev_b64 v[29:30], 2, v[6:7]
	s_delay_alu instid0(VALU_DEP_3) | instskip(NEXT) | instid1(VALU_DEP_3)
	v_dual_fmac_f32 v11, v41, v22 :: v_dual_add_nc_u32 v6, -6, v4
	v_fmac_f32_e32 v9, v19, v23
	s_delay_alu instid0(VALU_DEP_2) | instskip(NEXT) | instid1(VALU_DEP_4)
	v_lshlrev_b64 v[34:35], 2, v[6:7]
	v_add_co_u32 v29, vcc_lo, s8, v29
	v_add_co_ci_u32_e32 v30, vcc_lo, s9, v30, vcc_lo
	v_add_nc_u32_e32 v6, -5, v4
	s_delay_alu instid0(VALU_DEP_4)
	v_add_co_u32 v34, vcc_lo, s8, v34
	v_add_co_ci_u32_e32 v35, vcc_lo, s9, v35, vcc_lo
	global_load_b32 v3, v[29:30], off
	v_lshlrev_b64 v[36:37], 2, v[6:7]
	v_dual_fmac_f32 v11, v42, v23 :: v_dual_add_nc_u32 v6, -4, v4
	global_load_b32 v43, v[34:35], off
	s_waitcnt vmcnt(2)
	v_fmac_f32_e32 v9, v12, v24
	v_add_co_u32 v34, vcc_lo, s8, v36
	v_add_co_ci_u32_e32 v35, vcc_lo, s9, v37, vcc_lo
	v_lshlrev_b64 v[29:30], 2, v[6:7]
	s_delay_alu instid0(VALU_DEP_4) | instskip(SKIP_3) | instid1(VALU_DEP_1)
	v_dual_fmac_f32 v9, v13, v25 :: v_dual_add_nc_u32 v6, -15, v4
	global_load_b32 v44, v[34:35], off
	v_lshlrev_b64 v[36:37], 2, v[6:7]
	v_fmac_f32_e32 v9, v14, v26
	v_fmac_f32_e32 v9, v15, v27
	s_waitcnt vmcnt(2)
	v_fmac_f32_e32 v11, v3, v24
	v_add_nc_u32_e32 v6, 8, v28
	v_add_co_u32 v28, vcc_lo, s8, v29
	v_add_co_ci_u32_e32 v29, vcc_lo, s9, v30, vcc_lo
	s_waitcnt vmcnt(1)
	v_fmac_f32_e32 v11, v43, v25
	v_lshlrev_b64 v[30:31], 2, v[6:7]
	v_add_nc_u32_e32 v6, -3, v4
	global_load_b32 v45, v[28:29], off
	v_add_co_u32 v28, vcc_lo, s8, v36
	v_add_co_ci_u32_e32 v29, vcc_lo, s9, v37, vcc_lo
	v_lshlrev_b64 v[34:35], 2, v[6:7]
	s_waitcnt vmcnt(1)
	v_dual_fmac_f32 v11, v44, v26 :: v_dual_add_nc_u32 v6, -14, v4
	v_add_co_u32 v30, vcc_lo, s10, v30
	v_add_co_ci_u32_e32 v31, vcc_lo, s11, v31, vcc_lo
	s_delay_alu instid0(VALU_DEP_3) | instskip(SKIP_3) | instid1(VALU_DEP_4)
	v_lshlrev_b64 v[36:37], 2, v[6:7]
	v_add_co_u32 v34, vcc_lo, s8, v34
	v_add_nc_u32_e32 v6, -2, v4
	v_add_co_ci_u32_e32 v35, vcc_lo, s9, v35, vcc_lo
	v_add_co_u32 v36, vcc_lo, s8, v36
	v_add_co_ci_u32_e32 v37, vcc_lo, s9, v37, vcc_lo
	s_delay_alu instid0(VALU_DEP_4)
	v_lshlrev_b64 v[38:39], 2, v[6:7]
	s_clause 0x2
	global_load_b32 v46, v[28:29], off
	global_load_b32 v47, v[34:35], off
	global_load_b32 v48, v[36:37], off
	global_load_b128 v[28:31], v[30:31], off
	v_add_nc_u32_e32 v6, -13, v4
	v_add_co_u32 v36, vcc_lo, s8, v38
	v_add_co_ci_u32_e32 v37, vcc_lo, s9, v39, vcc_lo
	global_load_b32 v36, v[36:37], off
	s_waitcnt vmcnt(5)
	v_fmac_f32_e32 v11, v45, v27
	v_lshlrev_b64 v[34:35], 2, v[6:7]
	s_delay_alu instid0(VALU_DEP_1) | instskip(NEXT) | instid1(VALU_DEP_2)
	v_add_co_u32 v34, vcc_lo, s8, v34
	v_add_co_ci_u32_e32 v35, vcc_lo, s9, v35, vcc_lo
	global_load_b32 v37, v[34:35], off
	s_waitcnt vmcnt(2)
	v_fmac_f32_e32 v9, v46, v28
	v_add_nc_u32_e32 v6, -1, v4
	v_fmac_f32_e32 v11, v47, v28
	s_delay_alu instid0(VALU_DEP_3) | instskip(NEXT) | instid1(VALU_DEP_3)
	v_fmac_f32_e32 v9, v48, v29
	v_lshlrev_b64 v[38:39], 2, v[6:7]
	v_add_nc_u32_e32 v6, -12, v4
	s_waitcnt vmcnt(1)
	v_dual_fmac_f32 v11, v36, v29 :: v_dual_add_nc_u32 v4, 0x60, v4
	s_delay_alu instid0(VALU_DEP_2) | instskip(NEXT) | instid1(VALU_DEP_4)
	v_lshlrev_b64 v[5:6], 2, v[6:7]
	v_add_co_u32 v34, vcc_lo, s8, v38
	v_add_co_ci_u32_e32 v35, vcc_lo, s9, v39, vcc_lo
	s_delay_alu instid0(VALU_DEP_3) | instskip(NEXT) | instid1(VALU_DEP_4)
	v_add_co_u32 v5, vcc_lo, s8, v5
	v_add_co_ci_u32_e32 v6, vcc_lo, s9, v6, vcc_lo
	s_clause 0x2
	global_load_b32 v34, v[34:35], off
	global_load_b32 v5, v[5:6], off
	;; [unrolled: 1-line block ×3, first 2 shown]
	v_cmp_ge_i32_e32 vcc_lo, v2, v10
	s_or_b32 s2, vcc_lo, s2
	s_waitcnt vmcnt(3)
	v_fmac_f32_e32 v9, v37, v30
	s_waitcnt vmcnt(2)
	v_fmac_f32_e32 v11, v34, v30
	s_waitcnt vmcnt(1)
	s_delay_alu instid0(VALU_DEP_2) | instskip(SKIP_1) | instid1(VALU_DEP_2)
	v_fmac_f32_e32 v9, v5, v31
	s_waitcnt vmcnt(0)
	v_fmac_f32_e32 v11, v6, v31
	s_and_not1_b32 exec_lo, exec_lo, s2
	s_cbranch_execnz .LBB50_15
; %bb.16:
	s_or_b32 exec_lo, exec_lo, s2
.LBB50_17:
	s_delay_alu instid0(SALU_CYCLE_1)
	s_or_b32 exec_lo, exec_lo, s3
.LBB50_18:
	v_mbcnt_lo_u32_b32 v2, -1, 0
	s_mov_b32 s2, -1
	s_delay_alu instid0(VALU_DEP_1) | instskip(SKIP_1) | instid1(VALU_DEP_2)
	v_xor_b32_e32 v3, 2, v2
	v_xor_b32_e32 v5, 1, v2
	v_cmp_gt_i32_e32 vcc_lo, 32, v3
	v_cndmask_b32_e32 v3, v2, v3, vcc_lo
	s_delay_alu instid0(VALU_DEP_3) | instskip(NEXT) | instid1(VALU_DEP_2)
	v_cmp_gt_i32_e32 vcc_lo, 32, v5
	v_dual_cndmask_b32 v2, v2, v5 :: v_dual_lshlrev_b32 v3, 2, v3
	v_cmp_eq_u32_e32 vcc_lo, 3, v0
	ds_bpermute_b32 v4, v3, v9
	ds_bpermute_b32 v3, v3, v11
	s_waitcnt lgkmcnt(1)
	v_dual_add_f32 v2, v9, v4 :: v_dual_lshlrev_b32 v5, 2, v2
	s_waitcnt lgkmcnt(0)
	v_add_f32_e32 v3, v11, v3
	ds_bpermute_b32 v4, v5, v2
	ds_bpermute_b32 v5, v5, v3
	s_and_b32 exec_lo, exec_lo, vcc_lo
	s_cbranch_execz .LBB50_23
; %bb.19:
	s_load_b64 s[0:1], s[0:1], 0x38
	s_waitcnt lgkmcnt(0)
	v_dual_add_f32 v0, v2, v4 :: v_dual_add_f32 v3, v3, v5
	v_cmp_eq_f32_e64 s3, s12, 0
	s_delay_alu instid0(VALU_DEP_2) | instskip(SKIP_1) | instid1(VALU_DEP_3)
	v_dual_mul_f32 v2, s16, v0 :: v_dual_mul_f32 v3, s16, v3
	v_lshlrev_b32_e32 v0, 1, v1
	s_and_b32 vcc_lo, exec_lo, s3
	s_cbranch_vccz .LBB50_21
; %bb.20:
	s_delay_alu instid0(VALU_DEP_1) | instskip(SKIP_1) | instid1(VALU_DEP_1)
	v_ashrrev_i32_e32 v1, 31, v0
	s_mov_b32 s2, 0
	v_lshlrev_b64 v[4:5], 2, v[0:1]
	s_delay_alu instid0(VALU_DEP_1) | instskip(NEXT) | instid1(VALU_DEP_2)
	v_add_co_u32 v4, vcc_lo, s0, v4
	v_add_co_ci_u32_e32 v5, vcc_lo, s1, v5, vcc_lo
	global_store_b64 v[4:5], v[2:3], off
.LBB50_21:
	s_and_not1_b32 vcc_lo, exec_lo, s2
	s_cbranch_vccnz .LBB50_23
; %bb.22:
	v_ashrrev_i32_e32 v1, 31, v0
	s_delay_alu instid0(VALU_DEP_1) | instskip(NEXT) | instid1(VALU_DEP_1)
	v_lshlrev_b64 v[0:1], 2, v[0:1]
	v_add_co_u32 v0, vcc_lo, s0, v0
	s_delay_alu instid0(VALU_DEP_2)
	v_add_co_ci_u32_e32 v1, vcc_lo, s1, v1, vcc_lo
	global_load_b64 v[4:5], v[0:1], off
	s_waitcnt vmcnt(0)
	v_dual_fmac_f32 v2, s12, v4 :: v_dual_fmac_f32 v3, s12, v5
	global_store_b64 v[0:1], v[2:3], off
.LBB50_23:
	s_nop 0
	s_sendmsg sendmsg(MSG_DEALLOC_VGPRS)
	s_endpgm
	.section	.rodata,"a",@progbits
	.p2align	6, 0x0
	.amdhsa_kernel _ZN9rocsparseL19gebsrmvn_2xn_kernelILj128ELj12ELj4EfEEvi20rocsparse_direction_NS_24const_host_device_scalarIT2_EEPKiS6_PKS3_S8_S4_PS3_21rocsparse_index_base_b
		.amdhsa_group_segment_fixed_size 0
		.amdhsa_private_segment_fixed_size 0
		.amdhsa_kernarg_size 72
		.amdhsa_user_sgpr_count 15
		.amdhsa_user_sgpr_dispatch_ptr 0
		.amdhsa_user_sgpr_queue_ptr 0
		.amdhsa_user_sgpr_kernarg_segment_ptr 1
		.amdhsa_user_sgpr_dispatch_id 0
		.amdhsa_user_sgpr_private_segment_size 0
		.amdhsa_wavefront_size32 1
		.amdhsa_uses_dynamic_stack 0
		.amdhsa_enable_private_segment 0
		.amdhsa_system_sgpr_workgroup_id_x 1
		.amdhsa_system_sgpr_workgroup_id_y 0
		.amdhsa_system_sgpr_workgroup_id_z 0
		.amdhsa_system_sgpr_workgroup_info 0
		.amdhsa_system_vgpr_workitem_id 0
		.amdhsa_next_free_vgpr 49
		.amdhsa_next_free_sgpr 20
		.amdhsa_reserve_vcc 1
		.amdhsa_float_round_mode_32 0
		.amdhsa_float_round_mode_16_64 0
		.amdhsa_float_denorm_mode_32 3
		.amdhsa_float_denorm_mode_16_64 3
		.amdhsa_dx10_clamp 1
		.amdhsa_ieee_mode 1
		.amdhsa_fp16_overflow 0
		.amdhsa_workgroup_processor_mode 1
		.amdhsa_memory_ordered 1
		.amdhsa_forward_progress 0
		.amdhsa_shared_vgpr_count 0
		.amdhsa_exception_fp_ieee_invalid_op 0
		.amdhsa_exception_fp_denorm_src 0
		.amdhsa_exception_fp_ieee_div_zero 0
		.amdhsa_exception_fp_ieee_overflow 0
		.amdhsa_exception_fp_ieee_underflow 0
		.amdhsa_exception_fp_ieee_inexact 0
		.amdhsa_exception_int_div_zero 0
	.end_amdhsa_kernel
	.section	.text._ZN9rocsparseL19gebsrmvn_2xn_kernelILj128ELj12ELj4EfEEvi20rocsparse_direction_NS_24const_host_device_scalarIT2_EEPKiS6_PKS3_S8_S4_PS3_21rocsparse_index_base_b,"axG",@progbits,_ZN9rocsparseL19gebsrmvn_2xn_kernelILj128ELj12ELj4EfEEvi20rocsparse_direction_NS_24const_host_device_scalarIT2_EEPKiS6_PKS3_S8_S4_PS3_21rocsparse_index_base_b,comdat
.Lfunc_end50:
	.size	_ZN9rocsparseL19gebsrmvn_2xn_kernelILj128ELj12ELj4EfEEvi20rocsparse_direction_NS_24const_host_device_scalarIT2_EEPKiS6_PKS3_S8_S4_PS3_21rocsparse_index_base_b, .Lfunc_end50-_ZN9rocsparseL19gebsrmvn_2xn_kernelILj128ELj12ELj4EfEEvi20rocsparse_direction_NS_24const_host_device_scalarIT2_EEPKiS6_PKS3_S8_S4_PS3_21rocsparse_index_base_b
                                        ; -- End function
	.section	.AMDGPU.csdata,"",@progbits
; Kernel info:
; codeLenInByte = 2340
; NumSgprs: 22
; NumVgprs: 49
; ScratchSize: 0
; MemoryBound: 0
; FloatMode: 240
; IeeeMode: 1
; LDSByteSize: 0 bytes/workgroup (compile time only)
; SGPRBlocks: 2
; VGPRBlocks: 6
; NumSGPRsForWavesPerEU: 22
; NumVGPRsForWavesPerEU: 49
; Occupancy: 16
; WaveLimiterHint : 1
; COMPUTE_PGM_RSRC2:SCRATCH_EN: 0
; COMPUTE_PGM_RSRC2:USER_SGPR: 15
; COMPUTE_PGM_RSRC2:TRAP_HANDLER: 0
; COMPUTE_PGM_RSRC2:TGID_X_EN: 1
; COMPUTE_PGM_RSRC2:TGID_Y_EN: 0
; COMPUTE_PGM_RSRC2:TGID_Z_EN: 0
; COMPUTE_PGM_RSRC2:TIDIG_COMP_CNT: 0
	.section	.text._ZN9rocsparseL19gebsrmvn_2xn_kernelILj128ELj12ELj8EfEEvi20rocsparse_direction_NS_24const_host_device_scalarIT2_EEPKiS6_PKS3_S8_S4_PS3_21rocsparse_index_base_b,"axG",@progbits,_ZN9rocsparseL19gebsrmvn_2xn_kernelILj128ELj12ELj8EfEEvi20rocsparse_direction_NS_24const_host_device_scalarIT2_EEPKiS6_PKS3_S8_S4_PS3_21rocsparse_index_base_b,comdat
	.globl	_ZN9rocsparseL19gebsrmvn_2xn_kernelILj128ELj12ELj8EfEEvi20rocsparse_direction_NS_24const_host_device_scalarIT2_EEPKiS6_PKS3_S8_S4_PS3_21rocsparse_index_base_b ; -- Begin function _ZN9rocsparseL19gebsrmvn_2xn_kernelILj128ELj12ELj8EfEEvi20rocsparse_direction_NS_24const_host_device_scalarIT2_EEPKiS6_PKS3_S8_S4_PS3_21rocsparse_index_base_b
	.p2align	8
	.type	_ZN9rocsparseL19gebsrmvn_2xn_kernelILj128ELj12ELj8EfEEvi20rocsparse_direction_NS_24const_host_device_scalarIT2_EEPKiS6_PKS3_S8_S4_PS3_21rocsparse_index_base_b,@function
_ZN9rocsparseL19gebsrmvn_2xn_kernelILj128ELj12ELj8EfEEvi20rocsparse_direction_NS_24const_host_device_scalarIT2_EEPKiS6_PKS3_S8_S4_PS3_21rocsparse_index_base_b: ; @_ZN9rocsparseL19gebsrmvn_2xn_kernelILj128ELj12ELj8EfEEvi20rocsparse_direction_NS_24const_host_device_scalarIT2_EEPKiS6_PKS3_S8_S4_PS3_21rocsparse_index_base_b
; %bb.0:
	s_clause 0x2
	s_load_b64 s[18:19], s[0:1], 0x40
	s_load_b64 s[16:17], s[0:1], 0x8
	;; [unrolled: 1-line block ×3, first 2 shown]
	s_waitcnt lgkmcnt(0)
	s_bitcmp1_b32 s19, 0
	s_cselect_b32 s2, -1, 0
	s_delay_alu instid0(SALU_CYCLE_1)
	s_and_b32 vcc_lo, exec_lo, s2
	s_xor_b32 s2, s2, -1
	s_cbranch_vccnz .LBB51_2
; %bb.1:
	s_load_b32 s16, s[16:17], 0x0
.LBB51_2:
	s_and_not1_b32 vcc_lo, exec_lo, s2
	s_cbranch_vccnz .LBB51_4
; %bb.3:
	s_load_b32 s12, s[12:13], 0x0
.LBB51_4:
	s_waitcnt lgkmcnt(0)
	v_cmp_eq_f32_e64 s2, s16, 0
	v_cmp_eq_f32_e64 s3, s12, 1.0
	s_delay_alu instid0(VALU_DEP_1) | instskip(NEXT) | instid1(SALU_CYCLE_1)
	s_and_b32 s2, s2, s3
	s_and_b32 vcc_lo, exec_lo, s2
	s_cbranch_vccnz .LBB51_23
; %bb.5:
	s_load_b64 s[2:3], s[0:1], 0x0
	v_lshrrev_b32_e32 v1, 3, v0
	s_delay_alu instid0(VALU_DEP_1) | instskip(SKIP_1) | instid1(VALU_DEP_1)
	v_lshl_or_b32 v1, s15, 4, v1
	s_waitcnt lgkmcnt(0)
	v_cmp_gt_i32_e32 vcc_lo, s2, v1
	s_and_saveexec_b32 s2, vcc_lo
	s_cbranch_execz .LBB51_23
; %bb.6:
	s_load_b256 s[4:11], s[0:1], 0x10
	v_ashrrev_i32_e32 v2, 31, v1
	v_and_b32_e32 v0, 7, v0
	s_cmp_lg_u32 s3, 0
	s_delay_alu instid0(VALU_DEP_2) | instskip(SKIP_1) | instid1(VALU_DEP_1)
	v_lshlrev_b64 v[2:3], 2, v[1:2]
	s_waitcnt lgkmcnt(0)
	v_add_co_u32 v2, vcc_lo, s4, v2
	s_delay_alu instid0(VALU_DEP_2) | instskip(SKIP_4) | instid1(VALU_DEP_2)
	v_add_co_ci_u32_e32 v3, vcc_lo, s5, v3, vcc_lo
	global_load_b64 v[2:3], v[2:3], off
	s_waitcnt vmcnt(0)
	v_subrev_nc_u32_e32 v2, s18, v2
	v_subrev_nc_u32_e32 v11, s18, v3
	v_add_nc_u32_e32 v2, v2, v0
	s_delay_alu instid0(VALU_DEP_1)
	v_cmp_lt_i32_e64 s2, v2, v11
	s_cbranch_scc0 .LBB51_12
; %bb.7:
	v_dual_mov_b32 v9, 0 :: v_dual_mov_b32 v10, 0
	s_mov_b32 s3, 0
	s_delay_alu instid0(VALU_DEP_2)
	s_and_saveexec_b32 s4, s2
	s_cbranch_execz .LBB51_11
; %bb.8:
	v_mad_u64_u32 v[3:4], null, v2, 24, 22
	v_dual_mov_b32 v6, 0 :: v_dual_mov_b32 v7, v2
	v_dual_mov_b32 v9, 0 :: v_dual_mov_b32 v10, 0
	s_mov_b32 s5, 0
.LBB51_9:                               ; =>This Inner Loop Header: Depth=1
	s_delay_alu instid0(VALU_DEP_2) | instskip(NEXT) | instid1(VALU_DEP_1)
	v_ashrrev_i32_e32 v8, 31, v7
	v_lshlrev_b64 v[4:5], 2, v[7:8]
	v_add_nc_u32_e32 v7, 8, v7
	s_delay_alu instid0(VALU_DEP_2) | instskip(NEXT) | instid1(VALU_DEP_3)
	v_add_co_u32 v4, vcc_lo, s6, v4
	v_add_co_ci_u32_e32 v5, vcc_lo, s7, v5, vcc_lo
	global_load_b32 v8, v[4:5], off
	v_subrev_nc_u32_e32 v5, 22, v3
	v_mov_b32_e32 v4, v6
	s_delay_alu instid0(VALU_DEP_2) | instskip(SKIP_1) | instid1(VALU_DEP_3)
	v_lshlrev_b64 v[12:13], 2, v[5:6]
	v_add_nc_u32_e32 v5, -14, v3
	v_lshlrev_b64 v[32:33], 2, v[3:4]
	s_delay_alu instid0(VALU_DEP_2) | instskip(NEXT) | instid1(VALU_DEP_4)
	v_lshlrev_b64 v[4:5], 2, v[5:6]
	v_add_co_u32 v16, vcc_lo, s8, v12
	v_add_co_ci_u32_e32 v17, vcc_lo, s9, v13, vcc_lo
	s_delay_alu instid0(VALU_DEP_3) | instskip(NEXT) | instid1(VALU_DEP_4)
	v_add_co_u32 v4, vcc_lo, s8, v4
	v_add_co_ci_u32_e32 v5, vcc_lo, s9, v5, vcc_lo
	s_clause 0x2
	global_load_b128 v[12:15], v[16:17], off offset:16
	global_load_b128 v[16:19], v[16:17], off
	global_load_b64 v[34:35], v[4:5], off
	v_mov_b32_e32 v29, v6
	s_waitcnt vmcnt(3)
	v_subrev_nc_u32_e32 v4, s18, v8
	s_delay_alu instid0(VALU_DEP_1) | instskip(NEXT) | instid1(VALU_DEP_1)
	v_mul_lo_u32 v28, v4, 12
	v_add_nc_u32_e32 v5, 4, v28
	v_lshlrev_b64 v[20:21], 2, v[28:29]
	s_delay_alu instid0(VALU_DEP_2) | instskip(NEXT) | instid1(VALU_DEP_2)
	v_lshlrev_b64 v[22:23], 2, v[5:6]
	v_add_co_u32 v20, vcc_lo, s10, v20
	s_delay_alu instid0(VALU_DEP_3) | instskip(NEXT) | instid1(VALU_DEP_3)
	v_add_co_ci_u32_e32 v21, vcc_lo, s11, v21, vcc_lo
	v_add_co_u32 v24, vcc_lo, s10, v22
	s_delay_alu instid0(VALU_DEP_4)
	v_add_co_ci_u32_e32 v25, vcc_lo, s11, v23, vcc_lo
	s_clause 0x1
	global_load_b128 v[20:23], v[20:21], off
	global_load_b128 v[24:27], v[24:25], off
	s_waitcnt vmcnt(1)
	v_fmac_f32_e32 v10, v17, v20
	s_delay_alu instid0(VALU_DEP_1) | instskip(NEXT) | instid1(VALU_DEP_1)
	v_dual_fmac_f32 v10, v19, v21 :: v_dual_add_nc_u32 v5, -12, v3
	v_fmac_f32_e32 v10, v13, v22
	s_delay_alu instid0(VALU_DEP_2) | instskip(NEXT) | instid1(VALU_DEP_2)
	v_lshlrev_b64 v[29:30], 2, v[5:6]
	v_dual_fmac_f32 v9, v16, v20 :: v_dual_fmac_f32 v10, v15, v23
	v_add_nc_u32_e32 v5, -10, v3
	s_delay_alu instid0(VALU_DEP_3) | instskip(NEXT) | instid1(VALU_DEP_4)
	v_add_co_u32 v29, vcc_lo, s8, v29
	v_add_co_ci_u32_e32 v30, vcc_lo, s9, v30, vcc_lo
	s_waitcnt vmcnt(0)
	v_fmac_f32_e32 v10, v35, v24
	v_lshlrev_b64 v[36:37], 2, v[5:6]
	global_load_b64 v[40:41], v[29:30], off
	v_add_nc_u32_e32 v5, -8, v3
	v_add_co_u32 v36, vcc_lo, s8, v36
	s_delay_alu instid0(VALU_DEP_2) | instskip(SKIP_1) | instid1(VALU_DEP_2)
	v_lshlrev_b64 v[38:39], 2, v[5:6]
	v_add_co_ci_u32_e32 v37, vcc_lo, s9, v37, vcc_lo
	v_add_co_u32 v38, vcc_lo, s8, v38
	global_load_b64 v[36:37], v[36:37], off
	v_add_co_ci_u32_e32 v39, vcc_lo, s9, v39, vcc_lo
	global_load_b64 v[38:39], v[38:39], off
	s_waitcnt vmcnt(2)
	v_dual_fmac_f32 v10, v41, v25 :: v_dual_add_nc_u32 v5, -6, v3
	s_delay_alu instid0(VALU_DEP_1) | instskip(SKIP_1) | instid1(VALU_DEP_2)
	v_lshlrev_b64 v[29:30], 2, v[5:6]
	v_add_nc_u32_e32 v5, 8, v28
	v_add_co_u32 v28, vcc_lo, s8, v29
	s_delay_alu instid0(VALU_DEP_3) | instskip(SKIP_4) | instid1(VALU_DEP_1)
	v_add_co_ci_u32_e32 v29, vcc_lo, s9, v30, vcc_lo
	global_load_b64 v[44:45], v[28:29], off
	s_waitcnt vmcnt(2)
	v_fmac_f32_e32 v10, v37, v26
	s_waitcnt vmcnt(1)
	v_fmac_f32_e32 v10, v39, v27
	v_lshlrev_b64 v[42:43], 2, v[5:6]
	v_add_nc_u32_e32 v5, -4, v3
	s_delay_alu instid0(VALU_DEP_1) | instskip(NEXT) | instid1(VALU_DEP_3)
	v_lshlrev_b64 v[30:31], 2, v[5:6]
	v_add_co_u32 v28, vcc_lo, s10, v42
	s_delay_alu instid0(VALU_DEP_4) | instskip(NEXT) | instid1(VALU_DEP_3)
	v_add_co_ci_u32_e32 v29, vcc_lo, s11, v43, vcc_lo
	v_add_co_u32 v42, vcc_lo, s8, v30
	s_delay_alu instid0(VALU_DEP_4)
	v_add_co_ci_u32_e32 v43, vcc_lo, s9, v31, vcc_lo
	global_load_b128 v[28:31], v[28:29], off
	global_load_b64 v[42:43], v[42:43], off
	s_waitcnt vmcnt(1)
	v_dual_fmac_f32 v10, v45, v28 :: v_dual_add_nc_u32 v5, -2, v3
	s_waitcnt vmcnt(0)
	s_delay_alu instid0(VALU_DEP_1) | instskip(NEXT) | instid1(VALU_DEP_2)
	v_dual_fmac_f32 v10, v43, v29 :: v_dual_add_nc_u32 v3, 0xc0, v3
	v_lshlrev_b64 v[4:5], 2, v[5:6]
	s_delay_alu instid0(VALU_DEP_1) | instskip(NEXT) | instid1(VALU_DEP_2)
	v_add_co_u32 v4, vcc_lo, s8, v4
	v_add_co_ci_u32_e32 v5, vcc_lo, s9, v5, vcc_lo
	v_add_co_u32 v32, vcc_lo, s8, v32
	v_add_co_ci_u32_e32 v33, vcc_lo, s9, v33, vcc_lo
	s_clause 0x1
	global_load_b64 v[4:5], v[4:5], off
	global_load_b64 v[32:33], v[32:33], off
	v_fmac_f32_e32 v9, v18, v21
	v_cmp_ge_i32_e32 vcc_lo, v7, v11
	s_or_b32 s5, vcc_lo, s5
	s_waitcnt vmcnt(1)
	v_fmac_f32_e32 v10, v5, v30
	s_waitcnt vmcnt(0)
	s_delay_alu instid0(VALU_DEP_1) | instskip(NEXT) | instid1(VALU_DEP_1)
	v_dual_fmac_f32 v9, v12, v22 :: v_dual_fmac_f32 v10, v33, v31
	v_fmac_f32_e32 v9, v14, v23
	s_delay_alu instid0(VALU_DEP_1) | instskip(NEXT) | instid1(VALU_DEP_1)
	v_fmac_f32_e32 v9, v34, v24
	v_fmac_f32_e32 v9, v40, v25
	s_delay_alu instid0(VALU_DEP_1) | instskip(NEXT) | instid1(VALU_DEP_1)
	v_fmac_f32_e32 v9, v36, v26
	v_fmac_f32_e32 v9, v38, v27
	s_delay_alu instid0(VALU_DEP_1) | instskip(NEXT) | instid1(VALU_DEP_1)
	v_fmac_f32_e32 v9, v44, v28
	v_fmac_f32_e32 v9, v42, v29
	s_delay_alu instid0(VALU_DEP_1) | instskip(NEXT) | instid1(VALU_DEP_1)
	v_fmac_f32_e32 v9, v4, v30
	v_fmac_f32_e32 v9, v32, v31
	s_and_not1_b32 exec_lo, exec_lo, s5
	s_cbranch_execnz .LBB51_9
; %bb.10:
	s_or_b32 exec_lo, exec_lo, s5
.LBB51_11:
	s_delay_alu instid0(SALU_CYCLE_1) | instskip(NEXT) | instid1(SALU_CYCLE_1)
	s_or_b32 exec_lo, exec_lo, s4
	s_and_not1_b32 vcc_lo, exec_lo, s3
	s_cbranch_vccz .LBB51_13
	s_branch .LBB51_18
.LBB51_12:
                                        ; implicit-def: $vgpr9
                                        ; implicit-def: $vgpr10
.LBB51_13:
	v_dual_mov_b32 v9, 0 :: v_dual_mov_b32 v10, 0
	s_delay_alu instid0(VALU_DEP_2)
	s_and_saveexec_b32 s3, s2
	s_cbranch_execz .LBB51_17
; %bb.14:
	v_mad_u64_u32 v[4:5], null, v2, 24, 23
	v_dual_mov_b32 v7, 0 :: v_dual_mov_b32 v10, 0
	v_mov_b32_e32 v9, 0
	s_mov_b32 s2, 0
.LBB51_15:                              ; =>This Inner Loop Header: Depth=1
	v_ashrrev_i32_e32 v3, 31, v2
	s_delay_alu instid0(VALU_DEP_3) | instskip(SKIP_1) | instid1(VALU_DEP_3)
	v_dual_mov_b32 v29, v7 :: v_dual_add_nc_u32 v12, -11, v4
	v_mov_b32_e32 v13, v7
	v_lshlrev_b64 v[5:6], 2, v[2:3]
	v_add_nc_u32_e32 v2, 8, v2
	s_delay_alu instid0(VALU_DEP_2) | instskip(NEXT) | instid1(VALU_DEP_3)
	v_add_co_u32 v5, vcc_lo, s6, v5
	v_add_co_ci_u32_e32 v6, vcc_lo, s7, v6, vcc_lo
	global_load_b32 v3, v[5:6], off
	v_subrev_nc_u32_e32 v6, 23, v4
	v_mov_b32_e32 v5, v7
	s_delay_alu instid0(VALU_DEP_2) | instskip(SKIP_2) | instid1(VALU_DEP_2)
	v_lshlrev_b64 v[14:15], 2, v[6:7]
	v_add_nc_u32_e32 v6, -10, v4
	v_lshlrev_b64 v[12:13], 2, v[12:13]
	v_lshlrev_b64 v[18:19], 2, v[6:7]
	v_add_nc_u32_e32 v6, -9, v4
	v_lshlrev_b64 v[16:17], 2, v[4:5]
	v_add_co_u32 v20, vcc_lo, s8, v14
	v_add_co_ci_u32_e32 v21, vcc_lo, s9, v15, vcc_lo
	v_add_co_u32 v22, vcc_lo, s8, v12
	v_add_co_ci_u32_e32 v23, vcc_lo, s9, v13, vcc_lo
	;; [unrolled: 2-line block ×3, first 2 shown]
	v_add_co_u32 v26, vcc_lo, s8, v18
	v_lshlrev_b64 v[24:25], 2, v[6:7]
	v_add_co_ci_u32_e32 v27, vcc_lo, s9, v19, vcc_lo
	s_clause 0x2
	global_load_b128 v[12:15], v[20:21], off offset:16
	global_load_b128 v[16:19], v[20:21], off
	global_load_b32 v8, v[22:23], off
	v_add_nc_u32_e32 v6, -8, v4
	v_add_co_u32 v20, vcc_lo, s8, v24
	v_add_co_ci_u32_e32 v21, vcc_lo, s9, v25, vcc_lo
	s_delay_alu instid0(VALU_DEP_3)
	v_lshlrev_b64 v[5:6], 2, v[6:7]
	global_load_b32 v40, v[26:27], off
	v_add_co_u32 v5, vcc_lo, s8, v5
	v_add_co_ci_u32_e32 v6, vcc_lo, s9, v6, vcc_lo
	s_clause 0x1
	global_load_b32 v41, v[20:21], off
	global_load_b32 v42, v[5:6], off
	s_waitcnt vmcnt(6)
	v_subrev_nc_u32_e32 v3, s18, v3
	s_delay_alu instid0(VALU_DEP_1) | instskip(NEXT) | instid1(VALU_DEP_1)
	v_mul_lo_u32 v28, v3, 12
	v_add_nc_u32_e32 v6, 4, v28
	v_lshlrev_b64 v[20:21], 2, v[28:29]
	s_delay_alu instid0(VALU_DEP_2) | instskip(NEXT) | instid1(VALU_DEP_2)
	v_lshlrev_b64 v[22:23], 2, v[6:7]
	v_add_co_u32 v20, vcc_lo, s10, v20
	s_delay_alu instid0(VALU_DEP_3) | instskip(NEXT) | instid1(VALU_DEP_3)
	v_add_co_ci_u32_e32 v21, vcc_lo, s11, v21, vcc_lo
	v_add_co_u32 v24, vcc_lo, s10, v22
	s_delay_alu instid0(VALU_DEP_4)
	v_add_co_ci_u32_e32 v25, vcc_lo, s11, v23, vcc_lo
	s_clause 0x1
	global_load_b128 v[20:23], v[20:21], off
	global_load_b128 v[24:27], v[24:25], off
	s_waitcnt vmcnt(1)
	v_fmac_f32_e32 v10, v8, v20
	s_delay_alu instid0(VALU_DEP_1) | instskip(NEXT) | instid1(VALU_DEP_1)
	v_fmac_f32_e32 v10, v40, v21
	v_dual_fmac_f32 v9, v16, v20 :: v_dual_fmac_f32 v10, v41, v22
	s_delay_alu instid0(VALU_DEP_1) | instskip(NEXT) | instid1(VALU_DEP_1)
	v_fmac_f32_e32 v9, v17, v21
	v_dual_fmac_f32 v9, v18, v22 :: v_dual_add_nc_u32 v6, -7, v4
	s_delay_alu instid0(VALU_DEP_1) | instskip(NEXT) | instid1(VALU_DEP_2)
	v_fmac_f32_e32 v9, v19, v23
	v_lshlrev_b64 v[29:30], 2, v[6:7]
	s_waitcnt vmcnt(0)
	s_delay_alu instid0(VALU_DEP_2) | instskip(SKIP_1) | instid1(VALU_DEP_3)
	v_dual_fmac_f32 v10, v42, v23 :: v_dual_fmac_f32 v9, v12, v24
	v_add_nc_u32_e32 v6, -6, v4
	v_add_co_u32 v29, vcc_lo, s8, v29
	s_delay_alu instid0(VALU_DEP_4) | instskip(NEXT) | instid1(VALU_DEP_4)
	v_add_co_ci_u32_e32 v30, vcc_lo, s9, v30, vcc_lo
	v_fmac_f32_e32 v9, v13, v25
	s_delay_alu instid0(VALU_DEP_4)
	v_lshlrev_b64 v[34:35], 2, v[6:7]
	v_add_nc_u32_e32 v6, -5, v4
	global_load_b32 v3, v[29:30], off
	v_fmac_f32_e32 v9, v14, v26
	v_add_co_u32 v34, vcc_lo, s8, v34
	v_lshlrev_b64 v[36:37], 2, v[6:7]
	s_delay_alu instid0(VALU_DEP_3)
	v_dual_fmac_f32 v9, v15, v27 :: v_dual_add_nc_u32 v6, -4, v4
	v_add_co_ci_u32_e32 v35, vcc_lo, s9, v35, vcc_lo
	global_load_b32 v43, v[34:35], off
	v_lshlrev_b64 v[29:30], 2, v[6:7]
	v_add_nc_u32_e32 v6, -15, v4
	v_add_co_u32 v34, vcc_lo, s8, v36
	v_add_co_ci_u32_e32 v35, vcc_lo, s9, v37, vcc_lo
	s_delay_alu instid0(VALU_DEP_3) | instskip(SKIP_3) | instid1(VALU_DEP_3)
	v_lshlrev_b64 v[36:37], 2, v[6:7]
	v_add_nc_u32_e32 v6, 8, v28
	v_add_co_u32 v28, vcc_lo, s8, v29
	v_add_co_ci_u32_e32 v29, vcc_lo, s9, v30, vcc_lo
	v_lshlrev_b64 v[30:31], 2, v[6:7]
	v_add_nc_u32_e32 v6, -3, v4
	s_clause 0x1
	global_load_b32 v44, v[34:35], off
	global_load_b32 v45, v[28:29], off
	v_add_co_u32 v28, vcc_lo, s8, v36
	v_lshlrev_b64 v[34:35], 2, v[6:7]
	v_add_nc_u32_e32 v6, -14, v4
	v_add_co_ci_u32_e32 v29, vcc_lo, s9, v37, vcc_lo
	v_add_co_u32 v30, vcc_lo, s10, v30
	s_delay_alu instid0(VALU_DEP_3)
	v_lshlrev_b64 v[36:37], 2, v[6:7]
	v_add_co_ci_u32_e32 v31, vcc_lo, s11, v31, vcc_lo
	v_add_nc_u32_e32 v6, -2, v4
	v_add_co_u32 v34, vcc_lo, s8, v34
	v_add_co_ci_u32_e32 v35, vcc_lo, s9, v35, vcc_lo
	v_add_co_u32 v36, vcc_lo, s8, v36
	s_delay_alu instid0(VALU_DEP_4)
	v_lshlrev_b64 v[38:39], 2, v[6:7]
	v_add_nc_u32_e32 v6, -13, v4
	v_add_co_ci_u32_e32 v37, vcc_lo, s9, v37, vcc_lo
	s_clause 0x2
	global_load_b32 v46, v[28:29], off
	global_load_b32 v47, v[34:35], off
	global_load_b32 v48, v[36:37], off
	v_lshlrev_b64 v[34:35], 2, v[6:7]
	v_add_nc_u32_e32 v6, -1, v4
	v_add_co_u32 v36, vcc_lo, s8, v38
	v_add_co_ci_u32_e32 v37, vcc_lo, s9, v39, vcc_lo
	s_delay_alu instid0(VALU_DEP_3)
	v_lshlrev_b64 v[38:39], 2, v[6:7]
	v_add_nc_u32_e32 v6, -12, v4
	v_add_co_u32 v34, vcc_lo, s8, v34
	v_add_co_ci_u32_e32 v35, vcc_lo, s9, v35, vcc_lo
	global_load_b128 v[28:31], v[30:31], off
	v_lshlrev_b64 v[5:6], 2, v[6:7]
	s_clause 0x1
	global_load_b32 v36, v[36:37], off
	global_load_b32 v37, v[34:35], off
	v_add_co_u32 v34, vcc_lo, s8, v38
	v_add_co_ci_u32_e32 v35, vcc_lo, s9, v39, vcc_lo
	v_add_co_u32 v5, vcc_lo, s8, v5
	v_add_co_ci_u32_e32 v6, vcc_lo, s9, v6, vcc_lo
	s_clause 0x2
	global_load_b32 v34, v[34:35], off
	global_load_b32 v5, v[5:6], off
	;; [unrolled: 1-line block ×3, first 2 shown]
	v_cmp_ge_i32_e32 vcc_lo, v2, v11
	v_add_nc_u32_e32 v4, 0xc0, v4
	s_or_b32 s2, vcc_lo, s2
	s_waitcnt vmcnt(12)
	v_fmac_f32_e32 v10, v3, v24
	s_waitcnt vmcnt(11)
	s_delay_alu instid0(VALU_DEP_1) | instskip(SKIP_1) | instid1(VALU_DEP_1)
	v_fmac_f32_e32 v10, v43, v25
	s_waitcnt vmcnt(10)
	v_fmac_f32_e32 v10, v44, v26
	s_waitcnt vmcnt(5)
	s_delay_alu instid0(VALU_DEP_1) | instskip(NEXT) | instid1(VALU_DEP_1)
	v_dual_fmac_f32 v10, v45, v27 :: v_dual_fmac_f32 v9, v46, v28
	v_dual_fmac_f32 v10, v47, v28 :: v_dual_fmac_f32 v9, v48, v29
	s_waitcnt vmcnt(3)
	s_delay_alu instid0(VALU_DEP_1) | instskip(SKIP_1) | instid1(VALU_DEP_1)
	v_dual_fmac_f32 v10, v36, v29 :: v_dual_fmac_f32 v9, v37, v30
	s_waitcnt vmcnt(1)
	v_dual_fmac_f32 v10, v34, v30 :: v_dual_fmac_f32 v9, v5, v31
	s_waitcnt vmcnt(0)
	s_delay_alu instid0(VALU_DEP_1)
	v_fmac_f32_e32 v10, v6, v31
	s_and_not1_b32 exec_lo, exec_lo, s2
	s_cbranch_execnz .LBB51_15
; %bb.16:
	s_or_b32 exec_lo, exec_lo, s2
.LBB51_17:
	s_delay_alu instid0(SALU_CYCLE_1)
	s_or_b32 exec_lo, exec_lo, s3
.LBB51_18:
	v_mbcnt_lo_u32_b32 v2, -1, 0
	s_mov_b32 s2, -1
	s_delay_alu instid0(VALU_DEP_1) | instskip(SKIP_2) | instid1(VALU_DEP_3)
	v_xor_b32_e32 v3, 4, v2
	v_xor_b32_e32 v5, 2, v2
	;; [unrolled: 1-line block ×3, first 2 shown]
	v_cmp_gt_i32_e32 vcc_lo, 32, v3
	v_cndmask_b32_e32 v3, v2, v3, vcc_lo
	s_delay_alu instid0(VALU_DEP_4) | instskip(NEXT) | instid1(VALU_DEP_2)
	v_cmp_gt_i32_e32 vcc_lo, 32, v5
	v_lshlrev_b32_e32 v3, 2, v3
	v_cndmask_b32_e32 v5, v2, v5, vcc_lo
	v_cmp_gt_i32_e32 vcc_lo, 32, v7
	ds_bpermute_b32 v4, v3, v9
	v_dual_cndmask_b32 v2, v2, v7 :: v_dual_lshlrev_b32 v5, 2, v5
	v_cmp_eq_u32_e32 vcc_lo, 7, v0
	s_waitcnt lgkmcnt(0)
	s_delay_alu instid0(VALU_DEP_2)
	v_dual_add_f32 v4, v9, v4 :: v_dual_lshlrev_b32 v7, 2, v2
	ds_bpermute_b32 v6, v5, v4
	s_waitcnt lgkmcnt(0)
	v_add_f32_e32 v2, v4, v6
	ds_bpermute_b32 v3, v3, v10
	ds_bpermute_b32 v4, v7, v2
	s_waitcnt lgkmcnt(1)
	v_add_f32_e32 v3, v10, v3
	ds_bpermute_b32 v5, v5, v3
	s_waitcnt lgkmcnt(0)
	v_add_f32_e32 v3, v3, v5
	ds_bpermute_b32 v5, v7, v3
	s_and_b32 exec_lo, exec_lo, vcc_lo
	s_cbranch_execz .LBB51_23
; %bb.19:
	s_load_b64 s[0:1], s[0:1], 0x38
	s_waitcnt lgkmcnt(0)
	v_dual_add_f32 v0, v2, v4 :: v_dual_add_f32 v3, v3, v5
	v_cmp_eq_f32_e64 s3, s12, 0
	s_delay_alu instid0(VALU_DEP_2) | instskip(SKIP_1) | instid1(VALU_DEP_3)
	v_dual_mul_f32 v2, s16, v0 :: v_dual_mul_f32 v3, s16, v3
	v_lshlrev_b32_e32 v0, 1, v1
	s_and_b32 vcc_lo, exec_lo, s3
	s_cbranch_vccz .LBB51_21
; %bb.20:
	s_delay_alu instid0(VALU_DEP_1) | instskip(SKIP_1) | instid1(VALU_DEP_1)
	v_ashrrev_i32_e32 v1, 31, v0
	s_mov_b32 s2, 0
	v_lshlrev_b64 v[4:5], 2, v[0:1]
	s_delay_alu instid0(VALU_DEP_1) | instskip(NEXT) | instid1(VALU_DEP_2)
	v_add_co_u32 v4, vcc_lo, s0, v4
	v_add_co_ci_u32_e32 v5, vcc_lo, s1, v5, vcc_lo
	global_store_b64 v[4:5], v[2:3], off
.LBB51_21:
	s_and_not1_b32 vcc_lo, exec_lo, s2
	s_cbranch_vccnz .LBB51_23
; %bb.22:
	v_ashrrev_i32_e32 v1, 31, v0
	s_delay_alu instid0(VALU_DEP_1) | instskip(NEXT) | instid1(VALU_DEP_1)
	v_lshlrev_b64 v[0:1], 2, v[0:1]
	v_add_co_u32 v0, vcc_lo, s0, v0
	s_delay_alu instid0(VALU_DEP_2)
	v_add_co_ci_u32_e32 v1, vcc_lo, s1, v1, vcc_lo
	global_load_b64 v[4:5], v[0:1], off
	s_waitcnt vmcnt(0)
	v_dual_fmac_f32 v2, s12, v4 :: v_dual_fmac_f32 v3, s12, v5
	global_store_b64 v[0:1], v[2:3], off
.LBB51_23:
	s_nop 0
	s_sendmsg sendmsg(MSG_DEALLOC_VGPRS)
	s_endpgm
	.section	.rodata,"a",@progbits
	.p2align	6, 0x0
	.amdhsa_kernel _ZN9rocsparseL19gebsrmvn_2xn_kernelILj128ELj12ELj8EfEEvi20rocsparse_direction_NS_24const_host_device_scalarIT2_EEPKiS6_PKS3_S8_S4_PS3_21rocsparse_index_base_b
		.amdhsa_group_segment_fixed_size 0
		.amdhsa_private_segment_fixed_size 0
		.amdhsa_kernarg_size 72
		.amdhsa_user_sgpr_count 15
		.amdhsa_user_sgpr_dispatch_ptr 0
		.amdhsa_user_sgpr_queue_ptr 0
		.amdhsa_user_sgpr_kernarg_segment_ptr 1
		.amdhsa_user_sgpr_dispatch_id 0
		.amdhsa_user_sgpr_private_segment_size 0
		.amdhsa_wavefront_size32 1
		.amdhsa_uses_dynamic_stack 0
		.amdhsa_enable_private_segment 0
		.amdhsa_system_sgpr_workgroup_id_x 1
		.amdhsa_system_sgpr_workgroup_id_y 0
		.amdhsa_system_sgpr_workgroup_id_z 0
		.amdhsa_system_sgpr_workgroup_info 0
		.amdhsa_system_vgpr_workitem_id 0
		.amdhsa_next_free_vgpr 49
		.amdhsa_next_free_sgpr 20
		.amdhsa_reserve_vcc 1
		.amdhsa_float_round_mode_32 0
		.amdhsa_float_round_mode_16_64 0
		.amdhsa_float_denorm_mode_32 3
		.amdhsa_float_denorm_mode_16_64 3
		.amdhsa_dx10_clamp 1
		.amdhsa_ieee_mode 1
		.amdhsa_fp16_overflow 0
		.amdhsa_workgroup_processor_mode 1
		.amdhsa_memory_ordered 1
		.amdhsa_forward_progress 0
		.amdhsa_shared_vgpr_count 0
		.amdhsa_exception_fp_ieee_invalid_op 0
		.amdhsa_exception_fp_denorm_src 0
		.amdhsa_exception_fp_ieee_div_zero 0
		.amdhsa_exception_fp_ieee_overflow 0
		.amdhsa_exception_fp_ieee_underflow 0
		.amdhsa_exception_fp_ieee_inexact 0
		.amdhsa_exception_int_div_zero 0
	.end_amdhsa_kernel
	.section	.text._ZN9rocsparseL19gebsrmvn_2xn_kernelILj128ELj12ELj8EfEEvi20rocsparse_direction_NS_24const_host_device_scalarIT2_EEPKiS6_PKS3_S8_S4_PS3_21rocsparse_index_base_b,"axG",@progbits,_ZN9rocsparseL19gebsrmvn_2xn_kernelILj128ELj12ELj8EfEEvi20rocsparse_direction_NS_24const_host_device_scalarIT2_EEPKiS6_PKS3_S8_S4_PS3_21rocsparse_index_base_b,comdat
.Lfunc_end51:
	.size	_ZN9rocsparseL19gebsrmvn_2xn_kernelILj128ELj12ELj8EfEEvi20rocsparse_direction_NS_24const_host_device_scalarIT2_EEPKiS6_PKS3_S8_S4_PS3_21rocsparse_index_base_b, .Lfunc_end51-_ZN9rocsparseL19gebsrmvn_2xn_kernelILj128ELj12ELj8EfEEvi20rocsparse_direction_NS_24const_host_device_scalarIT2_EEPKiS6_PKS3_S8_S4_PS3_21rocsparse_index_base_b
                                        ; -- End function
	.section	.AMDGPU.csdata,"",@progbits
; Kernel info:
; codeLenInByte = 2412
; NumSgprs: 22
; NumVgprs: 49
; ScratchSize: 0
; MemoryBound: 0
; FloatMode: 240
; IeeeMode: 1
; LDSByteSize: 0 bytes/workgroup (compile time only)
; SGPRBlocks: 2
; VGPRBlocks: 6
; NumSGPRsForWavesPerEU: 22
; NumVGPRsForWavesPerEU: 49
; Occupancy: 16
; WaveLimiterHint : 1
; COMPUTE_PGM_RSRC2:SCRATCH_EN: 0
; COMPUTE_PGM_RSRC2:USER_SGPR: 15
; COMPUTE_PGM_RSRC2:TRAP_HANDLER: 0
; COMPUTE_PGM_RSRC2:TGID_X_EN: 1
; COMPUTE_PGM_RSRC2:TGID_Y_EN: 0
; COMPUTE_PGM_RSRC2:TGID_Z_EN: 0
; COMPUTE_PGM_RSRC2:TIDIG_COMP_CNT: 0
	.section	.text._ZN9rocsparseL19gebsrmvn_2xn_kernelILj128ELj12ELj16EfEEvi20rocsparse_direction_NS_24const_host_device_scalarIT2_EEPKiS6_PKS3_S8_S4_PS3_21rocsparse_index_base_b,"axG",@progbits,_ZN9rocsparseL19gebsrmvn_2xn_kernelILj128ELj12ELj16EfEEvi20rocsparse_direction_NS_24const_host_device_scalarIT2_EEPKiS6_PKS3_S8_S4_PS3_21rocsparse_index_base_b,comdat
	.globl	_ZN9rocsparseL19gebsrmvn_2xn_kernelILj128ELj12ELj16EfEEvi20rocsparse_direction_NS_24const_host_device_scalarIT2_EEPKiS6_PKS3_S8_S4_PS3_21rocsparse_index_base_b ; -- Begin function _ZN9rocsparseL19gebsrmvn_2xn_kernelILj128ELj12ELj16EfEEvi20rocsparse_direction_NS_24const_host_device_scalarIT2_EEPKiS6_PKS3_S8_S4_PS3_21rocsparse_index_base_b
	.p2align	8
	.type	_ZN9rocsparseL19gebsrmvn_2xn_kernelILj128ELj12ELj16EfEEvi20rocsparse_direction_NS_24const_host_device_scalarIT2_EEPKiS6_PKS3_S8_S4_PS3_21rocsparse_index_base_b,@function
_ZN9rocsparseL19gebsrmvn_2xn_kernelILj128ELj12ELj16EfEEvi20rocsparse_direction_NS_24const_host_device_scalarIT2_EEPKiS6_PKS3_S8_S4_PS3_21rocsparse_index_base_b: ; @_ZN9rocsparseL19gebsrmvn_2xn_kernelILj128ELj12ELj16EfEEvi20rocsparse_direction_NS_24const_host_device_scalarIT2_EEPKiS6_PKS3_S8_S4_PS3_21rocsparse_index_base_b
; %bb.0:
	s_clause 0x2
	s_load_b64 s[18:19], s[0:1], 0x40
	s_load_b64 s[16:17], s[0:1], 0x8
	;; [unrolled: 1-line block ×3, first 2 shown]
	s_waitcnt lgkmcnt(0)
	s_bitcmp1_b32 s19, 0
	s_cselect_b32 s2, -1, 0
	s_delay_alu instid0(SALU_CYCLE_1)
	s_and_b32 vcc_lo, exec_lo, s2
	s_xor_b32 s2, s2, -1
	s_cbranch_vccnz .LBB52_2
; %bb.1:
	s_load_b32 s16, s[16:17], 0x0
.LBB52_2:
	s_and_not1_b32 vcc_lo, exec_lo, s2
	s_cbranch_vccnz .LBB52_4
; %bb.3:
	s_load_b32 s12, s[12:13], 0x0
.LBB52_4:
	s_waitcnt lgkmcnt(0)
	v_cmp_eq_f32_e64 s2, s16, 0
	v_cmp_eq_f32_e64 s3, s12, 1.0
	s_delay_alu instid0(VALU_DEP_1) | instskip(NEXT) | instid1(SALU_CYCLE_1)
	s_and_b32 s2, s2, s3
	s_and_b32 vcc_lo, exec_lo, s2
	s_cbranch_vccnz .LBB52_23
; %bb.5:
	s_load_b64 s[2:3], s[0:1], 0x0
	v_lshrrev_b32_e32 v1, 4, v0
	s_delay_alu instid0(VALU_DEP_1) | instskip(SKIP_1) | instid1(VALU_DEP_1)
	v_lshl_or_b32 v1, s15, 3, v1
	s_waitcnt lgkmcnt(0)
	v_cmp_gt_i32_e32 vcc_lo, s2, v1
	s_and_saveexec_b32 s2, vcc_lo
	s_cbranch_execz .LBB52_23
; %bb.6:
	s_load_b256 s[4:11], s[0:1], 0x10
	v_ashrrev_i32_e32 v2, 31, v1
	v_and_b32_e32 v0, 15, v0
	s_cmp_lg_u32 s3, 0
	s_delay_alu instid0(VALU_DEP_2) | instskip(SKIP_1) | instid1(VALU_DEP_1)
	v_lshlrev_b64 v[2:3], 2, v[1:2]
	s_waitcnt lgkmcnt(0)
	v_add_co_u32 v2, vcc_lo, s4, v2
	s_delay_alu instid0(VALU_DEP_2) | instskip(SKIP_4) | instid1(VALU_DEP_2)
	v_add_co_ci_u32_e32 v3, vcc_lo, s5, v3, vcc_lo
	global_load_b64 v[2:3], v[2:3], off
	s_waitcnt vmcnt(0)
	v_subrev_nc_u32_e32 v2, s18, v2
	v_subrev_nc_u32_e32 v11, s18, v3
	v_add_nc_u32_e32 v2, v2, v0
	s_delay_alu instid0(VALU_DEP_1)
	v_cmp_lt_i32_e64 s2, v2, v11
	s_cbranch_scc0 .LBB52_12
; %bb.7:
	v_dual_mov_b32 v9, 0 :: v_dual_mov_b32 v10, 0
	s_mov_b32 s3, 0
	s_delay_alu instid0(VALU_DEP_2)
	s_and_saveexec_b32 s4, s2
	s_cbranch_execz .LBB52_11
; %bb.8:
	v_mad_u64_u32 v[3:4], null, v2, 24, 22
	v_dual_mov_b32 v6, 0 :: v_dual_mov_b32 v7, v2
	v_dual_mov_b32 v9, 0 :: v_dual_mov_b32 v10, 0
	s_mov_b32 s5, 0
.LBB52_9:                               ; =>This Inner Loop Header: Depth=1
	s_delay_alu instid0(VALU_DEP_2) | instskip(NEXT) | instid1(VALU_DEP_1)
	v_ashrrev_i32_e32 v8, 31, v7
	v_lshlrev_b64 v[4:5], 2, v[7:8]
	v_add_nc_u32_e32 v7, 16, v7
	s_delay_alu instid0(VALU_DEP_2) | instskip(NEXT) | instid1(VALU_DEP_3)
	v_add_co_u32 v4, vcc_lo, s6, v4
	v_add_co_ci_u32_e32 v5, vcc_lo, s7, v5, vcc_lo
	global_load_b32 v8, v[4:5], off
	v_subrev_nc_u32_e32 v5, 22, v3
	v_mov_b32_e32 v4, v6
	s_delay_alu instid0(VALU_DEP_2) | instskip(SKIP_1) | instid1(VALU_DEP_3)
	v_lshlrev_b64 v[12:13], 2, v[5:6]
	v_add_nc_u32_e32 v5, -14, v3
	v_lshlrev_b64 v[32:33], 2, v[3:4]
	s_delay_alu instid0(VALU_DEP_2) | instskip(NEXT) | instid1(VALU_DEP_4)
	v_lshlrev_b64 v[4:5], 2, v[5:6]
	v_add_co_u32 v16, vcc_lo, s8, v12
	v_add_co_ci_u32_e32 v17, vcc_lo, s9, v13, vcc_lo
	s_delay_alu instid0(VALU_DEP_3) | instskip(NEXT) | instid1(VALU_DEP_4)
	v_add_co_u32 v4, vcc_lo, s8, v4
	v_add_co_ci_u32_e32 v5, vcc_lo, s9, v5, vcc_lo
	s_clause 0x2
	global_load_b128 v[12:15], v[16:17], off offset:16
	global_load_b128 v[16:19], v[16:17], off
	global_load_b64 v[34:35], v[4:5], off
	v_mov_b32_e32 v29, v6
	s_waitcnt vmcnt(3)
	v_subrev_nc_u32_e32 v4, s18, v8
	s_delay_alu instid0(VALU_DEP_1) | instskip(NEXT) | instid1(VALU_DEP_1)
	v_mul_lo_u32 v28, v4, 12
	v_add_nc_u32_e32 v5, 4, v28
	v_lshlrev_b64 v[20:21], 2, v[28:29]
	s_delay_alu instid0(VALU_DEP_2) | instskip(NEXT) | instid1(VALU_DEP_2)
	v_lshlrev_b64 v[22:23], 2, v[5:6]
	v_add_co_u32 v20, vcc_lo, s10, v20
	s_delay_alu instid0(VALU_DEP_3) | instskip(NEXT) | instid1(VALU_DEP_3)
	v_add_co_ci_u32_e32 v21, vcc_lo, s11, v21, vcc_lo
	v_add_co_u32 v24, vcc_lo, s10, v22
	s_delay_alu instid0(VALU_DEP_4)
	v_add_co_ci_u32_e32 v25, vcc_lo, s11, v23, vcc_lo
	s_clause 0x1
	global_load_b128 v[20:23], v[20:21], off
	global_load_b128 v[24:27], v[24:25], off
	s_waitcnt vmcnt(1)
	v_fmac_f32_e32 v10, v17, v20
	s_delay_alu instid0(VALU_DEP_1) | instskip(NEXT) | instid1(VALU_DEP_1)
	v_dual_fmac_f32 v10, v19, v21 :: v_dual_add_nc_u32 v5, -12, v3
	v_fmac_f32_e32 v10, v13, v22
	s_delay_alu instid0(VALU_DEP_2) | instskip(NEXT) | instid1(VALU_DEP_2)
	v_lshlrev_b64 v[29:30], 2, v[5:6]
	v_dual_fmac_f32 v9, v16, v20 :: v_dual_fmac_f32 v10, v15, v23
	v_add_nc_u32_e32 v5, -10, v3
	s_delay_alu instid0(VALU_DEP_3) | instskip(NEXT) | instid1(VALU_DEP_4)
	v_add_co_u32 v29, vcc_lo, s8, v29
	v_add_co_ci_u32_e32 v30, vcc_lo, s9, v30, vcc_lo
	s_waitcnt vmcnt(0)
	v_fmac_f32_e32 v10, v35, v24
	v_lshlrev_b64 v[36:37], 2, v[5:6]
	global_load_b64 v[40:41], v[29:30], off
	v_add_nc_u32_e32 v5, -8, v3
	v_add_co_u32 v36, vcc_lo, s8, v36
	s_delay_alu instid0(VALU_DEP_2) | instskip(SKIP_1) | instid1(VALU_DEP_2)
	v_lshlrev_b64 v[38:39], 2, v[5:6]
	v_add_co_ci_u32_e32 v37, vcc_lo, s9, v37, vcc_lo
	v_add_co_u32 v38, vcc_lo, s8, v38
	global_load_b64 v[36:37], v[36:37], off
	v_add_co_ci_u32_e32 v39, vcc_lo, s9, v39, vcc_lo
	global_load_b64 v[38:39], v[38:39], off
	s_waitcnt vmcnt(2)
	v_dual_fmac_f32 v10, v41, v25 :: v_dual_add_nc_u32 v5, -6, v3
	s_delay_alu instid0(VALU_DEP_1) | instskip(SKIP_1) | instid1(VALU_DEP_2)
	v_lshlrev_b64 v[29:30], 2, v[5:6]
	v_add_nc_u32_e32 v5, 8, v28
	v_add_co_u32 v28, vcc_lo, s8, v29
	s_delay_alu instid0(VALU_DEP_3) | instskip(SKIP_4) | instid1(VALU_DEP_1)
	v_add_co_ci_u32_e32 v29, vcc_lo, s9, v30, vcc_lo
	global_load_b64 v[44:45], v[28:29], off
	s_waitcnt vmcnt(2)
	v_fmac_f32_e32 v10, v37, v26
	s_waitcnt vmcnt(1)
	v_fmac_f32_e32 v10, v39, v27
	v_lshlrev_b64 v[42:43], 2, v[5:6]
	v_add_nc_u32_e32 v5, -4, v3
	s_delay_alu instid0(VALU_DEP_1) | instskip(NEXT) | instid1(VALU_DEP_3)
	v_lshlrev_b64 v[30:31], 2, v[5:6]
	v_add_co_u32 v28, vcc_lo, s10, v42
	s_delay_alu instid0(VALU_DEP_4) | instskip(NEXT) | instid1(VALU_DEP_3)
	v_add_co_ci_u32_e32 v29, vcc_lo, s11, v43, vcc_lo
	v_add_co_u32 v42, vcc_lo, s8, v30
	s_delay_alu instid0(VALU_DEP_4)
	v_add_co_ci_u32_e32 v43, vcc_lo, s9, v31, vcc_lo
	global_load_b128 v[28:31], v[28:29], off
	global_load_b64 v[42:43], v[42:43], off
	s_waitcnt vmcnt(1)
	v_dual_fmac_f32 v10, v45, v28 :: v_dual_add_nc_u32 v5, -2, v3
	s_waitcnt vmcnt(0)
	s_delay_alu instid0(VALU_DEP_1) | instskip(NEXT) | instid1(VALU_DEP_2)
	v_dual_fmac_f32 v10, v43, v29 :: v_dual_add_nc_u32 v3, 0x180, v3
	v_lshlrev_b64 v[4:5], 2, v[5:6]
	s_delay_alu instid0(VALU_DEP_1) | instskip(NEXT) | instid1(VALU_DEP_2)
	v_add_co_u32 v4, vcc_lo, s8, v4
	v_add_co_ci_u32_e32 v5, vcc_lo, s9, v5, vcc_lo
	v_add_co_u32 v32, vcc_lo, s8, v32
	v_add_co_ci_u32_e32 v33, vcc_lo, s9, v33, vcc_lo
	s_clause 0x1
	global_load_b64 v[4:5], v[4:5], off
	global_load_b64 v[32:33], v[32:33], off
	v_fmac_f32_e32 v9, v18, v21
	v_cmp_ge_i32_e32 vcc_lo, v7, v11
	s_or_b32 s5, vcc_lo, s5
	s_waitcnt vmcnt(1)
	v_fmac_f32_e32 v10, v5, v30
	s_waitcnt vmcnt(0)
	s_delay_alu instid0(VALU_DEP_1) | instskip(NEXT) | instid1(VALU_DEP_1)
	v_dual_fmac_f32 v9, v12, v22 :: v_dual_fmac_f32 v10, v33, v31
	v_fmac_f32_e32 v9, v14, v23
	s_delay_alu instid0(VALU_DEP_1) | instskip(NEXT) | instid1(VALU_DEP_1)
	v_fmac_f32_e32 v9, v34, v24
	v_fmac_f32_e32 v9, v40, v25
	s_delay_alu instid0(VALU_DEP_1) | instskip(NEXT) | instid1(VALU_DEP_1)
	v_fmac_f32_e32 v9, v36, v26
	;; [unrolled: 3-line block ×4, first 2 shown]
	v_fmac_f32_e32 v9, v32, v31
	s_and_not1_b32 exec_lo, exec_lo, s5
	s_cbranch_execnz .LBB52_9
; %bb.10:
	s_or_b32 exec_lo, exec_lo, s5
.LBB52_11:
	s_delay_alu instid0(SALU_CYCLE_1) | instskip(NEXT) | instid1(SALU_CYCLE_1)
	s_or_b32 exec_lo, exec_lo, s4
	s_and_not1_b32 vcc_lo, exec_lo, s3
	s_cbranch_vccz .LBB52_13
	s_branch .LBB52_18
.LBB52_12:
                                        ; implicit-def: $vgpr9
                                        ; implicit-def: $vgpr10
.LBB52_13:
	v_dual_mov_b32 v9, 0 :: v_dual_mov_b32 v10, 0
	s_delay_alu instid0(VALU_DEP_2)
	s_and_saveexec_b32 s3, s2
	s_cbranch_execz .LBB52_17
; %bb.14:
	v_mad_u64_u32 v[4:5], null, v2, 24, 23
	v_dual_mov_b32 v7, 0 :: v_dual_mov_b32 v10, 0
	v_mov_b32_e32 v9, 0
	s_mov_b32 s2, 0
.LBB52_15:                              ; =>This Inner Loop Header: Depth=1
	v_ashrrev_i32_e32 v3, 31, v2
	s_delay_alu instid0(VALU_DEP_3) | instskip(SKIP_1) | instid1(VALU_DEP_3)
	v_dual_mov_b32 v29, v7 :: v_dual_add_nc_u32 v12, -11, v4
	v_mov_b32_e32 v13, v7
	v_lshlrev_b64 v[5:6], 2, v[2:3]
	v_add_nc_u32_e32 v2, 16, v2
	s_delay_alu instid0(VALU_DEP_2) | instskip(NEXT) | instid1(VALU_DEP_3)
	v_add_co_u32 v5, vcc_lo, s6, v5
	v_add_co_ci_u32_e32 v6, vcc_lo, s7, v6, vcc_lo
	global_load_b32 v3, v[5:6], off
	v_subrev_nc_u32_e32 v6, 23, v4
	v_mov_b32_e32 v5, v7
	s_delay_alu instid0(VALU_DEP_2) | instskip(SKIP_2) | instid1(VALU_DEP_2)
	v_lshlrev_b64 v[14:15], 2, v[6:7]
	v_add_nc_u32_e32 v6, -10, v4
	v_lshlrev_b64 v[12:13], 2, v[12:13]
	v_lshlrev_b64 v[18:19], 2, v[6:7]
	v_add_nc_u32_e32 v6, -9, v4
	v_lshlrev_b64 v[16:17], 2, v[4:5]
	v_add_co_u32 v20, vcc_lo, s8, v14
	v_add_co_ci_u32_e32 v21, vcc_lo, s9, v15, vcc_lo
	v_add_co_u32 v22, vcc_lo, s8, v12
	v_add_co_ci_u32_e32 v23, vcc_lo, s9, v13, vcc_lo
	;; [unrolled: 2-line block ×3, first 2 shown]
	v_add_co_u32 v26, vcc_lo, s8, v18
	v_lshlrev_b64 v[24:25], 2, v[6:7]
	v_add_co_ci_u32_e32 v27, vcc_lo, s9, v19, vcc_lo
	s_clause 0x2
	global_load_b128 v[12:15], v[20:21], off offset:16
	global_load_b128 v[16:19], v[20:21], off
	global_load_b32 v8, v[22:23], off
	v_add_nc_u32_e32 v6, -8, v4
	v_add_co_u32 v20, vcc_lo, s8, v24
	v_add_co_ci_u32_e32 v21, vcc_lo, s9, v25, vcc_lo
	s_delay_alu instid0(VALU_DEP_3)
	v_lshlrev_b64 v[5:6], 2, v[6:7]
	global_load_b32 v40, v[26:27], off
	v_add_co_u32 v5, vcc_lo, s8, v5
	v_add_co_ci_u32_e32 v6, vcc_lo, s9, v6, vcc_lo
	s_clause 0x1
	global_load_b32 v41, v[20:21], off
	global_load_b32 v42, v[5:6], off
	s_waitcnt vmcnt(6)
	v_subrev_nc_u32_e32 v3, s18, v3
	s_delay_alu instid0(VALU_DEP_1) | instskip(NEXT) | instid1(VALU_DEP_1)
	v_mul_lo_u32 v28, v3, 12
	v_add_nc_u32_e32 v6, 4, v28
	v_lshlrev_b64 v[20:21], 2, v[28:29]
	s_delay_alu instid0(VALU_DEP_2) | instskip(NEXT) | instid1(VALU_DEP_2)
	v_lshlrev_b64 v[22:23], 2, v[6:7]
	v_add_co_u32 v20, vcc_lo, s10, v20
	s_delay_alu instid0(VALU_DEP_3) | instskip(NEXT) | instid1(VALU_DEP_3)
	v_add_co_ci_u32_e32 v21, vcc_lo, s11, v21, vcc_lo
	v_add_co_u32 v24, vcc_lo, s10, v22
	s_delay_alu instid0(VALU_DEP_4)
	v_add_co_ci_u32_e32 v25, vcc_lo, s11, v23, vcc_lo
	s_clause 0x1
	global_load_b128 v[20:23], v[20:21], off
	global_load_b128 v[24:27], v[24:25], off
	s_waitcnt vmcnt(1)
	v_fmac_f32_e32 v10, v8, v20
	s_delay_alu instid0(VALU_DEP_1) | instskip(NEXT) | instid1(VALU_DEP_1)
	v_fmac_f32_e32 v10, v40, v21
	v_dual_fmac_f32 v9, v16, v20 :: v_dual_fmac_f32 v10, v41, v22
	s_delay_alu instid0(VALU_DEP_1) | instskip(NEXT) | instid1(VALU_DEP_1)
	v_fmac_f32_e32 v9, v17, v21
	v_dual_fmac_f32 v9, v18, v22 :: v_dual_add_nc_u32 v6, -7, v4
	s_delay_alu instid0(VALU_DEP_1) | instskip(NEXT) | instid1(VALU_DEP_2)
	v_fmac_f32_e32 v9, v19, v23
	v_lshlrev_b64 v[29:30], 2, v[6:7]
	s_waitcnt vmcnt(0)
	s_delay_alu instid0(VALU_DEP_2) | instskip(SKIP_1) | instid1(VALU_DEP_3)
	v_dual_fmac_f32 v10, v42, v23 :: v_dual_fmac_f32 v9, v12, v24
	v_add_nc_u32_e32 v6, -6, v4
	v_add_co_u32 v29, vcc_lo, s8, v29
	s_delay_alu instid0(VALU_DEP_4) | instskip(NEXT) | instid1(VALU_DEP_4)
	v_add_co_ci_u32_e32 v30, vcc_lo, s9, v30, vcc_lo
	v_fmac_f32_e32 v9, v13, v25
	s_delay_alu instid0(VALU_DEP_4)
	v_lshlrev_b64 v[34:35], 2, v[6:7]
	v_add_nc_u32_e32 v6, -5, v4
	global_load_b32 v3, v[29:30], off
	v_fmac_f32_e32 v9, v14, v26
	v_add_co_u32 v34, vcc_lo, s8, v34
	v_lshlrev_b64 v[36:37], 2, v[6:7]
	s_delay_alu instid0(VALU_DEP_3)
	v_dual_fmac_f32 v9, v15, v27 :: v_dual_add_nc_u32 v6, -4, v4
	v_add_co_ci_u32_e32 v35, vcc_lo, s9, v35, vcc_lo
	global_load_b32 v43, v[34:35], off
	v_lshlrev_b64 v[29:30], 2, v[6:7]
	v_add_nc_u32_e32 v6, -15, v4
	v_add_co_u32 v34, vcc_lo, s8, v36
	v_add_co_ci_u32_e32 v35, vcc_lo, s9, v37, vcc_lo
	s_delay_alu instid0(VALU_DEP_3) | instskip(SKIP_3) | instid1(VALU_DEP_3)
	v_lshlrev_b64 v[36:37], 2, v[6:7]
	v_add_nc_u32_e32 v6, 8, v28
	v_add_co_u32 v28, vcc_lo, s8, v29
	v_add_co_ci_u32_e32 v29, vcc_lo, s9, v30, vcc_lo
	v_lshlrev_b64 v[30:31], 2, v[6:7]
	v_add_nc_u32_e32 v6, -3, v4
	s_clause 0x1
	global_load_b32 v44, v[34:35], off
	global_load_b32 v45, v[28:29], off
	v_add_co_u32 v28, vcc_lo, s8, v36
	v_lshlrev_b64 v[34:35], 2, v[6:7]
	v_add_nc_u32_e32 v6, -14, v4
	v_add_co_ci_u32_e32 v29, vcc_lo, s9, v37, vcc_lo
	v_add_co_u32 v30, vcc_lo, s10, v30
	s_delay_alu instid0(VALU_DEP_3)
	v_lshlrev_b64 v[36:37], 2, v[6:7]
	v_add_co_ci_u32_e32 v31, vcc_lo, s11, v31, vcc_lo
	v_add_nc_u32_e32 v6, -2, v4
	v_add_co_u32 v34, vcc_lo, s8, v34
	v_add_co_ci_u32_e32 v35, vcc_lo, s9, v35, vcc_lo
	v_add_co_u32 v36, vcc_lo, s8, v36
	s_delay_alu instid0(VALU_DEP_4)
	v_lshlrev_b64 v[38:39], 2, v[6:7]
	v_add_nc_u32_e32 v6, -13, v4
	v_add_co_ci_u32_e32 v37, vcc_lo, s9, v37, vcc_lo
	s_clause 0x2
	global_load_b32 v46, v[28:29], off
	global_load_b32 v47, v[34:35], off
	;; [unrolled: 1-line block ×3, first 2 shown]
	v_lshlrev_b64 v[34:35], 2, v[6:7]
	v_add_nc_u32_e32 v6, -1, v4
	v_add_co_u32 v36, vcc_lo, s8, v38
	v_add_co_ci_u32_e32 v37, vcc_lo, s9, v39, vcc_lo
	s_delay_alu instid0(VALU_DEP_3)
	v_lshlrev_b64 v[38:39], 2, v[6:7]
	v_add_nc_u32_e32 v6, -12, v4
	v_add_co_u32 v34, vcc_lo, s8, v34
	v_add_co_ci_u32_e32 v35, vcc_lo, s9, v35, vcc_lo
	global_load_b128 v[28:31], v[30:31], off
	v_lshlrev_b64 v[5:6], 2, v[6:7]
	s_clause 0x1
	global_load_b32 v36, v[36:37], off
	global_load_b32 v37, v[34:35], off
	v_add_co_u32 v34, vcc_lo, s8, v38
	v_add_co_ci_u32_e32 v35, vcc_lo, s9, v39, vcc_lo
	v_add_co_u32 v5, vcc_lo, s8, v5
	v_add_co_ci_u32_e32 v6, vcc_lo, s9, v6, vcc_lo
	s_clause 0x2
	global_load_b32 v34, v[34:35], off
	global_load_b32 v5, v[5:6], off
	;; [unrolled: 1-line block ×3, first 2 shown]
	v_cmp_ge_i32_e32 vcc_lo, v2, v11
	v_add_nc_u32_e32 v4, 0x180, v4
	s_or_b32 s2, vcc_lo, s2
	s_waitcnt vmcnt(12)
	v_fmac_f32_e32 v10, v3, v24
	s_waitcnt vmcnt(11)
	s_delay_alu instid0(VALU_DEP_1) | instskip(SKIP_1) | instid1(VALU_DEP_1)
	v_fmac_f32_e32 v10, v43, v25
	s_waitcnt vmcnt(10)
	v_fmac_f32_e32 v10, v44, v26
	s_waitcnt vmcnt(5)
	s_delay_alu instid0(VALU_DEP_1) | instskip(NEXT) | instid1(VALU_DEP_1)
	v_dual_fmac_f32 v10, v45, v27 :: v_dual_fmac_f32 v9, v46, v28
	v_dual_fmac_f32 v10, v47, v28 :: v_dual_fmac_f32 v9, v48, v29
	s_waitcnt vmcnt(3)
	s_delay_alu instid0(VALU_DEP_1) | instskip(SKIP_1) | instid1(VALU_DEP_1)
	v_dual_fmac_f32 v10, v36, v29 :: v_dual_fmac_f32 v9, v37, v30
	s_waitcnt vmcnt(1)
	v_dual_fmac_f32 v10, v34, v30 :: v_dual_fmac_f32 v9, v5, v31
	s_waitcnt vmcnt(0)
	s_delay_alu instid0(VALU_DEP_1)
	v_fmac_f32_e32 v10, v6, v31
	s_and_not1_b32 exec_lo, exec_lo, s2
	s_cbranch_execnz .LBB52_15
; %bb.16:
	s_or_b32 exec_lo, exec_lo, s2
.LBB52_17:
	s_delay_alu instid0(SALU_CYCLE_1)
	s_or_b32 exec_lo, exec_lo, s3
.LBB52_18:
	v_mbcnt_lo_u32_b32 v2, -1, 0
	s_mov_b32 s2, -1
	s_delay_alu instid0(VALU_DEP_1) | instskip(SKIP_2) | instid1(VALU_DEP_3)
	v_xor_b32_e32 v3, 8, v2
	v_xor_b32_e32 v5, 4, v2
	;; [unrolled: 1-line block ×3, first 2 shown]
	v_cmp_gt_i32_e32 vcc_lo, 32, v3
	v_cndmask_b32_e32 v3, v2, v3, vcc_lo
	s_delay_alu instid0(VALU_DEP_4) | instskip(NEXT) | instid1(VALU_DEP_2)
	v_cmp_gt_i32_e32 vcc_lo, 32, v5
	v_lshlrev_b32_e32 v3, 2, v3
	v_cndmask_b32_e32 v5, v2, v5, vcc_lo
	v_cmp_gt_i32_e32 vcc_lo, 32, v7
	ds_bpermute_b32 v4, v3, v9
	v_lshlrev_b32_e32 v5, 2, v5
	v_cndmask_b32_e32 v7, v2, v7, vcc_lo
	s_waitcnt lgkmcnt(0)
	s_delay_alu instid0(VALU_DEP_1)
	v_dual_add_f32 v4, v9, v4 :: v_dual_lshlrev_b32 v7, 2, v7
	ds_bpermute_b32 v6, v5, v4
	s_waitcnt lgkmcnt(0)
	v_add_f32_e32 v4, v4, v6
	ds_bpermute_b32 v3, v3, v10
	s_waitcnt lgkmcnt(0)
	v_add_f32_e32 v3, v10, v3
	;; [unrolled: 3-line block ×3, first 2 shown]
	ds_bpermute_b32 v5, v7, v4
	ds_bpermute_b32 v6, v7, v3
	v_xor_b32_e32 v7, 1, v2
	s_delay_alu instid0(VALU_DEP_1) | instskip(SKIP_3) | instid1(VALU_DEP_2)
	v_cmp_gt_i32_e32 vcc_lo, 32, v7
	v_cndmask_b32_e32 v2, v2, v7, vcc_lo
	v_cmp_eq_u32_e32 vcc_lo, 15, v0
	s_waitcnt lgkmcnt(1)
	v_dual_add_f32 v2, v4, v5 :: v_dual_lshlrev_b32 v7, 2, v2
	s_waitcnt lgkmcnt(0)
	v_add_f32_e32 v3, v3, v6
	ds_bpermute_b32 v4, v7, v2
	ds_bpermute_b32 v5, v7, v3
	s_and_b32 exec_lo, exec_lo, vcc_lo
	s_cbranch_execz .LBB52_23
; %bb.19:
	s_load_b64 s[0:1], s[0:1], 0x38
	s_waitcnt lgkmcnt(0)
	v_dual_add_f32 v0, v2, v4 :: v_dual_add_f32 v3, v3, v5
	v_cmp_eq_f32_e64 s3, s12, 0
	s_delay_alu instid0(VALU_DEP_2) | instskip(SKIP_1) | instid1(VALU_DEP_3)
	v_dual_mul_f32 v2, s16, v0 :: v_dual_mul_f32 v3, s16, v3
	v_lshlrev_b32_e32 v0, 1, v1
	s_and_b32 vcc_lo, exec_lo, s3
	s_cbranch_vccz .LBB52_21
; %bb.20:
	s_delay_alu instid0(VALU_DEP_1) | instskip(SKIP_1) | instid1(VALU_DEP_1)
	v_ashrrev_i32_e32 v1, 31, v0
	s_mov_b32 s2, 0
	v_lshlrev_b64 v[4:5], 2, v[0:1]
	s_delay_alu instid0(VALU_DEP_1) | instskip(NEXT) | instid1(VALU_DEP_2)
	v_add_co_u32 v4, vcc_lo, s0, v4
	v_add_co_ci_u32_e32 v5, vcc_lo, s1, v5, vcc_lo
	global_store_b64 v[4:5], v[2:3], off
.LBB52_21:
	s_and_not1_b32 vcc_lo, exec_lo, s2
	s_cbranch_vccnz .LBB52_23
; %bb.22:
	v_ashrrev_i32_e32 v1, 31, v0
	s_delay_alu instid0(VALU_DEP_1) | instskip(NEXT) | instid1(VALU_DEP_1)
	v_lshlrev_b64 v[0:1], 2, v[0:1]
	v_add_co_u32 v0, vcc_lo, s0, v0
	s_delay_alu instid0(VALU_DEP_2)
	v_add_co_ci_u32_e32 v1, vcc_lo, s1, v1, vcc_lo
	global_load_b64 v[4:5], v[0:1], off
	s_waitcnt vmcnt(0)
	v_dual_fmac_f32 v2, s12, v4 :: v_dual_fmac_f32 v3, s12, v5
	global_store_b64 v[0:1], v[2:3], off
.LBB52_23:
	s_nop 0
	s_sendmsg sendmsg(MSG_DEALLOC_VGPRS)
	s_endpgm
	.section	.rodata,"a",@progbits
	.p2align	6, 0x0
	.amdhsa_kernel _ZN9rocsparseL19gebsrmvn_2xn_kernelILj128ELj12ELj16EfEEvi20rocsparse_direction_NS_24const_host_device_scalarIT2_EEPKiS6_PKS3_S8_S4_PS3_21rocsparse_index_base_b
		.amdhsa_group_segment_fixed_size 0
		.amdhsa_private_segment_fixed_size 0
		.amdhsa_kernarg_size 72
		.amdhsa_user_sgpr_count 15
		.amdhsa_user_sgpr_dispatch_ptr 0
		.amdhsa_user_sgpr_queue_ptr 0
		.amdhsa_user_sgpr_kernarg_segment_ptr 1
		.amdhsa_user_sgpr_dispatch_id 0
		.amdhsa_user_sgpr_private_segment_size 0
		.amdhsa_wavefront_size32 1
		.amdhsa_uses_dynamic_stack 0
		.amdhsa_enable_private_segment 0
		.amdhsa_system_sgpr_workgroup_id_x 1
		.amdhsa_system_sgpr_workgroup_id_y 0
		.amdhsa_system_sgpr_workgroup_id_z 0
		.amdhsa_system_sgpr_workgroup_info 0
		.amdhsa_system_vgpr_workitem_id 0
		.amdhsa_next_free_vgpr 49
		.amdhsa_next_free_sgpr 20
		.amdhsa_reserve_vcc 1
		.amdhsa_float_round_mode_32 0
		.amdhsa_float_round_mode_16_64 0
		.amdhsa_float_denorm_mode_32 3
		.amdhsa_float_denorm_mode_16_64 3
		.amdhsa_dx10_clamp 1
		.amdhsa_ieee_mode 1
		.amdhsa_fp16_overflow 0
		.amdhsa_workgroup_processor_mode 1
		.amdhsa_memory_ordered 1
		.amdhsa_forward_progress 0
		.amdhsa_shared_vgpr_count 0
		.amdhsa_exception_fp_ieee_invalid_op 0
		.amdhsa_exception_fp_denorm_src 0
		.amdhsa_exception_fp_ieee_div_zero 0
		.amdhsa_exception_fp_ieee_overflow 0
		.amdhsa_exception_fp_ieee_underflow 0
		.amdhsa_exception_fp_ieee_inexact 0
		.amdhsa_exception_int_div_zero 0
	.end_amdhsa_kernel
	.section	.text._ZN9rocsparseL19gebsrmvn_2xn_kernelILj128ELj12ELj16EfEEvi20rocsparse_direction_NS_24const_host_device_scalarIT2_EEPKiS6_PKS3_S8_S4_PS3_21rocsparse_index_base_b,"axG",@progbits,_ZN9rocsparseL19gebsrmvn_2xn_kernelILj128ELj12ELj16EfEEvi20rocsparse_direction_NS_24const_host_device_scalarIT2_EEPKiS6_PKS3_S8_S4_PS3_21rocsparse_index_base_b,comdat
.Lfunc_end52:
	.size	_ZN9rocsparseL19gebsrmvn_2xn_kernelILj128ELj12ELj16EfEEvi20rocsparse_direction_NS_24const_host_device_scalarIT2_EEPKiS6_PKS3_S8_S4_PS3_21rocsparse_index_base_b, .Lfunc_end52-_ZN9rocsparseL19gebsrmvn_2xn_kernelILj128ELj12ELj16EfEEvi20rocsparse_direction_NS_24const_host_device_scalarIT2_EEPKiS6_PKS3_S8_S4_PS3_21rocsparse_index_base_b
                                        ; -- End function
	.section	.AMDGPU.csdata,"",@progbits
; Kernel info:
; codeLenInByte = 2464
; NumSgprs: 22
; NumVgprs: 49
; ScratchSize: 0
; MemoryBound: 0
; FloatMode: 240
; IeeeMode: 1
; LDSByteSize: 0 bytes/workgroup (compile time only)
; SGPRBlocks: 2
; VGPRBlocks: 6
; NumSGPRsForWavesPerEU: 22
; NumVGPRsForWavesPerEU: 49
; Occupancy: 16
; WaveLimiterHint : 1
; COMPUTE_PGM_RSRC2:SCRATCH_EN: 0
; COMPUTE_PGM_RSRC2:USER_SGPR: 15
; COMPUTE_PGM_RSRC2:TRAP_HANDLER: 0
; COMPUTE_PGM_RSRC2:TGID_X_EN: 1
; COMPUTE_PGM_RSRC2:TGID_Y_EN: 0
; COMPUTE_PGM_RSRC2:TGID_Z_EN: 0
; COMPUTE_PGM_RSRC2:TIDIG_COMP_CNT: 0
	.section	.text._ZN9rocsparseL19gebsrmvn_2xn_kernelILj128ELj12ELj32EfEEvi20rocsparse_direction_NS_24const_host_device_scalarIT2_EEPKiS6_PKS3_S8_S4_PS3_21rocsparse_index_base_b,"axG",@progbits,_ZN9rocsparseL19gebsrmvn_2xn_kernelILj128ELj12ELj32EfEEvi20rocsparse_direction_NS_24const_host_device_scalarIT2_EEPKiS6_PKS3_S8_S4_PS3_21rocsparse_index_base_b,comdat
	.globl	_ZN9rocsparseL19gebsrmvn_2xn_kernelILj128ELj12ELj32EfEEvi20rocsparse_direction_NS_24const_host_device_scalarIT2_EEPKiS6_PKS3_S8_S4_PS3_21rocsparse_index_base_b ; -- Begin function _ZN9rocsparseL19gebsrmvn_2xn_kernelILj128ELj12ELj32EfEEvi20rocsparse_direction_NS_24const_host_device_scalarIT2_EEPKiS6_PKS3_S8_S4_PS3_21rocsparse_index_base_b
	.p2align	8
	.type	_ZN9rocsparseL19gebsrmvn_2xn_kernelILj128ELj12ELj32EfEEvi20rocsparse_direction_NS_24const_host_device_scalarIT2_EEPKiS6_PKS3_S8_S4_PS3_21rocsparse_index_base_b,@function
_ZN9rocsparseL19gebsrmvn_2xn_kernelILj128ELj12ELj32EfEEvi20rocsparse_direction_NS_24const_host_device_scalarIT2_EEPKiS6_PKS3_S8_S4_PS3_21rocsparse_index_base_b: ; @_ZN9rocsparseL19gebsrmvn_2xn_kernelILj128ELj12ELj32EfEEvi20rocsparse_direction_NS_24const_host_device_scalarIT2_EEPKiS6_PKS3_S8_S4_PS3_21rocsparse_index_base_b
; %bb.0:
	s_clause 0x2
	s_load_b64 s[18:19], s[0:1], 0x40
	s_load_b64 s[16:17], s[0:1], 0x8
	;; [unrolled: 1-line block ×3, first 2 shown]
	s_waitcnt lgkmcnt(0)
	s_bitcmp1_b32 s19, 0
	s_cselect_b32 s2, -1, 0
	s_delay_alu instid0(SALU_CYCLE_1)
	s_and_b32 vcc_lo, exec_lo, s2
	s_xor_b32 s2, s2, -1
	s_cbranch_vccnz .LBB53_2
; %bb.1:
	s_load_b32 s16, s[16:17], 0x0
.LBB53_2:
	s_and_not1_b32 vcc_lo, exec_lo, s2
	s_cbranch_vccnz .LBB53_4
; %bb.3:
	s_load_b32 s12, s[12:13], 0x0
.LBB53_4:
	s_waitcnt lgkmcnt(0)
	v_cmp_eq_f32_e64 s2, s16, 0
	v_cmp_eq_f32_e64 s3, s12, 1.0
	s_delay_alu instid0(VALU_DEP_1) | instskip(NEXT) | instid1(SALU_CYCLE_1)
	s_and_b32 s2, s2, s3
	s_and_b32 vcc_lo, exec_lo, s2
	s_cbranch_vccnz .LBB53_23
; %bb.5:
	s_load_b64 s[2:3], s[0:1], 0x0
	v_lshrrev_b32_e32 v1, 5, v0
	s_delay_alu instid0(VALU_DEP_1) | instskip(SKIP_1) | instid1(VALU_DEP_1)
	v_lshl_or_b32 v1, s15, 2, v1
	s_waitcnt lgkmcnt(0)
	v_cmp_gt_i32_e32 vcc_lo, s2, v1
	s_and_saveexec_b32 s2, vcc_lo
	s_cbranch_execz .LBB53_23
; %bb.6:
	s_load_b256 s[4:11], s[0:1], 0x10
	v_ashrrev_i32_e32 v2, 31, v1
	v_and_b32_e32 v0, 31, v0
	s_cmp_lg_u32 s3, 0
	s_delay_alu instid0(VALU_DEP_2) | instskip(SKIP_1) | instid1(VALU_DEP_1)
	v_lshlrev_b64 v[2:3], 2, v[1:2]
	s_waitcnt lgkmcnt(0)
	v_add_co_u32 v2, vcc_lo, s4, v2
	s_delay_alu instid0(VALU_DEP_2) | instskip(SKIP_4) | instid1(VALU_DEP_2)
	v_add_co_ci_u32_e32 v3, vcc_lo, s5, v3, vcc_lo
	global_load_b64 v[2:3], v[2:3], off
	s_waitcnt vmcnt(0)
	v_subrev_nc_u32_e32 v2, s18, v2
	v_subrev_nc_u32_e32 v11, s18, v3
	v_add_nc_u32_e32 v2, v2, v0
	s_delay_alu instid0(VALU_DEP_1)
	v_cmp_lt_i32_e64 s2, v2, v11
	s_cbranch_scc0 .LBB53_12
; %bb.7:
	v_dual_mov_b32 v9, 0 :: v_dual_mov_b32 v10, 0
	s_mov_b32 s3, 0
	s_delay_alu instid0(VALU_DEP_2)
	s_and_saveexec_b32 s4, s2
	s_cbranch_execz .LBB53_11
; %bb.8:
	v_mad_u64_u32 v[3:4], null, v2, 24, 22
	v_dual_mov_b32 v6, 0 :: v_dual_mov_b32 v7, v2
	v_dual_mov_b32 v9, 0 :: v_dual_mov_b32 v10, 0
	s_mov_b32 s5, 0
.LBB53_9:                               ; =>This Inner Loop Header: Depth=1
	s_delay_alu instid0(VALU_DEP_2) | instskip(NEXT) | instid1(VALU_DEP_1)
	v_ashrrev_i32_e32 v8, 31, v7
	v_lshlrev_b64 v[4:5], 2, v[7:8]
	v_add_nc_u32_e32 v7, 32, v7
	s_delay_alu instid0(VALU_DEP_2) | instskip(NEXT) | instid1(VALU_DEP_3)
	v_add_co_u32 v4, vcc_lo, s6, v4
	v_add_co_ci_u32_e32 v5, vcc_lo, s7, v5, vcc_lo
	global_load_b32 v8, v[4:5], off
	v_subrev_nc_u32_e32 v5, 22, v3
	v_mov_b32_e32 v4, v6
	s_delay_alu instid0(VALU_DEP_2) | instskip(SKIP_1) | instid1(VALU_DEP_3)
	v_lshlrev_b64 v[12:13], 2, v[5:6]
	v_add_nc_u32_e32 v5, -14, v3
	v_lshlrev_b64 v[32:33], 2, v[3:4]
	s_delay_alu instid0(VALU_DEP_2) | instskip(NEXT) | instid1(VALU_DEP_4)
	v_lshlrev_b64 v[4:5], 2, v[5:6]
	v_add_co_u32 v16, vcc_lo, s8, v12
	v_add_co_ci_u32_e32 v17, vcc_lo, s9, v13, vcc_lo
	s_delay_alu instid0(VALU_DEP_3) | instskip(NEXT) | instid1(VALU_DEP_4)
	v_add_co_u32 v4, vcc_lo, s8, v4
	v_add_co_ci_u32_e32 v5, vcc_lo, s9, v5, vcc_lo
	s_clause 0x2
	global_load_b128 v[12:15], v[16:17], off offset:16
	global_load_b128 v[16:19], v[16:17], off
	global_load_b64 v[34:35], v[4:5], off
	v_mov_b32_e32 v29, v6
	s_waitcnt vmcnt(3)
	v_subrev_nc_u32_e32 v4, s18, v8
	s_delay_alu instid0(VALU_DEP_1) | instskip(NEXT) | instid1(VALU_DEP_1)
	v_mul_lo_u32 v28, v4, 12
	v_add_nc_u32_e32 v5, 4, v28
	v_lshlrev_b64 v[20:21], 2, v[28:29]
	s_delay_alu instid0(VALU_DEP_2) | instskip(NEXT) | instid1(VALU_DEP_2)
	v_lshlrev_b64 v[22:23], 2, v[5:6]
	v_add_co_u32 v20, vcc_lo, s10, v20
	s_delay_alu instid0(VALU_DEP_3) | instskip(NEXT) | instid1(VALU_DEP_3)
	v_add_co_ci_u32_e32 v21, vcc_lo, s11, v21, vcc_lo
	v_add_co_u32 v24, vcc_lo, s10, v22
	s_delay_alu instid0(VALU_DEP_4)
	v_add_co_ci_u32_e32 v25, vcc_lo, s11, v23, vcc_lo
	s_clause 0x1
	global_load_b128 v[20:23], v[20:21], off
	global_load_b128 v[24:27], v[24:25], off
	s_waitcnt vmcnt(1)
	v_fmac_f32_e32 v10, v17, v20
	s_delay_alu instid0(VALU_DEP_1) | instskip(NEXT) | instid1(VALU_DEP_1)
	v_dual_fmac_f32 v10, v19, v21 :: v_dual_add_nc_u32 v5, -12, v3
	v_fmac_f32_e32 v10, v13, v22
	s_delay_alu instid0(VALU_DEP_2) | instskip(NEXT) | instid1(VALU_DEP_2)
	v_lshlrev_b64 v[29:30], 2, v[5:6]
	v_dual_fmac_f32 v9, v16, v20 :: v_dual_fmac_f32 v10, v15, v23
	v_add_nc_u32_e32 v5, -10, v3
	s_delay_alu instid0(VALU_DEP_3) | instskip(NEXT) | instid1(VALU_DEP_4)
	v_add_co_u32 v29, vcc_lo, s8, v29
	v_add_co_ci_u32_e32 v30, vcc_lo, s9, v30, vcc_lo
	s_waitcnt vmcnt(0)
	v_fmac_f32_e32 v10, v35, v24
	v_lshlrev_b64 v[36:37], 2, v[5:6]
	global_load_b64 v[40:41], v[29:30], off
	v_add_nc_u32_e32 v5, -8, v3
	v_add_co_u32 v36, vcc_lo, s8, v36
	s_delay_alu instid0(VALU_DEP_2) | instskip(SKIP_1) | instid1(VALU_DEP_2)
	v_lshlrev_b64 v[38:39], 2, v[5:6]
	v_add_co_ci_u32_e32 v37, vcc_lo, s9, v37, vcc_lo
	v_add_co_u32 v38, vcc_lo, s8, v38
	global_load_b64 v[36:37], v[36:37], off
	v_add_co_ci_u32_e32 v39, vcc_lo, s9, v39, vcc_lo
	global_load_b64 v[38:39], v[38:39], off
	s_waitcnt vmcnt(2)
	v_dual_fmac_f32 v10, v41, v25 :: v_dual_add_nc_u32 v5, -6, v3
	s_delay_alu instid0(VALU_DEP_1) | instskip(SKIP_1) | instid1(VALU_DEP_2)
	v_lshlrev_b64 v[29:30], 2, v[5:6]
	v_add_nc_u32_e32 v5, 8, v28
	v_add_co_u32 v28, vcc_lo, s8, v29
	s_delay_alu instid0(VALU_DEP_3) | instskip(SKIP_4) | instid1(VALU_DEP_1)
	v_add_co_ci_u32_e32 v29, vcc_lo, s9, v30, vcc_lo
	global_load_b64 v[44:45], v[28:29], off
	s_waitcnt vmcnt(2)
	v_fmac_f32_e32 v10, v37, v26
	s_waitcnt vmcnt(1)
	v_fmac_f32_e32 v10, v39, v27
	v_lshlrev_b64 v[42:43], 2, v[5:6]
	v_add_nc_u32_e32 v5, -4, v3
	s_delay_alu instid0(VALU_DEP_1) | instskip(NEXT) | instid1(VALU_DEP_3)
	v_lshlrev_b64 v[30:31], 2, v[5:6]
	v_add_co_u32 v28, vcc_lo, s10, v42
	s_delay_alu instid0(VALU_DEP_4) | instskip(NEXT) | instid1(VALU_DEP_3)
	v_add_co_ci_u32_e32 v29, vcc_lo, s11, v43, vcc_lo
	v_add_co_u32 v42, vcc_lo, s8, v30
	s_delay_alu instid0(VALU_DEP_4)
	v_add_co_ci_u32_e32 v43, vcc_lo, s9, v31, vcc_lo
	global_load_b128 v[28:31], v[28:29], off
	global_load_b64 v[42:43], v[42:43], off
	s_waitcnt vmcnt(1)
	v_dual_fmac_f32 v10, v45, v28 :: v_dual_add_nc_u32 v5, -2, v3
	s_waitcnt vmcnt(0)
	s_delay_alu instid0(VALU_DEP_1) | instskip(NEXT) | instid1(VALU_DEP_2)
	v_dual_fmac_f32 v10, v43, v29 :: v_dual_add_nc_u32 v3, 0x300, v3
	v_lshlrev_b64 v[4:5], 2, v[5:6]
	s_delay_alu instid0(VALU_DEP_1) | instskip(NEXT) | instid1(VALU_DEP_2)
	v_add_co_u32 v4, vcc_lo, s8, v4
	v_add_co_ci_u32_e32 v5, vcc_lo, s9, v5, vcc_lo
	v_add_co_u32 v32, vcc_lo, s8, v32
	v_add_co_ci_u32_e32 v33, vcc_lo, s9, v33, vcc_lo
	s_clause 0x1
	global_load_b64 v[4:5], v[4:5], off
	global_load_b64 v[32:33], v[32:33], off
	v_fmac_f32_e32 v9, v18, v21
	v_cmp_ge_i32_e32 vcc_lo, v7, v11
	s_or_b32 s5, vcc_lo, s5
	s_waitcnt vmcnt(1)
	v_fmac_f32_e32 v10, v5, v30
	s_waitcnt vmcnt(0)
	s_delay_alu instid0(VALU_DEP_1) | instskip(NEXT) | instid1(VALU_DEP_1)
	v_dual_fmac_f32 v9, v12, v22 :: v_dual_fmac_f32 v10, v33, v31
	v_fmac_f32_e32 v9, v14, v23
	s_delay_alu instid0(VALU_DEP_1) | instskip(NEXT) | instid1(VALU_DEP_1)
	v_fmac_f32_e32 v9, v34, v24
	v_fmac_f32_e32 v9, v40, v25
	s_delay_alu instid0(VALU_DEP_1) | instskip(NEXT) | instid1(VALU_DEP_1)
	v_fmac_f32_e32 v9, v36, v26
	;; [unrolled: 3-line block ×4, first 2 shown]
	v_fmac_f32_e32 v9, v32, v31
	s_and_not1_b32 exec_lo, exec_lo, s5
	s_cbranch_execnz .LBB53_9
; %bb.10:
	s_or_b32 exec_lo, exec_lo, s5
.LBB53_11:
	s_delay_alu instid0(SALU_CYCLE_1) | instskip(NEXT) | instid1(SALU_CYCLE_1)
	s_or_b32 exec_lo, exec_lo, s4
	s_and_not1_b32 vcc_lo, exec_lo, s3
	s_cbranch_vccz .LBB53_13
	s_branch .LBB53_18
.LBB53_12:
                                        ; implicit-def: $vgpr9
                                        ; implicit-def: $vgpr10
.LBB53_13:
	v_dual_mov_b32 v9, 0 :: v_dual_mov_b32 v10, 0
	s_delay_alu instid0(VALU_DEP_2)
	s_and_saveexec_b32 s3, s2
	s_cbranch_execz .LBB53_17
; %bb.14:
	v_mad_u64_u32 v[4:5], null, v2, 24, 23
	v_dual_mov_b32 v7, 0 :: v_dual_mov_b32 v10, 0
	v_mov_b32_e32 v9, 0
	s_mov_b32 s2, 0
.LBB53_15:                              ; =>This Inner Loop Header: Depth=1
	v_ashrrev_i32_e32 v3, 31, v2
	s_delay_alu instid0(VALU_DEP_3) | instskip(SKIP_1) | instid1(VALU_DEP_3)
	v_dual_mov_b32 v29, v7 :: v_dual_add_nc_u32 v12, -11, v4
	v_mov_b32_e32 v13, v7
	v_lshlrev_b64 v[5:6], 2, v[2:3]
	v_add_nc_u32_e32 v2, 32, v2
	s_delay_alu instid0(VALU_DEP_2) | instskip(NEXT) | instid1(VALU_DEP_3)
	v_add_co_u32 v5, vcc_lo, s6, v5
	v_add_co_ci_u32_e32 v6, vcc_lo, s7, v6, vcc_lo
	global_load_b32 v3, v[5:6], off
	v_subrev_nc_u32_e32 v6, 23, v4
	v_mov_b32_e32 v5, v7
	s_delay_alu instid0(VALU_DEP_2) | instskip(SKIP_2) | instid1(VALU_DEP_2)
	v_lshlrev_b64 v[14:15], 2, v[6:7]
	v_add_nc_u32_e32 v6, -10, v4
	v_lshlrev_b64 v[12:13], 2, v[12:13]
	v_lshlrev_b64 v[18:19], 2, v[6:7]
	v_add_nc_u32_e32 v6, -9, v4
	v_lshlrev_b64 v[16:17], 2, v[4:5]
	v_add_co_u32 v20, vcc_lo, s8, v14
	v_add_co_ci_u32_e32 v21, vcc_lo, s9, v15, vcc_lo
	v_add_co_u32 v22, vcc_lo, s8, v12
	v_add_co_ci_u32_e32 v23, vcc_lo, s9, v13, vcc_lo
	;; [unrolled: 2-line block ×3, first 2 shown]
	v_add_co_u32 v26, vcc_lo, s8, v18
	v_lshlrev_b64 v[24:25], 2, v[6:7]
	v_add_co_ci_u32_e32 v27, vcc_lo, s9, v19, vcc_lo
	s_clause 0x2
	global_load_b128 v[12:15], v[20:21], off offset:16
	global_load_b128 v[16:19], v[20:21], off
	global_load_b32 v8, v[22:23], off
	v_add_nc_u32_e32 v6, -8, v4
	v_add_co_u32 v20, vcc_lo, s8, v24
	v_add_co_ci_u32_e32 v21, vcc_lo, s9, v25, vcc_lo
	s_delay_alu instid0(VALU_DEP_3)
	v_lshlrev_b64 v[5:6], 2, v[6:7]
	global_load_b32 v40, v[26:27], off
	v_add_co_u32 v5, vcc_lo, s8, v5
	v_add_co_ci_u32_e32 v6, vcc_lo, s9, v6, vcc_lo
	s_clause 0x1
	global_load_b32 v41, v[20:21], off
	global_load_b32 v42, v[5:6], off
	s_waitcnt vmcnt(6)
	v_subrev_nc_u32_e32 v3, s18, v3
	s_delay_alu instid0(VALU_DEP_1) | instskip(NEXT) | instid1(VALU_DEP_1)
	v_mul_lo_u32 v28, v3, 12
	v_add_nc_u32_e32 v6, 4, v28
	v_lshlrev_b64 v[20:21], 2, v[28:29]
	s_delay_alu instid0(VALU_DEP_2) | instskip(NEXT) | instid1(VALU_DEP_2)
	v_lshlrev_b64 v[22:23], 2, v[6:7]
	v_add_co_u32 v20, vcc_lo, s10, v20
	s_delay_alu instid0(VALU_DEP_3) | instskip(NEXT) | instid1(VALU_DEP_3)
	v_add_co_ci_u32_e32 v21, vcc_lo, s11, v21, vcc_lo
	v_add_co_u32 v24, vcc_lo, s10, v22
	s_delay_alu instid0(VALU_DEP_4)
	v_add_co_ci_u32_e32 v25, vcc_lo, s11, v23, vcc_lo
	s_clause 0x1
	global_load_b128 v[20:23], v[20:21], off
	global_load_b128 v[24:27], v[24:25], off
	s_waitcnt vmcnt(1)
	v_fmac_f32_e32 v10, v8, v20
	s_delay_alu instid0(VALU_DEP_1) | instskip(NEXT) | instid1(VALU_DEP_1)
	v_fmac_f32_e32 v10, v40, v21
	v_dual_fmac_f32 v9, v16, v20 :: v_dual_fmac_f32 v10, v41, v22
	s_delay_alu instid0(VALU_DEP_1) | instskip(NEXT) | instid1(VALU_DEP_1)
	v_fmac_f32_e32 v9, v17, v21
	v_dual_fmac_f32 v9, v18, v22 :: v_dual_add_nc_u32 v6, -7, v4
	s_delay_alu instid0(VALU_DEP_1) | instskip(NEXT) | instid1(VALU_DEP_2)
	v_fmac_f32_e32 v9, v19, v23
	v_lshlrev_b64 v[29:30], 2, v[6:7]
	s_waitcnt vmcnt(0)
	s_delay_alu instid0(VALU_DEP_2) | instskip(SKIP_1) | instid1(VALU_DEP_3)
	v_dual_fmac_f32 v10, v42, v23 :: v_dual_fmac_f32 v9, v12, v24
	v_add_nc_u32_e32 v6, -6, v4
	v_add_co_u32 v29, vcc_lo, s8, v29
	s_delay_alu instid0(VALU_DEP_4) | instskip(NEXT) | instid1(VALU_DEP_4)
	v_add_co_ci_u32_e32 v30, vcc_lo, s9, v30, vcc_lo
	v_fmac_f32_e32 v9, v13, v25
	s_delay_alu instid0(VALU_DEP_4)
	v_lshlrev_b64 v[34:35], 2, v[6:7]
	v_add_nc_u32_e32 v6, -5, v4
	global_load_b32 v3, v[29:30], off
	v_fmac_f32_e32 v9, v14, v26
	v_add_co_u32 v34, vcc_lo, s8, v34
	v_lshlrev_b64 v[36:37], 2, v[6:7]
	s_delay_alu instid0(VALU_DEP_3)
	v_dual_fmac_f32 v9, v15, v27 :: v_dual_add_nc_u32 v6, -4, v4
	v_add_co_ci_u32_e32 v35, vcc_lo, s9, v35, vcc_lo
	global_load_b32 v43, v[34:35], off
	v_lshlrev_b64 v[29:30], 2, v[6:7]
	v_add_nc_u32_e32 v6, -15, v4
	v_add_co_u32 v34, vcc_lo, s8, v36
	v_add_co_ci_u32_e32 v35, vcc_lo, s9, v37, vcc_lo
	s_delay_alu instid0(VALU_DEP_3) | instskip(SKIP_3) | instid1(VALU_DEP_3)
	v_lshlrev_b64 v[36:37], 2, v[6:7]
	v_add_nc_u32_e32 v6, 8, v28
	v_add_co_u32 v28, vcc_lo, s8, v29
	v_add_co_ci_u32_e32 v29, vcc_lo, s9, v30, vcc_lo
	v_lshlrev_b64 v[30:31], 2, v[6:7]
	v_add_nc_u32_e32 v6, -3, v4
	s_clause 0x1
	global_load_b32 v44, v[34:35], off
	global_load_b32 v45, v[28:29], off
	v_add_co_u32 v28, vcc_lo, s8, v36
	v_lshlrev_b64 v[34:35], 2, v[6:7]
	v_add_nc_u32_e32 v6, -14, v4
	v_add_co_ci_u32_e32 v29, vcc_lo, s9, v37, vcc_lo
	v_add_co_u32 v30, vcc_lo, s10, v30
	s_delay_alu instid0(VALU_DEP_3)
	v_lshlrev_b64 v[36:37], 2, v[6:7]
	v_add_co_ci_u32_e32 v31, vcc_lo, s11, v31, vcc_lo
	v_add_nc_u32_e32 v6, -2, v4
	v_add_co_u32 v34, vcc_lo, s8, v34
	v_add_co_ci_u32_e32 v35, vcc_lo, s9, v35, vcc_lo
	v_add_co_u32 v36, vcc_lo, s8, v36
	s_delay_alu instid0(VALU_DEP_4)
	v_lshlrev_b64 v[38:39], 2, v[6:7]
	v_add_nc_u32_e32 v6, -13, v4
	v_add_co_ci_u32_e32 v37, vcc_lo, s9, v37, vcc_lo
	s_clause 0x2
	global_load_b32 v46, v[28:29], off
	global_load_b32 v47, v[34:35], off
	global_load_b32 v48, v[36:37], off
	v_lshlrev_b64 v[34:35], 2, v[6:7]
	v_add_nc_u32_e32 v6, -1, v4
	v_add_co_u32 v36, vcc_lo, s8, v38
	v_add_co_ci_u32_e32 v37, vcc_lo, s9, v39, vcc_lo
	s_delay_alu instid0(VALU_DEP_3)
	v_lshlrev_b64 v[38:39], 2, v[6:7]
	v_add_nc_u32_e32 v6, -12, v4
	v_add_co_u32 v34, vcc_lo, s8, v34
	v_add_co_ci_u32_e32 v35, vcc_lo, s9, v35, vcc_lo
	global_load_b128 v[28:31], v[30:31], off
	v_lshlrev_b64 v[5:6], 2, v[6:7]
	s_clause 0x1
	global_load_b32 v36, v[36:37], off
	global_load_b32 v37, v[34:35], off
	v_add_co_u32 v34, vcc_lo, s8, v38
	v_add_co_ci_u32_e32 v35, vcc_lo, s9, v39, vcc_lo
	v_add_co_u32 v5, vcc_lo, s8, v5
	v_add_co_ci_u32_e32 v6, vcc_lo, s9, v6, vcc_lo
	s_clause 0x2
	global_load_b32 v34, v[34:35], off
	global_load_b32 v5, v[5:6], off
	;; [unrolled: 1-line block ×3, first 2 shown]
	v_cmp_ge_i32_e32 vcc_lo, v2, v11
	v_add_nc_u32_e32 v4, 0x300, v4
	s_or_b32 s2, vcc_lo, s2
	s_waitcnt vmcnt(12)
	v_fmac_f32_e32 v10, v3, v24
	s_waitcnt vmcnt(11)
	s_delay_alu instid0(VALU_DEP_1) | instskip(SKIP_1) | instid1(VALU_DEP_1)
	v_fmac_f32_e32 v10, v43, v25
	s_waitcnt vmcnt(10)
	v_fmac_f32_e32 v10, v44, v26
	s_waitcnt vmcnt(5)
	s_delay_alu instid0(VALU_DEP_1) | instskip(NEXT) | instid1(VALU_DEP_1)
	v_dual_fmac_f32 v10, v45, v27 :: v_dual_fmac_f32 v9, v46, v28
	v_dual_fmac_f32 v10, v47, v28 :: v_dual_fmac_f32 v9, v48, v29
	s_waitcnt vmcnt(3)
	s_delay_alu instid0(VALU_DEP_1) | instskip(SKIP_1) | instid1(VALU_DEP_1)
	v_dual_fmac_f32 v10, v36, v29 :: v_dual_fmac_f32 v9, v37, v30
	s_waitcnt vmcnt(1)
	v_dual_fmac_f32 v10, v34, v30 :: v_dual_fmac_f32 v9, v5, v31
	s_waitcnt vmcnt(0)
	s_delay_alu instid0(VALU_DEP_1)
	v_fmac_f32_e32 v10, v6, v31
	s_and_not1_b32 exec_lo, exec_lo, s2
	s_cbranch_execnz .LBB53_15
; %bb.16:
	s_or_b32 exec_lo, exec_lo, s2
.LBB53_17:
	s_delay_alu instid0(SALU_CYCLE_1)
	s_or_b32 exec_lo, exec_lo, s3
.LBB53_18:
	v_mbcnt_lo_u32_b32 v2, -1, 0
	s_mov_b32 s2, -1
	s_delay_alu instid0(VALU_DEP_1) | instskip(SKIP_2) | instid1(VALU_DEP_3)
	v_xor_b32_e32 v3, 16, v2
	v_xor_b32_e32 v5, 8, v2
	;; [unrolled: 1-line block ×3, first 2 shown]
	v_cmp_gt_i32_e32 vcc_lo, 32, v3
	v_cndmask_b32_e32 v3, v2, v3, vcc_lo
	s_delay_alu instid0(VALU_DEP_4) | instskip(NEXT) | instid1(VALU_DEP_2)
	v_cmp_gt_i32_e32 vcc_lo, 32, v5
	v_lshlrev_b32_e32 v3, 2, v3
	v_cndmask_b32_e32 v5, v2, v5, vcc_lo
	v_cmp_gt_i32_e32 vcc_lo, 32, v7
	ds_bpermute_b32 v4, v3, v9
	v_lshlrev_b32_e32 v5, 2, v5
	v_cndmask_b32_e32 v7, v2, v7, vcc_lo
	s_waitcnt lgkmcnt(0)
	s_delay_alu instid0(VALU_DEP_1)
	v_dual_add_f32 v4, v9, v4 :: v_dual_lshlrev_b32 v7, 2, v7
	ds_bpermute_b32 v6, v5, v4
	s_waitcnt lgkmcnt(0)
	v_add_f32_e32 v4, v4, v6
	ds_bpermute_b32 v3, v3, v10
	s_waitcnt lgkmcnt(0)
	v_add_f32_e32 v3, v10, v3
	;; [unrolled: 3-line block ×3, first 2 shown]
	ds_bpermute_b32 v5, v7, v4
	ds_bpermute_b32 v6, v7, v3
	v_xor_b32_e32 v7, 2, v2
	s_delay_alu instid0(VALU_DEP_1) | instskip(SKIP_2) | instid1(VALU_DEP_1)
	v_cmp_gt_i32_e32 vcc_lo, 32, v7
	s_waitcnt lgkmcnt(1)
	v_dual_cndmask_b32 v7, v2, v7 :: v_dual_add_f32 v4, v4, v5
	v_lshlrev_b32_e32 v7, 2, v7
	s_waitcnt lgkmcnt(0)
	v_add_f32_e32 v3, v3, v6
	ds_bpermute_b32 v5, v7, v4
	ds_bpermute_b32 v6, v7, v3
	v_xor_b32_e32 v7, 1, v2
	s_delay_alu instid0(VALU_DEP_1) | instskip(SKIP_3) | instid1(VALU_DEP_2)
	v_cmp_gt_i32_e32 vcc_lo, 32, v7
	v_cndmask_b32_e32 v2, v2, v7, vcc_lo
	v_cmp_eq_u32_e32 vcc_lo, 31, v0
	s_waitcnt lgkmcnt(1)
	v_dual_add_f32 v2, v4, v5 :: v_dual_lshlrev_b32 v7, 2, v2
	s_waitcnt lgkmcnt(0)
	v_add_f32_e32 v3, v3, v6
	ds_bpermute_b32 v4, v7, v2
	ds_bpermute_b32 v5, v7, v3
	s_and_b32 exec_lo, exec_lo, vcc_lo
	s_cbranch_execz .LBB53_23
; %bb.19:
	s_load_b64 s[0:1], s[0:1], 0x38
	s_waitcnt lgkmcnt(0)
	v_dual_add_f32 v0, v2, v4 :: v_dual_add_f32 v3, v3, v5
	v_cmp_eq_f32_e64 s3, s12, 0
	s_delay_alu instid0(VALU_DEP_2) | instskip(SKIP_1) | instid1(VALU_DEP_3)
	v_dual_mul_f32 v2, s16, v0 :: v_dual_mul_f32 v3, s16, v3
	v_lshlrev_b32_e32 v0, 1, v1
	s_and_b32 vcc_lo, exec_lo, s3
	s_cbranch_vccz .LBB53_21
; %bb.20:
	s_delay_alu instid0(VALU_DEP_1) | instskip(SKIP_1) | instid1(VALU_DEP_1)
	v_ashrrev_i32_e32 v1, 31, v0
	s_mov_b32 s2, 0
	v_lshlrev_b64 v[4:5], 2, v[0:1]
	s_delay_alu instid0(VALU_DEP_1) | instskip(NEXT) | instid1(VALU_DEP_2)
	v_add_co_u32 v4, vcc_lo, s0, v4
	v_add_co_ci_u32_e32 v5, vcc_lo, s1, v5, vcc_lo
	global_store_b64 v[4:5], v[2:3], off
.LBB53_21:
	s_and_not1_b32 vcc_lo, exec_lo, s2
	s_cbranch_vccnz .LBB53_23
; %bb.22:
	v_ashrrev_i32_e32 v1, 31, v0
	s_delay_alu instid0(VALU_DEP_1) | instskip(NEXT) | instid1(VALU_DEP_1)
	v_lshlrev_b64 v[0:1], 2, v[0:1]
	v_add_co_u32 v0, vcc_lo, s0, v0
	s_delay_alu instid0(VALU_DEP_2)
	v_add_co_ci_u32_e32 v1, vcc_lo, s1, v1, vcc_lo
	global_load_b64 v[4:5], v[0:1], off
	s_waitcnt vmcnt(0)
	v_dual_fmac_f32 v2, s12, v4 :: v_dual_fmac_f32 v3, s12, v5
	global_store_b64 v[0:1], v[2:3], off
.LBB53_23:
	s_nop 0
	s_sendmsg sendmsg(MSG_DEALLOC_VGPRS)
	s_endpgm
	.section	.rodata,"a",@progbits
	.p2align	6, 0x0
	.amdhsa_kernel _ZN9rocsparseL19gebsrmvn_2xn_kernelILj128ELj12ELj32EfEEvi20rocsparse_direction_NS_24const_host_device_scalarIT2_EEPKiS6_PKS3_S8_S4_PS3_21rocsparse_index_base_b
		.amdhsa_group_segment_fixed_size 0
		.amdhsa_private_segment_fixed_size 0
		.amdhsa_kernarg_size 72
		.amdhsa_user_sgpr_count 15
		.amdhsa_user_sgpr_dispatch_ptr 0
		.amdhsa_user_sgpr_queue_ptr 0
		.amdhsa_user_sgpr_kernarg_segment_ptr 1
		.amdhsa_user_sgpr_dispatch_id 0
		.amdhsa_user_sgpr_private_segment_size 0
		.amdhsa_wavefront_size32 1
		.amdhsa_uses_dynamic_stack 0
		.amdhsa_enable_private_segment 0
		.amdhsa_system_sgpr_workgroup_id_x 1
		.amdhsa_system_sgpr_workgroup_id_y 0
		.amdhsa_system_sgpr_workgroup_id_z 0
		.amdhsa_system_sgpr_workgroup_info 0
		.amdhsa_system_vgpr_workitem_id 0
		.amdhsa_next_free_vgpr 49
		.amdhsa_next_free_sgpr 20
		.amdhsa_reserve_vcc 1
		.amdhsa_float_round_mode_32 0
		.amdhsa_float_round_mode_16_64 0
		.amdhsa_float_denorm_mode_32 3
		.amdhsa_float_denorm_mode_16_64 3
		.amdhsa_dx10_clamp 1
		.amdhsa_ieee_mode 1
		.amdhsa_fp16_overflow 0
		.amdhsa_workgroup_processor_mode 1
		.amdhsa_memory_ordered 1
		.amdhsa_forward_progress 0
		.amdhsa_shared_vgpr_count 0
		.amdhsa_exception_fp_ieee_invalid_op 0
		.amdhsa_exception_fp_denorm_src 0
		.amdhsa_exception_fp_ieee_div_zero 0
		.amdhsa_exception_fp_ieee_overflow 0
		.amdhsa_exception_fp_ieee_underflow 0
		.amdhsa_exception_fp_ieee_inexact 0
		.amdhsa_exception_int_div_zero 0
	.end_amdhsa_kernel
	.section	.text._ZN9rocsparseL19gebsrmvn_2xn_kernelILj128ELj12ELj32EfEEvi20rocsparse_direction_NS_24const_host_device_scalarIT2_EEPKiS6_PKS3_S8_S4_PS3_21rocsparse_index_base_b,"axG",@progbits,_ZN9rocsparseL19gebsrmvn_2xn_kernelILj128ELj12ELj32EfEEvi20rocsparse_direction_NS_24const_host_device_scalarIT2_EEPKiS6_PKS3_S8_S4_PS3_21rocsparse_index_base_b,comdat
.Lfunc_end53:
	.size	_ZN9rocsparseL19gebsrmvn_2xn_kernelILj128ELj12ELj32EfEEvi20rocsparse_direction_NS_24const_host_device_scalarIT2_EEPKiS6_PKS3_S8_S4_PS3_21rocsparse_index_base_b, .Lfunc_end53-_ZN9rocsparseL19gebsrmvn_2xn_kernelILj128ELj12ELj32EfEEvi20rocsparse_direction_NS_24const_host_device_scalarIT2_EEPKiS6_PKS3_S8_S4_PS3_21rocsparse_index_base_b
                                        ; -- End function
	.section	.AMDGPU.csdata,"",@progbits
; Kernel info:
; codeLenInByte = 2516
; NumSgprs: 22
; NumVgprs: 49
; ScratchSize: 0
; MemoryBound: 0
; FloatMode: 240
; IeeeMode: 1
; LDSByteSize: 0 bytes/workgroup (compile time only)
; SGPRBlocks: 2
; VGPRBlocks: 6
; NumSGPRsForWavesPerEU: 22
; NumVGPRsForWavesPerEU: 49
; Occupancy: 16
; WaveLimiterHint : 1
; COMPUTE_PGM_RSRC2:SCRATCH_EN: 0
; COMPUTE_PGM_RSRC2:USER_SGPR: 15
; COMPUTE_PGM_RSRC2:TRAP_HANDLER: 0
; COMPUTE_PGM_RSRC2:TGID_X_EN: 1
; COMPUTE_PGM_RSRC2:TGID_Y_EN: 0
; COMPUTE_PGM_RSRC2:TGID_Z_EN: 0
; COMPUTE_PGM_RSRC2:TIDIG_COMP_CNT: 0
	.section	.text._ZN9rocsparseL19gebsrmvn_2xn_kernelILj128ELj12ELj64EfEEvi20rocsparse_direction_NS_24const_host_device_scalarIT2_EEPKiS6_PKS3_S8_S4_PS3_21rocsparse_index_base_b,"axG",@progbits,_ZN9rocsparseL19gebsrmvn_2xn_kernelILj128ELj12ELj64EfEEvi20rocsparse_direction_NS_24const_host_device_scalarIT2_EEPKiS6_PKS3_S8_S4_PS3_21rocsparse_index_base_b,comdat
	.globl	_ZN9rocsparseL19gebsrmvn_2xn_kernelILj128ELj12ELj64EfEEvi20rocsparse_direction_NS_24const_host_device_scalarIT2_EEPKiS6_PKS3_S8_S4_PS3_21rocsparse_index_base_b ; -- Begin function _ZN9rocsparseL19gebsrmvn_2xn_kernelILj128ELj12ELj64EfEEvi20rocsparse_direction_NS_24const_host_device_scalarIT2_EEPKiS6_PKS3_S8_S4_PS3_21rocsparse_index_base_b
	.p2align	8
	.type	_ZN9rocsparseL19gebsrmvn_2xn_kernelILj128ELj12ELj64EfEEvi20rocsparse_direction_NS_24const_host_device_scalarIT2_EEPKiS6_PKS3_S8_S4_PS3_21rocsparse_index_base_b,@function
_ZN9rocsparseL19gebsrmvn_2xn_kernelILj128ELj12ELj64EfEEvi20rocsparse_direction_NS_24const_host_device_scalarIT2_EEPKiS6_PKS3_S8_S4_PS3_21rocsparse_index_base_b: ; @_ZN9rocsparseL19gebsrmvn_2xn_kernelILj128ELj12ELj64EfEEvi20rocsparse_direction_NS_24const_host_device_scalarIT2_EEPKiS6_PKS3_S8_S4_PS3_21rocsparse_index_base_b
; %bb.0:
	s_clause 0x2
	s_load_b64 s[18:19], s[0:1], 0x40
	s_load_b64 s[16:17], s[0:1], 0x8
	;; [unrolled: 1-line block ×3, first 2 shown]
	s_waitcnt lgkmcnt(0)
	s_bitcmp1_b32 s19, 0
	s_cselect_b32 s2, -1, 0
	s_delay_alu instid0(SALU_CYCLE_1)
	s_and_b32 vcc_lo, exec_lo, s2
	s_xor_b32 s2, s2, -1
	s_cbranch_vccnz .LBB54_2
; %bb.1:
	s_load_b32 s16, s[16:17], 0x0
.LBB54_2:
	s_and_not1_b32 vcc_lo, exec_lo, s2
	s_cbranch_vccnz .LBB54_4
; %bb.3:
	s_load_b32 s12, s[12:13], 0x0
.LBB54_4:
	s_waitcnt lgkmcnt(0)
	v_cmp_eq_f32_e64 s2, s16, 0
	v_cmp_eq_f32_e64 s3, s12, 1.0
	s_delay_alu instid0(VALU_DEP_1) | instskip(NEXT) | instid1(SALU_CYCLE_1)
	s_and_b32 s2, s2, s3
	s_and_b32 vcc_lo, exec_lo, s2
	s_cbranch_vccnz .LBB54_23
; %bb.5:
	s_load_b64 s[2:3], s[0:1], 0x0
	v_lshrrev_b32_e32 v1, 6, v0
	s_delay_alu instid0(VALU_DEP_1) | instskip(SKIP_1) | instid1(VALU_DEP_1)
	v_lshl_or_b32 v1, s15, 1, v1
	s_waitcnt lgkmcnt(0)
	v_cmp_gt_i32_e32 vcc_lo, s2, v1
	s_and_saveexec_b32 s2, vcc_lo
	s_cbranch_execz .LBB54_23
; %bb.6:
	s_load_b256 s[4:11], s[0:1], 0x10
	v_ashrrev_i32_e32 v2, 31, v1
	v_and_b32_e32 v0, 63, v0
	s_cmp_lg_u32 s3, 0
	s_delay_alu instid0(VALU_DEP_2) | instskip(SKIP_1) | instid1(VALU_DEP_1)
	v_lshlrev_b64 v[2:3], 2, v[1:2]
	s_waitcnt lgkmcnt(0)
	v_add_co_u32 v2, vcc_lo, s4, v2
	s_delay_alu instid0(VALU_DEP_2) | instskip(SKIP_4) | instid1(VALU_DEP_2)
	v_add_co_ci_u32_e32 v3, vcc_lo, s5, v3, vcc_lo
	global_load_b64 v[2:3], v[2:3], off
	s_waitcnt vmcnt(0)
	v_subrev_nc_u32_e32 v2, s18, v2
	v_subrev_nc_u32_e32 v11, s18, v3
	v_add_nc_u32_e32 v2, v2, v0
	s_delay_alu instid0(VALU_DEP_1)
	v_cmp_lt_i32_e64 s2, v2, v11
	s_cbranch_scc0 .LBB54_12
; %bb.7:
	v_dual_mov_b32 v9, 0 :: v_dual_mov_b32 v10, 0
	s_mov_b32 s3, 0
	s_delay_alu instid0(VALU_DEP_2)
	s_and_saveexec_b32 s4, s2
	s_cbranch_execz .LBB54_11
; %bb.8:
	v_mad_u64_u32 v[3:4], null, v2, 24, 22
	v_dual_mov_b32 v6, 0 :: v_dual_mov_b32 v7, v2
	v_dual_mov_b32 v9, 0 :: v_dual_mov_b32 v10, 0
	s_mov_b32 s5, 0
.LBB54_9:                               ; =>This Inner Loop Header: Depth=1
	s_delay_alu instid0(VALU_DEP_2) | instskip(NEXT) | instid1(VALU_DEP_1)
	v_ashrrev_i32_e32 v8, 31, v7
	v_lshlrev_b64 v[4:5], 2, v[7:8]
	v_add_nc_u32_e32 v7, 64, v7
	s_delay_alu instid0(VALU_DEP_2) | instskip(NEXT) | instid1(VALU_DEP_3)
	v_add_co_u32 v4, vcc_lo, s6, v4
	v_add_co_ci_u32_e32 v5, vcc_lo, s7, v5, vcc_lo
	global_load_b32 v8, v[4:5], off
	v_subrev_nc_u32_e32 v5, 22, v3
	v_mov_b32_e32 v4, v6
	s_delay_alu instid0(VALU_DEP_2) | instskip(SKIP_1) | instid1(VALU_DEP_3)
	v_lshlrev_b64 v[12:13], 2, v[5:6]
	v_add_nc_u32_e32 v5, -14, v3
	v_lshlrev_b64 v[32:33], 2, v[3:4]
	s_delay_alu instid0(VALU_DEP_2) | instskip(NEXT) | instid1(VALU_DEP_4)
	v_lshlrev_b64 v[4:5], 2, v[5:6]
	v_add_co_u32 v16, vcc_lo, s8, v12
	v_add_co_ci_u32_e32 v17, vcc_lo, s9, v13, vcc_lo
	s_delay_alu instid0(VALU_DEP_3) | instskip(NEXT) | instid1(VALU_DEP_4)
	v_add_co_u32 v4, vcc_lo, s8, v4
	v_add_co_ci_u32_e32 v5, vcc_lo, s9, v5, vcc_lo
	s_clause 0x2
	global_load_b128 v[12:15], v[16:17], off offset:16
	global_load_b128 v[16:19], v[16:17], off
	global_load_b64 v[34:35], v[4:5], off
	v_mov_b32_e32 v29, v6
	s_waitcnt vmcnt(3)
	v_subrev_nc_u32_e32 v4, s18, v8
	s_delay_alu instid0(VALU_DEP_1) | instskip(NEXT) | instid1(VALU_DEP_1)
	v_mul_lo_u32 v28, v4, 12
	v_add_nc_u32_e32 v5, 4, v28
	v_lshlrev_b64 v[20:21], 2, v[28:29]
	s_delay_alu instid0(VALU_DEP_2) | instskip(NEXT) | instid1(VALU_DEP_2)
	v_lshlrev_b64 v[22:23], 2, v[5:6]
	v_add_co_u32 v20, vcc_lo, s10, v20
	s_delay_alu instid0(VALU_DEP_3) | instskip(NEXT) | instid1(VALU_DEP_3)
	v_add_co_ci_u32_e32 v21, vcc_lo, s11, v21, vcc_lo
	v_add_co_u32 v24, vcc_lo, s10, v22
	s_delay_alu instid0(VALU_DEP_4)
	v_add_co_ci_u32_e32 v25, vcc_lo, s11, v23, vcc_lo
	s_clause 0x1
	global_load_b128 v[20:23], v[20:21], off
	global_load_b128 v[24:27], v[24:25], off
	s_waitcnt vmcnt(1)
	v_fmac_f32_e32 v10, v17, v20
	s_delay_alu instid0(VALU_DEP_1) | instskip(NEXT) | instid1(VALU_DEP_1)
	v_dual_fmac_f32 v10, v19, v21 :: v_dual_add_nc_u32 v5, -12, v3
	v_fmac_f32_e32 v10, v13, v22
	s_delay_alu instid0(VALU_DEP_2) | instskip(NEXT) | instid1(VALU_DEP_2)
	v_lshlrev_b64 v[29:30], 2, v[5:6]
	v_dual_fmac_f32 v9, v16, v20 :: v_dual_fmac_f32 v10, v15, v23
	v_add_nc_u32_e32 v5, -10, v3
	s_delay_alu instid0(VALU_DEP_3) | instskip(NEXT) | instid1(VALU_DEP_4)
	v_add_co_u32 v29, vcc_lo, s8, v29
	v_add_co_ci_u32_e32 v30, vcc_lo, s9, v30, vcc_lo
	s_waitcnt vmcnt(0)
	v_fmac_f32_e32 v10, v35, v24
	v_lshlrev_b64 v[36:37], 2, v[5:6]
	global_load_b64 v[40:41], v[29:30], off
	v_add_nc_u32_e32 v5, -8, v3
	v_add_co_u32 v36, vcc_lo, s8, v36
	s_delay_alu instid0(VALU_DEP_2) | instskip(SKIP_1) | instid1(VALU_DEP_2)
	v_lshlrev_b64 v[38:39], 2, v[5:6]
	v_add_co_ci_u32_e32 v37, vcc_lo, s9, v37, vcc_lo
	v_add_co_u32 v38, vcc_lo, s8, v38
	global_load_b64 v[36:37], v[36:37], off
	v_add_co_ci_u32_e32 v39, vcc_lo, s9, v39, vcc_lo
	global_load_b64 v[38:39], v[38:39], off
	s_waitcnt vmcnt(2)
	v_dual_fmac_f32 v10, v41, v25 :: v_dual_add_nc_u32 v5, -6, v3
	s_delay_alu instid0(VALU_DEP_1) | instskip(SKIP_1) | instid1(VALU_DEP_2)
	v_lshlrev_b64 v[29:30], 2, v[5:6]
	v_add_nc_u32_e32 v5, 8, v28
	v_add_co_u32 v28, vcc_lo, s8, v29
	s_delay_alu instid0(VALU_DEP_3) | instskip(SKIP_4) | instid1(VALU_DEP_1)
	v_add_co_ci_u32_e32 v29, vcc_lo, s9, v30, vcc_lo
	global_load_b64 v[44:45], v[28:29], off
	s_waitcnt vmcnt(2)
	v_fmac_f32_e32 v10, v37, v26
	s_waitcnt vmcnt(1)
	v_fmac_f32_e32 v10, v39, v27
	v_lshlrev_b64 v[42:43], 2, v[5:6]
	v_add_nc_u32_e32 v5, -4, v3
	s_delay_alu instid0(VALU_DEP_1) | instskip(NEXT) | instid1(VALU_DEP_3)
	v_lshlrev_b64 v[30:31], 2, v[5:6]
	v_add_co_u32 v28, vcc_lo, s10, v42
	s_delay_alu instid0(VALU_DEP_4) | instskip(NEXT) | instid1(VALU_DEP_3)
	v_add_co_ci_u32_e32 v29, vcc_lo, s11, v43, vcc_lo
	v_add_co_u32 v42, vcc_lo, s8, v30
	s_delay_alu instid0(VALU_DEP_4)
	v_add_co_ci_u32_e32 v43, vcc_lo, s9, v31, vcc_lo
	global_load_b128 v[28:31], v[28:29], off
	global_load_b64 v[42:43], v[42:43], off
	s_waitcnt vmcnt(1)
	v_dual_fmac_f32 v10, v45, v28 :: v_dual_add_nc_u32 v5, -2, v3
	s_waitcnt vmcnt(0)
	s_delay_alu instid0(VALU_DEP_1) | instskip(NEXT) | instid1(VALU_DEP_2)
	v_dual_fmac_f32 v10, v43, v29 :: v_dual_add_nc_u32 v3, 0x600, v3
	v_lshlrev_b64 v[4:5], 2, v[5:6]
	s_delay_alu instid0(VALU_DEP_1) | instskip(NEXT) | instid1(VALU_DEP_2)
	v_add_co_u32 v4, vcc_lo, s8, v4
	v_add_co_ci_u32_e32 v5, vcc_lo, s9, v5, vcc_lo
	v_add_co_u32 v32, vcc_lo, s8, v32
	v_add_co_ci_u32_e32 v33, vcc_lo, s9, v33, vcc_lo
	s_clause 0x1
	global_load_b64 v[4:5], v[4:5], off
	global_load_b64 v[32:33], v[32:33], off
	v_fmac_f32_e32 v9, v18, v21
	v_cmp_ge_i32_e32 vcc_lo, v7, v11
	s_or_b32 s5, vcc_lo, s5
	s_waitcnt vmcnt(1)
	v_fmac_f32_e32 v10, v5, v30
	s_waitcnt vmcnt(0)
	s_delay_alu instid0(VALU_DEP_1) | instskip(NEXT) | instid1(VALU_DEP_1)
	v_dual_fmac_f32 v9, v12, v22 :: v_dual_fmac_f32 v10, v33, v31
	v_fmac_f32_e32 v9, v14, v23
	s_delay_alu instid0(VALU_DEP_1) | instskip(NEXT) | instid1(VALU_DEP_1)
	v_fmac_f32_e32 v9, v34, v24
	v_fmac_f32_e32 v9, v40, v25
	s_delay_alu instid0(VALU_DEP_1) | instskip(NEXT) | instid1(VALU_DEP_1)
	v_fmac_f32_e32 v9, v36, v26
	v_fmac_f32_e32 v9, v38, v27
	s_delay_alu instid0(VALU_DEP_1) | instskip(NEXT) | instid1(VALU_DEP_1)
	v_fmac_f32_e32 v9, v44, v28
	v_fmac_f32_e32 v9, v42, v29
	s_delay_alu instid0(VALU_DEP_1) | instskip(NEXT) | instid1(VALU_DEP_1)
	v_fmac_f32_e32 v9, v4, v30
	v_fmac_f32_e32 v9, v32, v31
	s_and_not1_b32 exec_lo, exec_lo, s5
	s_cbranch_execnz .LBB54_9
; %bb.10:
	s_or_b32 exec_lo, exec_lo, s5
.LBB54_11:
	s_delay_alu instid0(SALU_CYCLE_1) | instskip(NEXT) | instid1(SALU_CYCLE_1)
	s_or_b32 exec_lo, exec_lo, s4
	s_and_not1_b32 vcc_lo, exec_lo, s3
	s_cbranch_vccz .LBB54_13
	s_branch .LBB54_18
.LBB54_12:
                                        ; implicit-def: $vgpr9
                                        ; implicit-def: $vgpr10
.LBB54_13:
	v_dual_mov_b32 v9, 0 :: v_dual_mov_b32 v10, 0
	s_delay_alu instid0(VALU_DEP_2)
	s_and_saveexec_b32 s3, s2
	s_cbranch_execz .LBB54_17
; %bb.14:
	v_mad_u64_u32 v[4:5], null, v2, 24, 23
	v_dual_mov_b32 v7, 0 :: v_dual_mov_b32 v10, 0
	v_mov_b32_e32 v9, 0
	s_mov_b32 s2, 0
.LBB54_15:                              ; =>This Inner Loop Header: Depth=1
	v_ashrrev_i32_e32 v3, 31, v2
	s_delay_alu instid0(VALU_DEP_3) | instskip(SKIP_1) | instid1(VALU_DEP_3)
	v_dual_mov_b32 v29, v7 :: v_dual_add_nc_u32 v12, -11, v4
	v_mov_b32_e32 v13, v7
	v_lshlrev_b64 v[5:6], 2, v[2:3]
	v_add_nc_u32_e32 v2, 64, v2
	s_delay_alu instid0(VALU_DEP_2) | instskip(NEXT) | instid1(VALU_DEP_3)
	v_add_co_u32 v5, vcc_lo, s6, v5
	v_add_co_ci_u32_e32 v6, vcc_lo, s7, v6, vcc_lo
	global_load_b32 v3, v[5:6], off
	v_subrev_nc_u32_e32 v6, 23, v4
	v_mov_b32_e32 v5, v7
	s_delay_alu instid0(VALU_DEP_2) | instskip(SKIP_2) | instid1(VALU_DEP_2)
	v_lshlrev_b64 v[14:15], 2, v[6:7]
	v_add_nc_u32_e32 v6, -10, v4
	v_lshlrev_b64 v[12:13], 2, v[12:13]
	v_lshlrev_b64 v[18:19], 2, v[6:7]
	v_add_nc_u32_e32 v6, -9, v4
	v_lshlrev_b64 v[16:17], 2, v[4:5]
	v_add_co_u32 v20, vcc_lo, s8, v14
	v_add_co_ci_u32_e32 v21, vcc_lo, s9, v15, vcc_lo
	v_add_co_u32 v22, vcc_lo, s8, v12
	v_add_co_ci_u32_e32 v23, vcc_lo, s9, v13, vcc_lo
	;; [unrolled: 2-line block ×3, first 2 shown]
	v_add_co_u32 v26, vcc_lo, s8, v18
	v_lshlrev_b64 v[24:25], 2, v[6:7]
	v_add_co_ci_u32_e32 v27, vcc_lo, s9, v19, vcc_lo
	s_clause 0x2
	global_load_b128 v[12:15], v[20:21], off offset:16
	global_load_b128 v[16:19], v[20:21], off
	global_load_b32 v8, v[22:23], off
	v_add_nc_u32_e32 v6, -8, v4
	v_add_co_u32 v20, vcc_lo, s8, v24
	v_add_co_ci_u32_e32 v21, vcc_lo, s9, v25, vcc_lo
	s_delay_alu instid0(VALU_DEP_3)
	v_lshlrev_b64 v[5:6], 2, v[6:7]
	global_load_b32 v40, v[26:27], off
	v_add_co_u32 v5, vcc_lo, s8, v5
	v_add_co_ci_u32_e32 v6, vcc_lo, s9, v6, vcc_lo
	s_clause 0x1
	global_load_b32 v41, v[20:21], off
	global_load_b32 v42, v[5:6], off
	s_waitcnt vmcnt(6)
	v_subrev_nc_u32_e32 v3, s18, v3
	s_delay_alu instid0(VALU_DEP_1) | instskip(NEXT) | instid1(VALU_DEP_1)
	v_mul_lo_u32 v28, v3, 12
	v_add_nc_u32_e32 v6, 4, v28
	v_lshlrev_b64 v[20:21], 2, v[28:29]
	s_delay_alu instid0(VALU_DEP_2) | instskip(NEXT) | instid1(VALU_DEP_2)
	v_lshlrev_b64 v[22:23], 2, v[6:7]
	v_add_co_u32 v20, vcc_lo, s10, v20
	s_delay_alu instid0(VALU_DEP_3) | instskip(NEXT) | instid1(VALU_DEP_3)
	v_add_co_ci_u32_e32 v21, vcc_lo, s11, v21, vcc_lo
	v_add_co_u32 v24, vcc_lo, s10, v22
	s_delay_alu instid0(VALU_DEP_4)
	v_add_co_ci_u32_e32 v25, vcc_lo, s11, v23, vcc_lo
	s_clause 0x1
	global_load_b128 v[20:23], v[20:21], off
	global_load_b128 v[24:27], v[24:25], off
	s_waitcnt vmcnt(1)
	v_fmac_f32_e32 v10, v8, v20
	s_delay_alu instid0(VALU_DEP_1) | instskip(NEXT) | instid1(VALU_DEP_1)
	v_fmac_f32_e32 v10, v40, v21
	v_dual_fmac_f32 v9, v16, v20 :: v_dual_fmac_f32 v10, v41, v22
	s_delay_alu instid0(VALU_DEP_1) | instskip(NEXT) | instid1(VALU_DEP_1)
	v_fmac_f32_e32 v9, v17, v21
	v_dual_fmac_f32 v9, v18, v22 :: v_dual_add_nc_u32 v6, -7, v4
	s_delay_alu instid0(VALU_DEP_1) | instskip(NEXT) | instid1(VALU_DEP_2)
	v_fmac_f32_e32 v9, v19, v23
	v_lshlrev_b64 v[29:30], 2, v[6:7]
	s_waitcnt vmcnt(0)
	s_delay_alu instid0(VALU_DEP_2) | instskip(SKIP_1) | instid1(VALU_DEP_3)
	v_dual_fmac_f32 v10, v42, v23 :: v_dual_fmac_f32 v9, v12, v24
	v_add_nc_u32_e32 v6, -6, v4
	v_add_co_u32 v29, vcc_lo, s8, v29
	s_delay_alu instid0(VALU_DEP_4) | instskip(NEXT) | instid1(VALU_DEP_4)
	v_add_co_ci_u32_e32 v30, vcc_lo, s9, v30, vcc_lo
	v_fmac_f32_e32 v9, v13, v25
	s_delay_alu instid0(VALU_DEP_4)
	v_lshlrev_b64 v[34:35], 2, v[6:7]
	v_add_nc_u32_e32 v6, -5, v4
	global_load_b32 v3, v[29:30], off
	v_fmac_f32_e32 v9, v14, v26
	v_add_co_u32 v34, vcc_lo, s8, v34
	v_lshlrev_b64 v[36:37], 2, v[6:7]
	s_delay_alu instid0(VALU_DEP_3)
	v_dual_fmac_f32 v9, v15, v27 :: v_dual_add_nc_u32 v6, -4, v4
	v_add_co_ci_u32_e32 v35, vcc_lo, s9, v35, vcc_lo
	global_load_b32 v43, v[34:35], off
	v_lshlrev_b64 v[29:30], 2, v[6:7]
	v_add_nc_u32_e32 v6, -15, v4
	v_add_co_u32 v34, vcc_lo, s8, v36
	v_add_co_ci_u32_e32 v35, vcc_lo, s9, v37, vcc_lo
	s_delay_alu instid0(VALU_DEP_3) | instskip(SKIP_3) | instid1(VALU_DEP_3)
	v_lshlrev_b64 v[36:37], 2, v[6:7]
	v_add_nc_u32_e32 v6, 8, v28
	v_add_co_u32 v28, vcc_lo, s8, v29
	v_add_co_ci_u32_e32 v29, vcc_lo, s9, v30, vcc_lo
	v_lshlrev_b64 v[30:31], 2, v[6:7]
	v_add_nc_u32_e32 v6, -3, v4
	s_clause 0x1
	global_load_b32 v44, v[34:35], off
	global_load_b32 v45, v[28:29], off
	v_add_co_u32 v28, vcc_lo, s8, v36
	v_lshlrev_b64 v[34:35], 2, v[6:7]
	v_add_nc_u32_e32 v6, -14, v4
	v_add_co_ci_u32_e32 v29, vcc_lo, s9, v37, vcc_lo
	v_add_co_u32 v30, vcc_lo, s10, v30
	s_delay_alu instid0(VALU_DEP_3)
	v_lshlrev_b64 v[36:37], 2, v[6:7]
	v_add_co_ci_u32_e32 v31, vcc_lo, s11, v31, vcc_lo
	v_add_nc_u32_e32 v6, -2, v4
	v_add_co_u32 v34, vcc_lo, s8, v34
	v_add_co_ci_u32_e32 v35, vcc_lo, s9, v35, vcc_lo
	v_add_co_u32 v36, vcc_lo, s8, v36
	s_delay_alu instid0(VALU_DEP_4)
	v_lshlrev_b64 v[38:39], 2, v[6:7]
	v_add_nc_u32_e32 v6, -13, v4
	v_add_co_ci_u32_e32 v37, vcc_lo, s9, v37, vcc_lo
	s_clause 0x2
	global_load_b32 v46, v[28:29], off
	global_load_b32 v47, v[34:35], off
	;; [unrolled: 1-line block ×3, first 2 shown]
	v_lshlrev_b64 v[34:35], 2, v[6:7]
	v_add_nc_u32_e32 v6, -1, v4
	v_add_co_u32 v36, vcc_lo, s8, v38
	v_add_co_ci_u32_e32 v37, vcc_lo, s9, v39, vcc_lo
	s_delay_alu instid0(VALU_DEP_3)
	v_lshlrev_b64 v[38:39], 2, v[6:7]
	v_add_nc_u32_e32 v6, -12, v4
	v_add_co_u32 v34, vcc_lo, s8, v34
	v_add_co_ci_u32_e32 v35, vcc_lo, s9, v35, vcc_lo
	global_load_b128 v[28:31], v[30:31], off
	v_lshlrev_b64 v[5:6], 2, v[6:7]
	s_clause 0x1
	global_load_b32 v36, v[36:37], off
	global_load_b32 v37, v[34:35], off
	v_add_co_u32 v34, vcc_lo, s8, v38
	v_add_co_ci_u32_e32 v35, vcc_lo, s9, v39, vcc_lo
	v_add_co_u32 v5, vcc_lo, s8, v5
	v_add_co_ci_u32_e32 v6, vcc_lo, s9, v6, vcc_lo
	s_clause 0x2
	global_load_b32 v34, v[34:35], off
	global_load_b32 v5, v[5:6], off
	;; [unrolled: 1-line block ×3, first 2 shown]
	v_cmp_ge_i32_e32 vcc_lo, v2, v11
	v_add_nc_u32_e32 v4, 0x600, v4
	s_or_b32 s2, vcc_lo, s2
	s_waitcnt vmcnt(12)
	v_fmac_f32_e32 v10, v3, v24
	s_waitcnt vmcnt(11)
	s_delay_alu instid0(VALU_DEP_1) | instskip(SKIP_1) | instid1(VALU_DEP_1)
	v_fmac_f32_e32 v10, v43, v25
	s_waitcnt vmcnt(10)
	v_fmac_f32_e32 v10, v44, v26
	s_waitcnt vmcnt(5)
	s_delay_alu instid0(VALU_DEP_1) | instskip(NEXT) | instid1(VALU_DEP_1)
	v_dual_fmac_f32 v10, v45, v27 :: v_dual_fmac_f32 v9, v46, v28
	v_dual_fmac_f32 v10, v47, v28 :: v_dual_fmac_f32 v9, v48, v29
	s_waitcnt vmcnt(3)
	s_delay_alu instid0(VALU_DEP_1) | instskip(SKIP_1) | instid1(VALU_DEP_1)
	v_dual_fmac_f32 v10, v36, v29 :: v_dual_fmac_f32 v9, v37, v30
	s_waitcnt vmcnt(1)
	v_dual_fmac_f32 v10, v34, v30 :: v_dual_fmac_f32 v9, v5, v31
	s_waitcnt vmcnt(0)
	s_delay_alu instid0(VALU_DEP_1)
	v_fmac_f32_e32 v10, v6, v31
	s_and_not1_b32 exec_lo, exec_lo, s2
	s_cbranch_execnz .LBB54_15
; %bb.16:
	s_or_b32 exec_lo, exec_lo, s2
.LBB54_17:
	s_delay_alu instid0(SALU_CYCLE_1)
	s_or_b32 exec_lo, exec_lo, s3
.LBB54_18:
	v_mbcnt_lo_u32_b32 v2, -1, 0
	s_mov_b32 s2, -1
	s_delay_alu instid0(VALU_DEP_1) | instskip(SKIP_2) | instid1(VALU_DEP_3)
	v_or_b32_e32 v3, 32, v2
	v_xor_b32_e32 v5, 16, v2
	v_xor_b32_e32 v7, 8, v2
	v_cmp_gt_i32_e32 vcc_lo, 32, v3
	v_cndmask_b32_e32 v3, v2, v3, vcc_lo
	s_delay_alu instid0(VALU_DEP_4) | instskip(NEXT) | instid1(VALU_DEP_2)
	v_cmp_gt_i32_e32 vcc_lo, 32, v5
	v_lshlrev_b32_e32 v3, 2, v3
	v_cndmask_b32_e32 v5, v2, v5, vcc_lo
	v_cmp_gt_i32_e32 vcc_lo, 32, v7
	ds_bpermute_b32 v4, v3, v9
	v_lshlrev_b32_e32 v5, 2, v5
	v_cndmask_b32_e32 v7, v2, v7, vcc_lo
	s_waitcnt lgkmcnt(0)
	s_delay_alu instid0(VALU_DEP_1)
	v_dual_add_f32 v4, v9, v4 :: v_dual_lshlrev_b32 v7, 2, v7
	ds_bpermute_b32 v6, v5, v4
	s_waitcnt lgkmcnt(0)
	v_add_f32_e32 v4, v4, v6
	ds_bpermute_b32 v3, v3, v10
	s_waitcnt lgkmcnt(0)
	v_add_f32_e32 v3, v10, v3
	;; [unrolled: 3-line block ×3, first 2 shown]
	ds_bpermute_b32 v5, v7, v4
	ds_bpermute_b32 v6, v7, v3
	v_xor_b32_e32 v7, 4, v2
	s_delay_alu instid0(VALU_DEP_1) | instskip(SKIP_2) | instid1(VALU_DEP_1)
	v_cmp_gt_i32_e32 vcc_lo, 32, v7
	s_waitcnt lgkmcnt(1)
	v_dual_cndmask_b32 v7, v2, v7 :: v_dual_add_f32 v4, v4, v5
	v_lshlrev_b32_e32 v7, 2, v7
	s_waitcnt lgkmcnt(0)
	v_add_f32_e32 v3, v3, v6
	ds_bpermute_b32 v5, v7, v4
	ds_bpermute_b32 v6, v7, v3
	v_xor_b32_e32 v7, 2, v2
	s_delay_alu instid0(VALU_DEP_1) | instskip(SKIP_2) | instid1(VALU_DEP_1)
	v_cmp_gt_i32_e32 vcc_lo, 32, v7
	v_cndmask_b32_e32 v7, v2, v7, vcc_lo
	s_waitcnt lgkmcnt(1)
	v_dual_add_f32 v4, v4, v5 :: v_dual_lshlrev_b32 v7, 2, v7
	s_waitcnt lgkmcnt(0)
	v_add_f32_e32 v3, v3, v6
	ds_bpermute_b32 v5, v7, v4
	ds_bpermute_b32 v6, v7, v3
	v_xor_b32_e32 v7, 1, v2
	s_delay_alu instid0(VALU_DEP_1) | instskip(SKIP_3) | instid1(VALU_DEP_2)
	v_cmp_gt_i32_e32 vcc_lo, 32, v7
	v_cndmask_b32_e32 v2, v2, v7, vcc_lo
	v_cmp_eq_u32_e32 vcc_lo, 63, v0
	s_waitcnt lgkmcnt(1)
	v_dual_add_f32 v2, v4, v5 :: v_dual_lshlrev_b32 v7, 2, v2
	s_waitcnt lgkmcnt(0)
	v_add_f32_e32 v3, v3, v6
	ds_bpermute_b32 v4, v7, v2
	ds_bpermute_b32 v5, v7, v3
	s_and_b32 exec_lo, exec_lo, vcc_lo
	s_cbranch_execz .LBB54_23
; %bb.19:
	s_load_b64 s[0:1], s[0:1], 0x38
	s_waitcnt lgkmcnt(0)
	v_dual_add_f32 v0, v2, v4 :: v_dual_add_f32 v3, v3, v5
	v_cmp_eq_f32_e64 s3, s12, 0
	s_delay_alu instid0(VALU_DEP_2) | instskip(SKIP_1) | instid1(VALU_DEP_3)
	v_dual_mul_f32 v2, s16, v0 :: v_dual_mul_f32 v3, s16, v3
	v_lshlrev_b32_e32 v0, 1, v1
	s_and_b32 vcc_lo, exec_lo, s3
	s_cbranch_vccz .LBB54_21
; %bb.20:
	s_delay_alu instid0(VALU_DEP_1) | instskip(SKIP_1) | instid1(VALU_DEP_1)
	v_ashrrev_i32_e32 v1, 31, v0
	s_mov_b32 s2, 0
	v_lshlrev_b64 v[4:5], 2, v[0:1]
	s_delay_alu instid0(VALU_DEP_1) | instskip(NEXT) | instid1(VALU_DEP_2)
	v_add_co_u32 v4, vcc_lo, s0, v4
	v_add_co_ci_u32_e32 v5, vcc_lo, s1, v5, vcc_lo
	global_store_b64 v[4:5], v[2:3], off
.LBB54_21:
	s_and_not1_b32 vcc_lo, exec_lo, s2
	s_cbranch_vccnz .LBB54_23
; %bb.22:
	v_ashrrev_i32_e32 v1, 31, v0
	s_delay_alu instid0(VALU_DEP_1) | instskip(NEXT) | instid1(VALU_DEP_1)
	v_lshlrev_b64 v[0:1], 2, v[0:1]
	v_add_co_u32 v0, vcc_lo, s0, v0
	s_delay_alu instid0(VALU_DEP_2)
	v_add_co_ci_u32_e32 v1, vcc_lo, s1, v1, vcc_lo
	global_load_b64 v[4:5], v[0:1], off
	s_waitcnt vmcnt(0)
	v_dual_fmac_f32 v2, s12, v4 :: v_dual_fmac_f32 v3, s12, v5
	global_store_b64 v[0:1], v[2:3], off
.LBB54_23:
	s_nop 0
	s_sendmsg sendmsg(MSG_DEALLOC_VGPRS)
	s_endpgm
	.section	.rodata,"a",@progbits
	.p2align	6, 0x0
	.amdhsa_kernel _ZN9rocsparseL19gebsrmvn_2xn_kernelILj128ELj12ELj64EfEEvi20rocsparse_direction_NS_24const_host_device_scalarIT2_EEPKiS6_PKS3_S8_S4_PS3_21rocsparse_index_base_b
		.amdhsa_group_segment_fixed_size 0
		.amdhsa_private_segment_fixed_size 0
		.amdhsa_kernarg_size 72
		.amdhsa_user_sgpr_count 15
		.amdhsa_user_sgpr_dispatch_ptr 0
		.amdhsa_user_sgpr_queue_ptr 0
		.amdhsa_user_sgpr_kernarg_segment_ptr 1
		.amdhsa_user_sgpr_dispatch_id 0
		.amdhsa_user_sgpr_private_segment_size 0
		.amdhsa_wavefront_size32 1
		.amdhsa_uses_dynamic_stack 0
		.amdhsa_enable_private_segment 0
		.amdhsa_system_sgpr_workgroup_id_x 1
		.amdhsa_system_sgpr_workgroup_id_y 0
		.amdhsa_system_sgpr_workgroup_id_z 0
		.amdhsa_system_sgpr_workgroup_info 0
		.amdhsa_system_vgpr_workitem_id 0
		.amdhsa_next_free_vgpr 49
		.amdhsa_next_free_sgpr 20
		.amdhsa_reserve_vcc 1
		.amdhsa_float_round_mode_32 0
		.amdhsa_float_round_mode_16_64 0
		.amdhsa_float_denorm_mode_32 3
		.amdhsa_float_denorm_mode_16_64 3
		.amdhsa_dx10_clamp 1
		.amdhsa_ieee_mode 1
		.amdhsa_fp16_overflow 0
		.amdhsa_workgroup_processor_mode 1
		.amdhsa_memory_ordered 1
		.amdhsa_forward_progress 0
		.amdhsa_shared_vgpr_count 0
		.amdhsa_exception_fp_ieee_invalid_op 0
		.amdhsa_exception_fp_denorm_src 0
		.amdhsa_exception_fp_ieee_div_zero 0
		.amdhsa_exception_fp_ieee_overflow 0
		.amdhsa_exception_fp_ieee_underflow 0
		.amdhsa_exception_fp_ieee_inexact 0
		.amdhsa_exception_int_div_zero 0
	.end_amdhsa_kernel
	.section	.text._ZN9rocsparseL19gebsrmvn_2xn_kernelILj128ELj12ELj64EfEEvi20rocsparse_direction_NS_24const_host_device_scalarIT2_EEPKiS6_PKS3_S8_S4_PS3_21rocsparse_index_base_b,"axG",@progbits,_ZN9rocsparseL19gebsrmvn_2xn_kernelILj128ELj12ELj64EfEEvi20rocsparse_direction_NS_24const_host_device_scalarIT2_EEPKiS6_PKS3_S8_S4_PS3_21rocsparse_index_base_b,comdat
.Lfunc_end54:
	.size	_ZN9rocsparseL19gebsrmvn_2xn_kernelILj128ELj12ELj64EfEEvi20rocsparse_direction_NS_24const_host_device_scalarIT2_EEPKiS6_PKS3_S8_S4_PS3_21rocsparse_index_base_b, .Lfunc_end54-_ZN9rocsparseL19gebsrmvn_2xn_kernelILj128ELj12ELj64EfEEvi20rocsparse_direction_NS_24const_host_device_scalarIT2_EEPKiS6_PKS3_S8_S4_PS3_21rocsparse_index_base_b
                                        ; -- End function
	.section	.AMDGPU.csdata,"",@progbits
; Kernel info:
; codeLenInByte = 2568
; NumSgprs: 22
; NumVgprs: 49
; ScratchSize: 0
; MemoryBound: 0
; FloatMode: 240
; IeeeMode: 1
; LDSByteSize: 0 bytes/workgroup (compile time only)
; SGPRBlocks: 2
; VGPRBlocks: 6
; NumSGPRsForWavesPerEU: 22
; NumVGPRsForWavesPerEU: 49
; Occupancy: 16
; WaveLimiterHint : 1
; COMPUTE_PGM_RSRC2:SCRATCH_EN: 0
; COMPUTE_PGM_RSRC2:USER_SGPR: 15
; COMPUTE_PGM_RSRC2:TRAP_HANDLER: 0
; COMPUTE_PGM_RSRC2:TGID_X_EN: 1
; COMPUTE_PGM_RSRC2:TGID_Y_EN: 0
; COMPUTE_PGM_RSRC2:TGID_Z_EN: 0
; COMPUTE_PGM_RSRC2:TIDIG_COMP_CNT: 0
	.section	.text._ZN9rocsparseL19gebsrmvn_2xn_kernelILj128ELj13ELj4EfEEvi20rocsparse_direction_NS_24const_host_device_scalarIT2_EEPKiS6_PKS3_S8_S4_PS3_21rocsparse_index_base_b,"axG",@progbits,_ZN9rocsparseL19gebsrmvn_2xn_kernelILj128ELj13ELj4EfEEvi20rocsparse_direction_NS_24const_host_device_scalarIT2_EEPKiS6_PKS3_S8_S4_PS3_21rocsparse_index_base_b,comdat
	.globl	_ZN9rocsparseL19gebsrmvn_2xn_kernelILj128ELj13ELj4EfEEvi20rocsparse_direction_NS_24const_host_device_scalarIT2_EEPKiS6_PKS3_S8_S4_PS3_21rocsparse_index_base_b ; -- Begin function _ZN9rocsparseL19gebsrmvn_2xn_kernelILj128ELj13ELj4EfEEvi20rocsparse_direction_NS_24const_host_device_scalarIT2_EEPKiS6_PKS3_S8_S4_PS3_21rocsparse_index_base_b
	.p2align	8
	.type	_ZN9rocsparseL19gebsrmvn_2xn_kernelILj128ELj13ELj4EfEEvi20rocsparse_direction_NS_24const_host_device_scalarIT2_EEPKiS6_PKS3_S8_S4_PS3_21rocsparse_index_base_b,@function
_ZN9rocsparseL19gebsrmvn_2xn_kernelILj128ELj13ELj4EfEEvi20rocsparse_direction_NS_24const_host_device_scalarIT2_EEPKiS6_PKS3_S8_S4_PS3_21rocsparse_index_base_b: ; @_ZN9rocsparseL19gebsrmvn_2xn_kernelILj128ELj13ELj4EfEEvi20rocsparse_direction_NS_24const_host_device_scalarIT2_EEPKiS6_PKS3_S8_S4_PS3_21rocsparse_index_base_b
; %bb.0:
	s_clause 0x2
	s_load_b64 s[18:19], s[0:1], 0x40
	s_load_b64 s[16:17], s[0:1], 0x8
	;; [unrolled: 1-line block ×3, first 2 shown]
	s_waitcnt lgkmcnt(0)
	s_bitcmp1_b32 s19, 0
	s_cselect_b32 s2, -1, 0
	s_delay_alu instid0(SALU_CYCLE_1)
	s_and_b32 vcc_lo, exec_lo, s2
	s_xor_b32 s2, s2, -1
	s_cbranch_vccnz .LBB55_2
; %bb.1:
	s_load_b32 s16, s[16:17], 0x0
.LBB55_2:
	s_and_not1_b32 vcc_lo, exec_lo, s2
	s_cbranch_vccnz .LBB55_4
; %bb.3:
	s_load_b32 s12, s[12:13], 0x0
.LBB55_4:
	s_waitcnt lgkmcnt(0)
	v_cmp_eq_f32_e64 s2, s16, 0
	v_cmp_eq_f32_e64 s3, s12, 1.0
	s_delay_alu instid0(VALU_DEP_1) | instskip(NEXT) | instid1(SALU_CYCLE_1)
	s_and_b32 s2, s2, s3
	s_and_b32 vcc_lo, exec_lo, s2
	s_cbranch_vccnz .LBB55_23
; %bb.5:
	s_load_b64 s[2:3], s[0:1], 0x0
	v_lshrrev_b32_e32 v1, 2, v0
	s_delay_alu instid0(VALU_DEP_1) | instskip(SKIP_1) | instid1(VALU_DEP_1)
	v_lshl_or_b32 v1, s15, 5, v1
	s_waitcnt lgkmcnt(0)
	v_cmp_gt_i32_e32 vcc_lo, s2, v1
	s_and_saveexec_b32 s2, vcc_lo
	s_cbranch_execz .LBB55_23
; %bb.6:
	s_load_b256 s[4:11], s[0:1], 0x10
	v_ashrrev_i32_e32 v2, 31, v1
	v_and_b32_e32 v0, 3, v0
	s_cmp_lg_u32 s3, 0
	s_delay_alu instid0(VALU_DEP_2) | instskip(SKIP_1) | instid1(VALU_DEP_1)
	v_lshlrev_b64 v[2:3], 2, v[1:2]
	s_waitcnt lgkmcnt(0)
	v_add_co_u32 v2, vcc_lo, s4, v2
	s_delay_alu instid0(VALU_DEP_2) | instskip(SKIP_4) | instid1(VALU_DEP_2)
	v_add_co_ci_u32_e32 v3, vcc_lo, s5, v3, vcc_lo
	global_load_b64 v[2:3], v[2:3], off
	s_waitcnt vmcnt(0)
	v_subrev_nc_u32_e32 v2, s18, v2
	v_subrev_nc_u32_e32 v11, s18, v3
	v_add_nc_u32_e32 v2, v2, v0
	s_delay_alu instid0(VALU_DEP_1)
	v_cmp_lt_i32_e64 s2, v2, v11
	s_cbranch_scc0 .LBB55_12
; %bb.7:
	v_mov_b32_e32 v10, 0
	v_mov_b32_e32 v12, 0
	s_mov_b32 s3, 0
	s_and_saveexec_b32 s4, s2
	s_cbranch_execz .LBB55_11
; %bb.8:
	v_mad_u64_u32 v[3:4], null, v2, 26, 24
	v_dual_mov_b32 v6, 0 :: v_dual_mov_b32 v7, v2
	v_mov_b32_e32 v10, 0
	v_mov_b32_e32 v12, 0
	s_mov_b32 s5, 0
.LBB55_9:                               ; =>This Inner Loop Header: Depth=1
	s_delay_alu instid0(VALU_DEP_3) | instskip(NEXT) | instid1(VALU_DEP_1)
	v_ashrrev_i32_e32 v8, 31, v7
	v_lshlrev_b64 v[4:5], 2, v[7:8]
	v_add_nc_u32_e32 v7, 4, v7
	s_delay_alu instid0(VALU_DEP_2) | instskip(NEXT) | instid1(VALU_DEP_3)
	v_add_co_u32 v4, vcc_lo, s6, v4
	v_add_co_ci_u32_e32 v5, vcc_lo, s7, v5, vcc_lo
	global_load_b32 v8, v[4:5], off
	v_subrev_nc_u32_e32 v5, 24, v3
	v_mov_b32_e32 v4, v6
	s_delay_alu instid0(VALU_DEP_2) | instskip(SKIP_1) | instid1(VALU_DEP_3)
	v_lshlrev_b64 v[13:14], 2, v[5:6]
	v_subrev_nc_u32_e32 v5, 22, v3
	v_lshlrev_b64 v[15:16], 2, v[3:4]
	s_delay_alu instid0(VALU_DEP_2) | instskip(NEXT) | instid1(VALU_DEP_4)
	v_lshlrev_b64 v[4:5], 2, v[5:6]
	v_add_co_u32 v13, vcc_lo, s8, v13
	v_add_co_ci_u32_e32 v14, vcc_lo, s9, v14, vcc_lo
	s_delay_alu instid0(VALU_DEP_4)
	v_add_co_u32 v15, vcc_lo, s8, v15
	v_add_co_ci_u32_e32 v16, vcc_lo, s9, v16, vcc_lo
	v_add_co_u32 v4, vcc_lo, s8, v4
	v_add_co_ci_u32_e32 v5, vcc_lo, s9, v5, vcc_lo
	s_clause 0x1
	global_load_b64 v[13:14], v[13:14], off
	global_load_b64 v[17:18], v[4:5], off
	v_mov_b32_e32 v9, v6
	s_waitcnt vmcnt(2)
	v_subrev_nc_u32_e32 v4, s18, v8
	s_delay_alu instid0(VALU_DEP_1) | instskip(NEXT) | instid1(VALU_DEP_1)
	v_mul_lo_u32 v8, v4, 13
	v_lshlrev_b64 v[19:20], 2, v[8:9]
	v_add_nc_u32_e32 v5, 1, v8
	s_delay_alu instid0(VALU_DEP_2) | instskip(NEXT) | instid1(VALU_DEP_3)
	v_add_co_u32 v19, vcc_lo, s10, v19
	v_add_co_ci_u32_e32 v20, vcc_lo, s11, v20, vcc_lo
	s_delay_alu instid0(VALU_DEP_3)
	v_lshlrev_b64 v[21:22], 2, v[5:6]
	v_subrev_nc_u32_e32 v5, 20, v3
	global_load_b32 v43, v[19:20], off
	v_add_co_u32 v21, vcc_lo, s10, v21
	v_add_co_ci_u32_e32 v22, vcc_lo, s11, v22, vcc_lo
	v_lshlrev_b64 v[23:24], 2, v[5:6]
	global_load_b32 v44, v[21:22], off
	v_add_nc_u32_e32 v5, 2, v8
	v_add_co_u32 v21, vcc_lo, s8, v23
	v_add_co_ci_u32_e32 v22, vcc_lo, s9, v24, vcc_lo
	global_load_b64 v[21:22], v[21:22], off
	s_waitcnt vmcnt(2)
	v_fmac_f32_e32 v12, v14, v43
	v_lshlrev_b64 v[19:20], 2, v[5:6]
	v_subrev_nc_u32_e32 v5, 18, v3
	v_fmac_f32_e32 v10, v13, v43
	s_delay_alu instid0(VALU_DEP_2) | instskip(NEXT) | instid1(VALU_DEP_4)
	v_lshlrev_b64 v[23:24], 2, v[5:6]
	v_add_co_u32 v19, vcc_lo, s10, v19
	v_add_co_ci_u32_e32 v20, vcc_lo, s11, v20, vcc_lo
	s_waitcnt vmcnt(1)
	v_fmac_f32_e32 v10, v17, v44
	v_fmac_f32_e32 v12, v18, v44
	global_load_b32 v45, v[19:20], off
	v_add_nc_u32_e32 v5, 3, v8
	v_add_co_u32 v19, vcc_lo, s8, v23
	v_add_co_ci_u32_e32 v20, vcc_lo, s9, v24, vcc_lo
	s_delay_alu instid0(VALU_DEP_3) | instskip(SKIP_1) | instid1(VALU_DEP_1)
	v_lshlrev_b64 v[25:26], 2, v[5:6]
	v_add_nc_u32_e32 v5, -16, v3
	v_lshlrev_b64 v[23:24], 2, v[5:6]
	s_delay_alu instid0(VALU_DEP_3) | instskip(NEXT) | instid1(VALU_DEP_4)
	v_add_co_u32 v25, vcc_lo, s10, v25
	v_add_co_ci_u32_e32 v26, vcc_lo, s11, v26, vcc_lo
	s_delay_alu instid0(VALU_DEP_3) | instskip(NEXT) | instid1(VALU_DEP_4)
	v_add_co_u32 v23, vcc_lo, s8, v23
	v_add_co_ci_u32_e32 v24, vcc_lo, s9, v24, vcc_lo
	global_load_b32 v46, v[25:26], off
	s_clause 0x1
	global_load_b64 v[23:24], v[23:24], off
	global_load_b64 v[19:20], v[19:20], off
	s_waitcnt vmcnt(3)
	v_dual_fmac_f32 v12, v22, v45 :: v_dual_add_nc_u32 v5, 4, v8
	s_delay_alu instid0(VALU_DEP_1) | instskip(SKIP_1) | instid1(VALU_DEP_2)
	v_lshlrev_b64 v[27:28], 2, v[5:6]
	v_fmac_f32_e32 v10, v21, v45
	v_add_co_u32 v27, vcc_lo, s10, v27
	s_delay_alu instid0(VALU_DEP_3) | instskip(SKIP_3) | instid1(VALU_DEP_1)
	v_add_co_ci_u32_e32 v28, vcc_lo, s11, v28, vcc_lo
	global_load_b32 v47, v[27:28], off
	s_waitcnt vmcnt(1)
	v_dual_fmac_f32 v10, v19, v46 :: v_dual_add_nc_u32 v5, -14, v3
	v_lshlrev_b64 v[25:26], 2, v[5:6]
	v_dual_fmac_f32 v12, v20, v46 :: v_dual_add_nc_u32 v5, 5, v8
	s_delay_alu instid0(VALU_DEP_1) | instskip(NEXT) | instid1(VALU_DEP_3)
	v_lshlrev_b64 v[29:30], 2, v[5:6]
	v_add_co_u32 v25, vcc_lo, s8, v25
	s_delay_alu instid0(VALU_DEP_4) | instskip(NEXT) | instid1(VALU_DEP_3)
	v_add_co_ci_u32_e32 v26, vcc_lo, s9, v26, vcc_lo
	v_add_co_u32 v29, vcc_lo, s10, v29
	s_delay_alu instid0(VALU_DEP_4)
	v_add_co_ci_u32_e32 v30, vcc_lo, s11, v30, vcc_lo
	global_load_b64 v[25:26], v[25:26], off
	global_load_b32 v48, v[29:30], off
	s_waitcnt vmcnt(2)
	v_fmac_f32_e32 v10, v23, v47
	v_add_nc_u32_e32 v5, -12, v3
	v_fmac_f32_e32 v12, v24, v47
	s_delay_alu instid0(VALU_DEP_2) | instskip(SKIP_1) | instid1(VALU_DEP_1)
	v_lshlrev_b64 v[27:28], 2, v[5:6]
	v_add_nc_u32_e32 v5, 6, v8
	v_lshlrev_b64 v[31:32], 2, v[5:6]
	s_delay_alu instid0(VALU_DEP_3) | instskip(NEXT) | instid1(VALU_DEP_4)
	v_add_co_u32 v27, vcc_lo, s8, v27
	v_add_co_ci_u32_e32 v28, vcc_lo, s9, v28, vcc_lo
	s_delay_alu instid0(VALU_DEP_3) | instskip(NEXT) | instid1(VALU_DEP_4)
	v_add_co_u32 v31, vcc_lo, s10, v31
	v_add_co_ci_u32_e32 v32, vcc_lo, s11, v32, vcc_lo
	global_load_b64 v[27:28], v[27:28], off
	global_load_b32 v49, v[31:32], off
	s_waitcnt vmcnt(2)
	v_dual_fmac_f32 v12, v26, v48 :: v_dual_add_nc_u32 v5, -10, v3
	s_delay_alu instid0(VALU_DEP_1) | instskip(SKIP_2) | instid1(VALU_DEP_3)
	v_lshlrev_b64 v[29:30], 2, v[5:6]
	v_fmac_f32_e32 v10, v25, v48
	v_add_nc_u32_e32 v5, 7, v8
	v_add_co_u32 v29, vcc_lo, s8, v29
	s_delay_alu instid0(VALU_DEP_4)
	v_add_co_ci_u32_e32 v30, vcc_lo, s9, v30, vcc_lo
	global_load_b64 v[29:30], v[29:30], off
	s_waitcnt vmcnt(1)
	v_fmac_f32_e32 v10, v27, v49
	v_lshlrev_b64 v[33:34], 2, v[5:6]
	v_dual_fmac_f32 v12, v28, v49 :: v_dual_add_nc_u32 v5, -8, v3
	s_delay_alu instid0(VALU_DEP_1) | instskip(NEXT) | instid1(VALU_DEP_3)
	v_lshlrev_b64 v[31:32], 2, v[5:6]
	v_add_co_u32 v33, vcc_lo, s10, v33
	s_delay_alu instid0(VALU_DEP_4) | instskip(NEXT) | instid1(VALU_DEP_3)
	v_add_co_ci_u32_e32 v34, vcc_lo, s11, v34, vcc_lo
	v_add_co_u32 v31, vcc_lo, s8, v31
	s_delay_alu instid0(VALU_DEP_4) | instskip(SKIP_3) | instid1(VALU_DEP_1)
	v_add_co_ci_u32_e32 v32, vcc_lo, s9, v32, vcc_lo
	global_load_b32 v50, v[33:34], off
	global_load_b64 v[31:32], v[31:32], off
	v_add_nc_u32_e32 v5, 8, v8
	v_lshlrev_b64 v[35:36], 2, v[5:6]
	s_delay_alu instid0(VALU_DEP_1) | instskip(NEXT) | instid1(VALU_DEP_2)
	v_add_co_u32 v35, vcc_lo, s10, v35
	v_add_co_ci_u32_e32 v36, vcc_lo, s11, v36, vcc_lo
	global_load_b32 v51, v[35:36], off
	s_waitcnt vmcnt(2)
	v_dual_fmac_f32 v12, v30, v50 :: v_dual_add_nc_u32 v5, -6, v3
	s_delay_alu instid0(VALU_DEP_1) | instskip(SKIP_1) | instid1(VALU_DEP_2)
	v_lshlrev_b64 v[33:34], 2, v[5:6]
	v_dual_fmac_f32 v10, v29, v50 :: v_dual_add_nc_u32 v5, 9, v8
	v_add_co_u32 v33, vcc_lo, s8, v33
	s_delay_alu instid0(VALU_DEP_3)
	v_add_co_ci_u32_e32 v34, vcc_lo, s9, v34, vcc_lo
	global_load_b64 v[33:34], v[33:34], off
	s_waitcnt vmcnt(1)
	v_fmac_f32_e32 v10, v31, v51
	v_lshlrev_b64 v[37:38], 2, v[5:6]
	v_fmac_f32_e32 v12, v32, v51
	s_delay_alu instid0(VALU_DEP_2) | instskip(NEXT) | instid1(VALU_DEP_3)
	v_add_co_u32 v37, vcc_lo, s10, v37
	v_add_co_ci_u32_e32 v38, vcc_lo, s11, v38, vcc_lo
	global_load_b32 v52, v[37:38], off
	v_add_nc_u32_e32 v5, -4, v3
	s_delay_alu instid0(VALU_DEP_1) | instskip(SKIP_1) | instid1(VALU_DEP_1)
	v_lshlrev_b64 v[35:36], 2, v[5:6]
	v_add_nc_u32_e32 v5, 10, v8
	v_lshlrev_b64 v[39:40], 2, v[5:6]
	s_delay_alu instid0(VALU_DEP_3) | instskip(NEXT) | instid1(VALU_DEP_4)
	v_add_co_u32 v35, vcc_lo, s8, v35
	v_add_co_ci_u32_e32 v36, vcc_lo, s9, v36, vcc_lo
	s_delay_alu instid0(VALU_DEP_3) | instskip(NEXT) | instid1(VALU_DEP_4)
	v_add_co_u32 v39, vcc_lo, s10, v39
	v_add_co_ci_u32_e32 v40, vcc_lo, s11, v40, vcc_lo
	global_load_b64 v[35:36], v[35:36], off
	global_load_b32 v39, v[39:40], off
	v_add_nc_u32_e32 v5, -2, v3
	s_waitcnt vmcnt(2)
	v_dual_fmac_f32 v12, v34, v52 :: v_dual_add_nc_u32 v3, 0x68, v3
	s_delay_alu instid0(VALU_DEP_2) | instskip(SKIP_2) | instid1(VALU_DEP_1)
	v_lshlrev_b64 v[37:38], 2, v[5:6]
	v_fmac_f32_e32 v10, v33, v52
	s_waitcnt vmcnt(0)
	v_dual_fmac_f32 v10, v35, v39 :: v_dual_add_nc_u32 v5, 11, v8
	s_delay_alu instid0(VALU_DEP_1) | instskip(SKIP_3) | instid1(VALU_DEP_3)
	v_lshlrev_b64 v[41:42], 2, v[5:6]
	v_dual_fmac_f32 v12, v36, v39 :: v_dual_add_nc_u32 v5, 12, v8
	v_add_co_u32 v8, vcc_lo, s8, v37
	v_add_co_ci_u32_e32 v9, vcc_lo, s9, v38, vcc_lo
	v_lshlrev_b64 v[4:5], 2, v[5:6]
	v_add_co_u32 v37, vcc_lo, s10, v41
	v_add_co_ci_u32_e32 v38, vcc_lo, s11, v42, vcc_lo
	global_load_b64 v[8:9], v[8:9], off
	global_load_b32 v37, v[37:38], off
	v_add_co_u32 v4, vcc_lo, s10, v4
	v_add_co_ci_u32_e32 v5, vcc_lo, s11, v5, vcc_lo
	global_load_b64 v[15:16], v[15:16], off
	global_load_b32 v4, v[4:5], off
	v_cmp_ge_i32_e32 vcc_lo, v7, v11
	s_or_b32 s5, vcc_lo, s5
	s_waitcnt vmcnt(2)
	v_fmac_f32_e32 v10, v8, v37
	v_fmac_f32_e32 v12, v9, v37
	s_waitcnt vmcnt(0)
	s_delay_alu instid0(VALU_DEP_2) | instskip(NEXT) | instid1(VALU_DEP_2)
	v_fmac_f32_e32 v10, v15, v4
	v_fmac_f32_e32 v12, v16, v4
	s_and_not1_b32 exec_lo, exec_lo, s5
	s_cbranch_execnz .LBB55_9
; %bb.10:
	s_or_b32 exec_lo, exec_lo, s5
.LBB55_11:
	s_delay_alu instid0(SALU_CYCLE_1) | instskip(NEXT) | instid1(SALU_CYCLE_1)
	s_or_b32 exec_lo, exec_lo, s4
	s_and_not1_b32 vcc_lo, exec_lo, s3
	s_cbranch_vccz .LBB55_13
	s_branch .LBB55_18
.LBB55_12:
                                        ; implicit-def: $vgpr10
                                        ; implicit-def: $vgpr12
.LBB55_13:
	v_mov_b32_e32 v10, 0
	v_mov_b32_e32 v12, 0
	s_delay_alu instid0(VALU_DEP_3)
	s_and_saveexec_b32 s3, s2
	s_cbranch_execz .LBB55_17
; %bb.14:
	v_mad_u64_u32 v[4:5], null, v2, 26, 25
	v_dual_mov_b32 v7, 0 :: v_dual_mov_b32 v10, 0
	v_mov_b32_e32 v12, 0
	s_mov_b32 s2, 0
.LBB55_15:                              ; =>This Inner Loop Header: Depth=1
	v_ashrrev_i32_e32 v3, 31, v2
	s_delay_alu instid0(VALU_DEP_3) | instskip(NEXT) | instid1(VALU_DEP_2)
	v_dual_mov_b32 v14, v7 :: v_dual_add_nc_u32 v13, -12, v4
	v_lshlrev_b64 v[5:6], 2, v[2:3]
	v_add_nc_u32_e32 v2, 4, v2
	s_delay_alu instid0(VALU_DEP_3) | instskip(NEXT) | instid1(VALU_DEP_3)
	v_lshlrev_b64 v[13:14], 2, v[13:14]
	v_add_co_u32 v5, vcc_lo, s6, v5
	s_delay_alu instid0(VALU_DEP_4) | instskip(SKIP_3) | instid1(VALU_DEP_2)
	v_add_co_ci_u32_e32 v6, vcc_lo, s7, v6, vcc_lo
	global_load_b32 v3, v[5:6], off
	v_subrev_nc_u32_e32 v6, 25, v4
	v_mov_b32_e32 v5, v7
	v_lshlrev_b64 v[15:16], 2, v[6:7]
	s_delay_alu instid0(VALU_DEP_2) | instskip(NEXT) | instid1(VALU_DEP_2)
	v_lshlrev_b64 v[5:6], 2, v[4:5]
	v_add_co_u32 v15, vcc_lo, s8, v15
	s_delay_alu instid0(VALU_DEP_3)
	v_add_co_ci_u32_e32 v16, vcc_lo, s9, v16, vcc_lo
	v_add_co_u32 v13, vcc_lo, s8, v13
	v_add_co_ci_u32_e32 v14, vcc_lo, s9, v14, vcc_lo
	v_add_co_u32 v17, vcc_lo, s8, v5
	v_add_co_ci_u32_e32 v18, vcc_lo, s9, v6, vcc_lo
	s_clause 0x1
	global_load_b64 v[15:16], v[15:16], off
	global_load_b32 v23, v[13:14], off
	s_waitcnt vmcnt(2)
	v_subrev_nc_u32_e32 v3, s18, v3
	s_delay_alu instid0(VALU_DEP_1) | instskip(NEXT) | instid1(VALU_DEP_1)
	v_mul_lo_u32 v8, v3, 13
	v_dual_mov_b32 v9, v7 :: v_dual_add_nc_u32 v6, 1, v8
	s_delay_alu instid0(VALU_DEP_1) | instskip(NEXT) | instid1(VALU_DEP_2)
	v_lshlrev_b64 v[13:14], 2, v[8:9]
	v_lshlrev_b64 v[19:20], 2, v[6:7]
	v_add_nc_u32_e32 v6, -11, v4
	s_delay_alu instid0(VALU_DEP_3) | instskip(NEXT) | instid1(VALU_DEP_4)
	v_add_co_u32 v13, vcc_lo, s10, v13
	v_add_co_ci_u32_e32 v14, vcc_lo, s11, v14, vcc_lo
	s_delay_alu instid0(VALU_DEP_3)
	v_lshlrev_b64 v[21:22], 2, v[6:7]
	v_subrev_nc_u32_e32 v6, 23, v4
	global_load_b32 v3, v[13:14], off
	v_add_co_u32 v13, vcc_lo, s10, v19
	v_add_co_ci_u32_e32 v14, vcc_lo, s11, v20, vcc_lo
	v_lshlrev_b64 v[19:20], 2, v[6:7]
	v_add_nc_u32_e32 v6, 2, v8
	v_add_co_u32 v21, vcc_lo, s8, v21
	v_add_co_ci_u32_e32 v22, vcc_lo, s9, v22, vcc_lo
	global_load_b32 v24, v[13:14], off
	v_lshlrev_b64 v[13:14], 2, v[6:7]
	v_add_co_u32 v19, vcc_lo, s8, v19
	v_add_nc_u32_e32 v6, -10, v4
	v_add_co_ci_u32_e32 v20, vcc_lo, s9, v20, vcc_lo
	s_delay_alu instid0(VALU_DEP_4)
	v_add_co_u32 v13, vcc_lo, s10, v13
	s_clause 0x1
	global_load_b32 v25, v[21:22], off
	global_load_b32 v26, v[19:20], off
	v_lshlrev_b64 v[21:22], 2, v[6:7]
	v_add_co_ci_u32_e32 v14, vcc_lo, s11, v14, vcc_lo
	v_subrev_nc_u32_e32 v6, 22, v4
	global_load_b32 v27, v[13:14], off
	v_add_co_u32 v13, vcc_lo, s8, v21
	v_add_co_ci_u32_e32 v14, vcc_lo, s9, v22, vcc_lo
	global_load_b32 v28, v[13:14], off
	v_lshlrev_b64 v[19:20], 2, v[6:7]
	v_add_nc_u32_e32 v6, 3, v8
	s_delay_alu instid0(VALU_DEP_1) | instskip(SKIP_1) | instid1(VALU_DEP_4)
	v_lshlrev_b64 v[21:22], 2, v[6:7]
	v_add_nc_u32_e32 v6, -9, v4
	v_add_co_u32 v19, vcc_lo, s8, v19
	v_add_co_ci_u32_e32 v20, vcc_lo, s9, v20, vcc_lo
	s_delay_alu instid0(VALU_DEP_3)
	v_lshlrev_b64 v[13:14], 2, v[6:7]
	v_subrev_nc_u32_e32 v6, 21, v4
	global_load_b32 v29, v[19:20], off
	v_add_co_u32 v19, vcc_lo, s10, v21
	v_add_co_ci_u32_e32 v20, vcc_lo, s11, v22, vcc_lo
	v_lshlrev_b64 v[21:22], 2, v[6:7]
	v_add_nc_u32_e32 v6, 4, v8
	v_add_co_u32 v13, vcc_lo, s8, v13
	v_add_co_ci_u32_e32 v14, vcc_lo, s9, v14, vcc_lo
	global_load_b32 v30, v[19:20], off
	v_lshlrev_b64 v[19:20], 2, v[6:7]
	v_add_nc_u32_e32 v6, -8, v4
	global_load_b32 v31, v[13:14], off
	v_add_co_u32 v13, vcc_lo, s8, v21
	v_add_co_ci_u32_e32 v14, vcc_lo, s9, v22, vcc_lo
	v_lshlrev_b64 v[21:22], 2, v[6:7]
	v_subrev_nc_u32_e32 v6, 20, v4
	v_add_co_u32 v19, vcc_lo, s10, v19
	v_add_co_ci_u32_e32 v20, vcc_lo, s11, v20, vcc_lo
	global_load_b32 v32, v[13:14], off
	v_lshlrev_b64 v[13:14], 2, v[6:7]
	v_add_nc_u32_e32 v6, 5, v8
	global_load_b32 v33, v[19:20], off
	v_add_co_u32 v19, vcc_lo, s8, v21
	v_add_co_ci_u32_e32 v20, vcc_lo, s9, v22, vcc_lo
	v_add_co_u32 v13, vcc_lo, s8, v13
	v_lshlrev_b64 v[21:22], 2, v[6:7]
	v_add_nc_u32_e32 v6, -7, v4
	v_add_co_ci_u32_e32 v14, vcc_lo, s9, v14, vcc_lo
	s_clause 0x1
	global_load_b32 v34, v[19:20], off
	global_load_b32 v35, v[13:14], off
	v_lshlrev_b64 v[19:20], 2, v[6:7]
	v_subrev_nc_u32_e32 v6, 19, v4
	v_add_co_u32 v13, vcc_lo, s10, v21
	v_add_co_ci_u32_e32 v14, vcc_lo, s11, v22, vcc_lo
	s_delay_alu instid0(VALU_DEP_3)
	v_lshlrev_b64 v[21:22], 2, v[6:7]
	v_add_nc_u32_e32 v6, 6, v8
	v_add_co_u32 v19, vcc_lo, s8, v19
	v_add_co_ci_u32_e32 v20, vcc_lo, s9, v20, vcc_lo
	global_load_b32 v36, v[13:14], off
	v_lshlrev_b64 v[13:14], 2, v[6:7]
	v_add_nc_u32_e32 v6, -6, v4
	global_load_b32 v37, v[19:20], off
	v_add_co_u32 v19, vcc_lo, s8, v21
	v_add_co_ci_u32_e32 v20, vcc_lo, s9, v22, vcc_lo
	v_add_co_u32 v13, vcc_lo, s10, v13
	v_lshlrev_b64 v[21:22], 2, v[6:7]
	v_add_co_ci_u32_e32 v14, vcc_lo, s11, v14, vcc_lo
	v_subrev_nc_u32_e32 v6, 18, v4
	global_load_b32 v38, v[19:20], off
	global_load_b32 v39, v[13:14], off
	v_add_co_u32 v13, vcc_lo, s8, v21
	v_add_co_ci_u32_e32 v14, vcc_lo, s9, v22, vcc_lo
	global_load_b32 v40, v[13:14], off
	v_lshlrev_b64 v[19:20], 2, v[6:7]
	v_add_nc_u32_e32 v6, 7, v8
	s_delay_alu instid0(VALU_DEP_1) | instskip(SKIP_1) | instid1(VALU_DEP_4)
	v_lshlrev_b64 v[21:22], 2, v[6:7]
	v_add_nc_u32_e32 v6, -5, v4
	v_add_co_u32 v19, vcc_lo, s8, v19
	v_add_co_ci_u32_e32 v20, vcc_lo, s9, v20, vcc_lo
	s_delay_alu instid0(VALU_DEP_3)
	v_lshlrev_b64 v[13:14], 2, v[6:7]
	v_subrev_nc_u32_e32 v6, 17, v4
	global_load_b32 v41, v[19:20], off
	v_add_co_u32 v19, vcc_lo, s10, v21
	v_add_co_ci_u32_e32 v20, vcc_lo, s11, v22, vcc_lo
	v_lshlrev_b64 v[21:22], 2, v[6:7]
	v_add_nc_u32_e32 v6, 8, v8
	v_add_co_u32 v13, vcc_lo, s8, v13
	v_add_co_ci_u32_e32 v14, vcc_lo, s9, v14, vcc_lo
	global_load_b32 v42, v[19:20], off
	v_lshlrev_b64 v[19:20], 2, v[6:7]
	v_add_nc_u32_e32 v6, -4, v4
	global_load_b32 v43, v[13:14], off
	v_add_co_u32 v13, vcc_lo, s8, v21
	v_add_co_ci_u32_e32 v14, vcc_lo, s9, v22, vcc_lo
	v_lshlrev_b64 v[21:22], 2, v[6:7]
	v_add_nc_u32_e32 v6, -16, v4
	v_add_co_u32 v19, vcc_lo, s10, v19
	v_add_co_ci_u32_e32 v20, vcc_lo, s11, v20, vcc_lo
	global_load_b32 v44, v[13:14], off
	v_lshlrev_b64 v[13:14], 2, v[6:7]
	v_add_nc_u32_e32 v6, 9, v8
	global_load_b32 v45, v[19:20], off
	v_add_co_u32 v19, vcc_lo, s8, v21
	v_add_co_ci_u32_e32 v20, vcc_lo, s9, v22, vcc_lo
	v_add_co_u32 v13, vcc_lo, s8, v13
	v_lshlrev_b64 v[21:22], 2, v[6:7]
	v_add_nc_u32_e32 v6, -3, v4
	v_add_co_ci_u32_e32 v14, vcc_lo, s9, v14, vcc_lo
	s_clause 0x1
	global_load_b32 v46, v[19:20], off
	global_load_b32 v47, v[13:14], off
	v_lshlrev_b64 v[19:20], 2, v[6:7]
	v_add_nc_u32_e32 v6, -15, v4
	v_add_co_u32 v13, vcc_lo, s10, v21
	v_add_co_ci_u32_e32 v14, vcc_lo, s11, v22, vcc_lo
	s_delay_alu instid0(VALU_DEP_3)
	v_lshlrev_b64 v[21:22], 2, v[6:7]
	v_add_nc_u32_e32 v6, 10, v8
	v_add_co_u32 v19, vcc_lo, s8, v19
	v_add_co_ci_u32_e32 v20, vcc_lo, s9, v20, vcc_lo
	global_load_b32 v48, v[13:14], off
	v_lshlrev_b64 v[13:14], 2, v[6:7]
	v_add_nc_u32_e32 v6, -2, v4
	global_load_b32 v49, v[19:20], off
	v_add_co_u32 v19, vcc_lo, s8, v21
	v_add_co_ci_u32_e32 v20, vcc_lo, s9, v22, vcc_lo
	v_add_co_u32 v13, vcc_lo, s10, v13
	v_lshlrev_b64 v[21:22], 2, v[6:7]
	v_add_co_ci_u32_e32 v14, vcc_lo, s11, v14, vcc_lo
	v_add_nc_u32_e32 v6, -14, v4
	global_load_b32 v50, v[19:20], off
	global_load_b32 v51, v[13:14], off
	v_add_co_u32 v13, vcc_lo, s8, v21
	v_add_co_ci_u32_e32 v14, vcc_lo, s9, v22, vcc_lo
	global_load_b32 v52, v[13:14], off
	v_lshlrev_b64 v[19:20], 2, v[6:7]
	v_add_nc_u32_e32 v6, 11, v8
	s_delay_alu instid0(VALU_DEP_1) | instskip(SKIP_1) | instid1(VALU_DEP_4)
	v_lshlrev_b64 v[21:22], 2, v[6:7]
	v_add_nc_u32_e32 v6, -1, v4
	v_add_co_u32 v19, vcc_lo, s8, v19
	v_add_co_ci_u32_e32 v20, vcc_lo, s9, v20, vcc_lo
	s_delay_alu instid0(VALU_DEP_3)
	v_lshlrev_b64 v[13:14], 2, v[6:7]
	v_add_nc_u32_e32 v6, -13, v4
	v_add_nc_u32_e32 v4, 0x68, v4
	global_load_b32 v53, v[19:20], off
	v_add_co_u32 v19, vcc_lo, s10, v21
	v_add_co_ci_u32_e32 v20, vcc_lo, s11, v22, vcc_lo
	v_lshlrev_b64 v[21:22], 2, v[6:7]
	v_add_nc_u32_e32 v6, 12, v8
	v_add_co_u32 v8, vcc_lo, s8, v13
	v_add_co_ci_u32_e32 v9, vcc_lo, s9, v14, vcc_lo
	s_delay_alu instid0(VALU_DEP_3)
	v_lshlrev_b64 v[5:6], 2, v[6:7]
	global_load_b32 v13, v[19:20], off
	global_load_b32 v14, v[8:9], off
	v_add_co_u32 v8, vcc_lo, s8, v21
	v_add_co_ci_u32_e32 v9, vcc_lo, s9, v22, vcc_lo
	v_add_co_u32 v5, vcc_lo, s10, v5
	v_add_co_ci_u32_e32 v6, vcc_lo, s11, v6, vcc_lo
	s_clause 0x1
	global_load_b32 v17, v[17:18], off
	global_load_b32 v8, v[8:9], off
	;; [unrolled: 1-line block ×3, first 2 shown]
	v_cmp_ge_i32_e32 vcc_lo, v2, v11
	s_or_b32 s2, vcc_lo, s2
	s_waitcnt vmcnt(35)
	v_fmac_f32_e32 v10, v15, v3
	v_fmac_f32_e32 v12, v23, v3
	s_waitcnt vmcnt(34)
	s_delay_alu instid0(VALU_DEP_2) | instskip(SKIP_1) | instid1(VALU_DEP_2)
	v_fmac_f32_e32 v10, v16, v24
	s_waitcnt vmcnt(33)
	v_fmac_f32_e32 v12, v25, v24
	s_waitcnt vmcnt(31)
	s_delay_alu instid0(VALU_DEP_2) | instskip(SKIP_1) | instid1(VALU_DEP_2)
	v_fmac_f32_e32 v10, v26, v27
	s_waitcnt vmcnt(30)
	;; [unrolled: 5-line block ×11, first 2 shown]
	v_fmac_f32_e32 v12, v14, v13
	s_waitcnt vmcnt(0)
	s_delay_alu instid0(VALU_DEP_2) | instskip(NEXT) | instid1(VALU_DEP_2)
	v_fmac_f32_e32 v10, v8, v5
	v_fmac_f32_e32 v12, v17, v5
	s_and_not1_b32 exec_lo, exec_lo, s2
	s_cbranch_execnz .LBB55_15
; %bb.16:
	s_or_b32 exec_lo, exec_lo, s2
.LBB55_17:
	s_delay_alu instid0(SALU_CYCLE_1)
	s_or_b32 exec_lo, exec_lo, s3
.LBB55_18:
	v_mbcnt_lo_u32_b32 v2, -1, 0
	s_mov_b32 s2, -1
	s_delay_alu instid0(VALU_DEP_1) | instskip(SKIP_1) | instid1(VALU_DEP_2)
	v_xor_b32_e32 v3, 2, v2
	v_xor_b32_e32 v5, 1, v2
	v_cmp_gt_i32_e32 vcc_lo, 32, v3
	v_cndmask_b32_e32 v3, v2, v3, vcc_lo
	s_delay_alu instid0(VALU_DEP_3) | instskip(NEXT) | instid1(VALU_DEP_2)
	v_cmp_gt_i32_e32 vcc_lo, 32, v5
	v_dual_cndmask_b32 v2, v2, v5 :: v_dual_lshlrev_b32 v3, 2, v3
	v_cmp_eq_u32_e32 vcc_lo, 3, v0
	ds_bpermute_b32 v4, v3, v10
	ds_bpermute_b32 v3, v3, v12
	s_waitcnt lgkmcnt(1)
	v_dual_add_f32 v2, v10, v4 :: v_dual_lshlrev_b32 v5, 2, v2
	s_waitcnt lgkmcnt(0)
	v_add_f32_e32 v3, v12, v3
	ds_bpermute_b32 v4, v5, v2
	ds_bpermute_b32 v5, v5, v3
	s_and_b32 exec_lo, exec_lo, vcc_lo
	s_cbranch_execz .LBB55_23
; %bb.19:
	s_load_b64 s[0:1], s[0:1], 0x38
	s_waitcnt lgkmcnt(0)
	v_dual_add_f32 v0, v2, v4 :: v_dual_add_f32 v3, v3, v5
	v_cmp_eq_f32_e64 s3, s12, 0
	s_delay_alu instid0(VALU_DEP_2) | instskip(SKIP_1) | instid1(VALU_DEP_3)
	v_dual_mul_f32 v2, s16, v0 :: v_dual_mul_f32 v3, s16, v3
	v_lshlrev_b32_e32 v0, 1, v1
	s_and_b32 vcc_lo, exec_lo, s3
	s_cbranch_vccz .LBB55_21
; %bb.20:
	s_delay_alu instid0(VALU_DEP_1) | instskip(SKIP_1) | instid1(VALU_DEP_1)
	v_ashrrev_i32_e32 v1, 31, v0
	s_mov_b32 s2, 0
	v_lshlrev_b64 v[4:5], 2, v[0:1]
	s_delay_alu instid0(VALU_DEP_1) | instskip(NEXT) | instid1(VALU_DEP_2)
	v_add_co_u32 v4, vcc_lo, s0, v4
	v_add_co_ci_u32_e32 v5, vcc_lo, s1, v5, vcc_lo
	global_store_b64 v[4:5], v[2:3], off
.LBB55_21:
	s_and_not1_b32 vcc_lo, exec_lo, s2
	s_cbranch_vccnz .LBB55_23
; %bb.22:
	v_ashrrev_i32_e32 v1, 31, v0
	s_delay_alu instid0(VALU_DEP_1) | instskip(NEXT) | instid1(VALU_DEP_1)
	v_lshlrev_b64 v[0:1], 2, v[0:1]
	v_add_co_u32 v0, vcc_lo, s0, v0
	s_delay_alu instid0(VALU_DEP_2)
	v_add_co_ci_u32_e32 v1, vcc_lo, s1, v1, vcc_lo
	global_load_b64 v[4:5], v[0:1], off
	s_waitcnt vmcnt(0)
	v_dual_fmac_f32 v2, s12, v4 :: v_dual_fmac_f32 v3, s12, v5
	global_store_b64 v[0:1], v[2:3], off
.LBB55_23:
	s_nop 0
	s_sendmsg sendmsg(MSG_DEALLOC_VGPRS)
	s_endpgm
	.section	.rodata,"a",@progbits
	.p2align	6, 0x0
	.amdhsa_kernel _ZN9rocsparseL19gebsrmvn_2xn_kernelILj128ELj13ELj4EfEEvi20rocsparse_direction_NS_24const_host_device_scalarIT2_EEPKiS6_PKS3_S8_S4_PS3_21rocsparse_index_base_b
		.amdhsa_group_segment_fixed_size 0
		.amdhsa_private_segment_fixed_size 0
		.amdhsa_kernarg_size 72
		.amdhsa_user_sgpr_count 15
		.amdhsa_user_sgpr_dispatch_ptr 0
		.amdhsa_user_sgpr_queue_ptr 0
		.amdhsa_user_sgpr_kernarg_segment_ptr 1
		.amdhsa_user_sgpr_dispatch_id 0
		.amdhsa_user_sgpr_private_segment_size 0
		.amdhsa_wavefront_size32 1
		.amdhsa_uses_dynamic_stack 0
		.amdhsa_enable_private_segment 0
		.amdhsa_system_sgpr_workgroup_id_x 1
		.amdhsa_system_sgpr_workgroup_id_y 0
		.amdhsa_system_sgpr_workgroup_id_z 0
		.amdhsa_system_sgpr_workgroup_info 0
		.amdhsa_system_vgpr_workitem_id 0
		.amdhsa_next_free_vgpr 54
		.amdhsa_next_free_sgpr 20
		.amdhsa_reserve_vcc 1
		.amdhsa_float_round_mode_32 0
		.amdhsa_float_round_mode_16_64 0
		.amdhsa_float_denorm_mode_32 3
		.amdhsa_float_denorm_mode_16_64 3
		.amdhsa_dx10_clamp 1
		.amdhsa_ieee_mode 1
		.amdhsa_fp16_overflow 0
		.amdhsa_workgroup_processor_mode 1
		.amdhsa_memory_ordered 1
		.amdhsa_forward_progress 0
		.amdhsa_shared_vgpr_count 0
		.amdhsa_exception_fp_ieee_invalid_op 0
		.amdhsa_exception_fp_denorm_src 0
		.amdhsa_exception_fp_ieee_div_zero 0
		.amdhsa_exception_fp_ieee_overflow 0
		.amdhsa_exception_fp_ieee_underflow 0
		.amdhsa_exception_fp_ieee_inexact 0
		.amdhsa_exception_int_div_zero 0
	.end_amdhsa_kernel
	.section	.text._ZN9rocsparseL19gebsrmvn_2xn_kernelILj128ELj13ELj4EfEEvi20rocsparse_direction_NS_24const_host_device_scalarIT2_EEPKiS6_PKS3_S8_S4_PS3_21rocsparse_index_base_b,"axG",@progbits,_ZN9rocsparseL19gebsrmvn_2xn_kernelILj128ELj13ELj4EfEEvi20rocsparse_direction_NS_24const_host_device_scalarIT2_EEPKiS6_PKS3_S8_S4_PS3_21rocsparse_index_base_b,comdat
.Lfunc_end55:
	.size	_ZN9rocsparseL19gebsrmvn_2xn_kernelILj128ELj13ELj4EfEEvi20rocsparse_direction_NS_24const_host_device_scalarIT2_EEPKiS6_PKS3_S8_S4_PS3_21rocsparse_index_base_b, .Lfunc_end55-_ZN9rocsparseL19gebsrmvn_2xn_kernelILj128ELj13ELj4EfEEvi20rocsparse_direction_NS_24const_host_device_scalarIT2_EEPKiS6_PKS3_S8_S4_PS3_21rocsparse_index_base_b
                                        ; -- End function
	.section	.AMDGPU.csdata,"",@progbits
; Kernel info:
; codeLenInByte = 3516
; NumSgprs: 22
; NumVgprs: 54
; ScratchSize: 0
; MemoryBound: 0
; FloatMode: 240
; IeeeMode: 1
; LDSByteSize: 0 bytes/workgroup (compile time only)
; SGPRBlocks: 2
; VGPRBlocks: 6
; NumSGPRsForWavesPerEU: 22
; NumVGPRsForWavesPerEU: 54
; Occupancy: 16
; WaveLimiterHint : 1
; COMPUTE_PGM_RSRC2:SCRATCH_EN: 0
; COMPUTE_PGM_RSRC2:USER_SGPR: 15
; COMPUTE_PGM_RSRC2:TRAP_HANDLER: 0
; COMPUTE_PGM_RSRC2:TGID_X_EN: 1
; COMPUTE_PGM_RSRC2:TGID_Y_EN: 0
; COMPUTE_PGM_RSRC2:TGID_Z_EN: 0
; COMPUTE_PGM_RSRC2:TIDIG_COMP_CNT: 0
	.section	.text._ZN9rocsparseL19gebsrmvn_2xn_kernelILj128ELj13ELj8EfEEvi20rocsparse_direction_NS_24const_host_device_scalarIT2_EEPKiS6_PKS3_S8_S4_PS3_21rocsparse_index_base_b,"axG",@progbits,_ZN9rocsparseL19gebsrmvn_2xn_kernelILj128ELj13ELj8EfEEvi20rocsparse_direction_NS_24const_host_device_scalarIT2_EEPKiS6_PKS3_S8_S4_PS3_21rocsparse_index_base_b,comdat
	.globl	_ZN9rocsparseL19gebsrmvn_2xn_kernelILj128ELj13ELj8EfEEvi20rocsparse_direction_NS_24const_host_device_scalarIT2_EEPKiS6_PKS3_S8_S4_PS3_21rocsparse_index_base_b ; -- Begin function _ZN9rocsparseL19gebsrmvn_2xn_kernelILj128ELj13ELj8EfEEvi20rocsparse_direction_NS_24const_host_device_scalarIT2_EEPKiS6_PKS3_S8_S4_PS3_21rocsparse_index_base_b
	.p2align	8
	.type	_ZN9rocsparseL19gebsrmvn_2xn_kernelILj128ELj13ELj8EfEEvi20rocsparse_direction_NS_24const_host_device_scalarIT2_EEPKiS6_PKS3_S8_S4_PS3_21rocsparse_index_base_b,@function
_ZN9rocsparseL19gebsrmvn_2xn_kernelILj128ELj13ELj8EfEEvi20rocsparse_direction_NS_24const_host_device_scalarIT2_EEPKiS6_PKS3_S8_S4_PS3_21rocsparse_index_base_b: ; @_ZN9rocsparseL19gebsrmvn_2xn_kernelILj128ELj13ELj8EfEEvi20rocsparse_direction_NS_24const_host_device_scalarIT2_EEPKiS6_PKS3_S8_S4_PS3_21rocsparse_index_base_b
; %bb.0:
	s_clause 0x2
	s_load_b64 s[18:19], s[0:1], 0x40
	s_load_b64 s[16:17], s[0:1], 0x8
	;; [unrolled: 1-line block ×3, first 2 shown]
	s_waitcnt lgkmcnt(0)
	s_bitcmp1_b32 s19, 0
	s_cselect_b32 s2, -1, 0
	s_delay_alu instid0(SALU_CYCLE_1)
	s_and_b32 vcc_lo, exec_lo, s2
	s_xor_b32 s2, s2, -1
	s_cbranch_vccnz .LBB56_2
; %bb.1:
	s_load_b32 s16, s[16:17], 0x0
.LBB56_2:
	s_and_not1_b32 vcc_lo, exec_lo, s2
	s_cbranch_vccnz .LBB56_4
; %bb.3:
	s_load_b32 s12, s[12:13], 0x0
.LBB56_4:
	s_waitcnt lgkmcnt(0)
	v_cmp_eq_f32_e64 s2, s16, 0
	v_cmp_eq_f32_e64 s3, s12, 1.0
	s_delay_alu instid0(VALU_DEP_1) | instskip(NEXT) | instid1(SALU_CYCLE_1)
	s_and_b32 s2, s2, s3
	s_and_b32 vcc_lo, exec_lo, s2
	s_cbranch_vccnz .LBB56_23
; %bb.5:
	s_load_b64 s[2:3], s[0:1], 0x0
	v_lshrrev_b32_e32 v1, 3, v0
	s_delay_alu instid0(VALU_DEP_1) | instskip(SKIP_1) | instid1(VALU_DEP_1)
	v_lshl_or_b32 v1, s15, 4, v1
	s_waitcnt lgkmcnt(0)
	v_cmp_gt_i32_e32 vcc_lo, s2, v1
	s_and_saveexec_b32 s2, vcc_lo
	s_cbranch_execz .LBB56_23
; %bb.6:
	s_load_b256 s[4:11], s[0:1], 0x10
	v_ashrrev_i32_e32 v2, 31, v1
	v_and_b32_e32 v0, 7, v0
	s_cmp_lg_u32 s3, 0
	s_delay_alu instid0(VALU_DEP_2) | instskip(SKIP_1) | instid1(VALU_DEP_1)
	v_lshlrev_b64 v[2:3], 2, v[1:2]
	s_waitcnt lgkmcnt(0)
	v_add_co_u32 v2, vcc_lo, s4, v2
	s_delay_alu instid0(VALU_DEP_2) | instskip(SKIP_4) | instid1(VALU_DEP_2)
	v_add_co_ci_u32_e32 v3, vcc_lo, s5, v3, vcc_lo
	global_load_b64 v[2:3], v[2:3], off
	s_waitcnt vmcnt(0)
	v_subrev_nc_u32_e32 v2, s18, v2
	v_subrev_nc_u32_e32 v12, s18, v3
	v_add_nc_u32_e32 v2, v2, v0
	s_delay_alu instid0(VALU_DEP_1)
	v_cmp_lt_i32_e64 s2, v2, v12
	s_cbranch_scc0 .LBB56_12
; %bb.7:
	v_dual_mov_b32 v10, 0 :: v_dual_mov_b32 v11, 0
	s_mov_b32 s3, 0
	s_delay_alu instid0(VALU_DEP_2)
	s_and_saveexec_b32 s4, s2
	s_cbranch_execz .LBB56_11
; %bb.8:
	v_mad_u64_u32 v[3:4], null, v2, 26, 24
	v_dual_mov_b32 v6, 0 :: v_dual_mov_b32 v7, v2
	v_dual_mov_b32 v10, 0 :: v_dual_mov_b32 v11, 0
	s_mov_b32 s5, 0
.LBB56_9:                               ; =>This Inner Loop Header: Depth=1
	s_delay_alu instid0(VALU_DEP_2) | instskip(NEXT) | instid1(VALU_DEP_1)
	v_ashrrev_i32_e32 v8, 31, v7
	v_lshlrev_b64 v[4:5], 2, v[7:8]
	v_add_nc_u32_e32 v7, 8, v7
	s_delay_alu instid0(VALU_DEP_2) | instskip(NEXT) | instid1(VALU_DEP_3)
	v_add_co_u32 v4, vcc_lo, s6, v4
	v_add_co_ci_u32_e32 v5, vcc_lo, s7, v5, vcc_lo
	global_load_b32 v8, v[4:5], off
	v_subrev_nc_u32_e32 v5, 24, v3
	v_mov_b32_e32 v4, v6
	s_delay_alu instid0(VALU_DEP_2) | instskip(SKIP_1) | instid1(VALU_DEP_3)
	v_lshlrev_b64 v[13:14], 2, v[5:6]
	v_subrev_nc_u32_e32 v5, 22, v3
	v_lshlrev_b64 v[15:16], 2, v[3:4]
	s_delay_alu instid0(VALU_DEP_2) | instskip(NEXT) | instid1(VALU_DEP_4)
	v_lshlrev_b64 v[4:5], 2, v[5:6]
	v_add_co_u32 v13, vcc_lo, s8, v13
	v_add_co_ci_u32_e32 v14, vcc_lo, s9, v14, vcc_lo
	s_delay_alu instid0(VALU_DEP_4)
	v_add_co_u32 v15, vcc_lo, s8, v15
	v_add_co_ci_u32_e32 v16, vcc_lo, s9, v16, vcc_lo
	v_add_co_u32 v4, vcc_lo, s8, v4
	v_add_co_ci_u32_e32 v5, vcc_lo, s9, v5, vcc_lo
	s_clause 0x1
	global_load_b64 v[13:14], v[13:14], off
	global_load_b64 v[17:18], v[4:5], off
	v_mov_b32_e32 v9, v6
	s_waitcnt vmcnt(2)
	v_subrev_nc_u32_e32 v4, s18, v8
	s_delay_alu instid0(VALU_DEP_1) | instskip(NEXT) | instid1(VALU_DEP_1)
	v_mul_lo_u32 v8, v4, 13
	v_add_nc_u32_e32 v5, 1, v8
	v_lshlrev_b64 v[19:20], 2, v[8:9]
	s_delay_alu instid0(VALU_DEP_2) | instskip(SKIP_1) | instid1(VALU_DEP_3)
	v_lshlrev_b64 v[21:22], 2, v[5:6]
	v_subrev_nc_u32_e32 v5, 20, v3
	v_add_co_u32 v19, vcc_lo, s10, v19
	s_delay_alu instid0(VALU_DEP_4) | instskip(NEXT) | instid1(VALU_DEP_4)
	v_add_co_ci_u32_e32 v20, vcc_lo, s11, v20, vcc_lo
	v_add_co_u32 v21, vcc_lo, s10, v21
	v_add_co_ci_u32_e32 v22, vcc_lo, s11, v22, vcc_lo
	global_load_b32 v43, v[19:20], off
	v_lshlrev_b64 v[23:24], 2, v[5:6]
	global_load_b32 v44, v[21:22], off
	v_add_co_u32 v21, vcc_lo, s8, v23
	v_add_co_ci_u32_e32 v22, vcc_lo, s9, v24, vcc_lo
	global_load_b64 v[21:22], v[21:22], off
	s_waitcnt vmcnt(2)
	v_fmac_f32_e32 v10, v13, v43
	s_waitcnt vmcnt(1)
	s_delay_alu instid0(VALU_DEP_1) | instskip(SKIP_1) | instid1(VALU_DEP_2)
	v_dual_fmac_f32 v11, v14, v43 :: v_dual_fmac_f32 v10, v17, v44
	v_add_nc_u32_e32 v5, 2, v8
	v_fmac_f32_e32 v11, v18, v44
	s_delay_alu instid0(VALU_DEP_2) | instskip(SKIP_1) | instid1(VALU_DEP_1)
	v_lshlrev_b64 v[19:20], 2, v[5:6]
	v_subrev_nc_u32_e32 v5, 18, v3
	v_lshlrev_b64 v[23:24], 2, v[5:6]
	v_add_nc_u32_e32 v5, 3, v8
	s_delay_alu instid0(VALU_DEP_4) | instskip(SKIP_1) | instid1(VALU_DEP_3)
	v_add_co_u32 v19, vcc_lo, s10, v19
	v_add_co_ci_u32_e32 v20, vcc_lo, s11, v20, vcc_lo
	v_lshlrev_b64 v[25:26], 2, v[5:6]
	v_add_nc_u32_e32 v5, -16, v3
	global_load_b32 v45, v[19:20], off
	v_add_co_u32 v19, vcc_lo, s8, v23
	v_add_co_ci_u32_e32 v20, vcc_lo, s9, v24, vcc_lo
	v_lshlrev_b64 v[23:24], 2, v[5:6]
	v_add_co_u32 v25, vcc_lo, s10, v25
	v_add_co_ci_u32_e32 v26, vcc_lo, s11, v26, vcc_lo
	s_delay_alu instid0(VALU_DEP_3) | instskip(NEXT) | instid1(VALU_DEP_4)
	v_add_co_u32 v23, vcc_lo, s8, v23
	v_add_co_ci_u32_e32 v24, vcc_lo, s9, v24, vcc_lo
	global_load_b32 v46, v[25:26], off
	global_load_b64 v[23:24], v[23:24], off
	v_add_nc_u32_e32 v5, 4, v8
	global_load_b64 v[19:20], v[19:20], off
	v_lshlrev_b64 v[27:28], 2, v[5:6]
	v_add_nc_u32_e32 v5, -14, v3
	s_delay_alu instid0(VALU_DEP_2) | instskip(NEXT) | instid1(VALU_DEP_3)
	v_add_co_u32 v27, vcc_lo, s10, v27
	v_add_co_ci_u32_e32 v28, vcc_lo, s11, v28, vcc_lo
	global_load_b32 v47, v[27:28], off
	v_lshlrev_b64 v[25:26], 2, v[5:6]
	v_add_nc_u32_e32 v5, 5, v8
	s_delay_alu instid0(VALU_DEP_1) | instskip(SKIP_1) | instid1(VALU_DEP_4)
	v_lshlrev_b64 v[29:30], 2, v[5:6]
	v_add_nc_u32_e32 v5, -12, v3
	v_add_co_u32 v25, vcc_lo, s8, v25
	v_add_co_ci_u32_e32 v26, vcc_lo, s9, v26, vcc_lo
	s_delay_alu instid0(VALU_DEP_3) | instskip(SKIP_3) | instid1(VALU_DEP_3)
	v_lshlrev_b64 v[27:28], 2, v[5:6]
	v_add_nc_u32_e32 v5, 6, v8
	v_add_co_u32 v29, vcc_lo, s10, v29
	v_add_co_ci_u32_e32 v30, vcc_lo, s11, v30, vcc_lo
	v_lshlrev_b64 v[31:32], 2, v[5:6]
	v_add_co_u32 v27, vcc_lo, s8, v27
	v_add_co_ci_u32_e32 v28, vcc_lo, s9, v28, vcc_lo
	v_add_nc_u32_e32 v5, -10, v3
	s_delay_alu instid0(VALU_DEP_4)
	v_add_co_u32 v31, vcc_lo, s10, v31
	v_add_co_ci_u32_e32 v32, vcc_lo, s11, v32, vcc_lo
	global_load_b32 v48, v[29:30], off
	s_clause 0x1
	global_load_b64 v[25:26], v[25:26], off
	global_load_b64 v[27:28], v[27:28], off
	global_load_b32 v49, v[31:32], off
	v_lshlrev_b64 v[29:30], 2, v[5:6]
	v_add_nc_u32_e32 v5, 7, v8
	s_delay_alu instid0(VALU_DEP_1) | instskip(SKIP_1) | instid1(VALU_DEP_4)
	v_lshlrev_b64 v[33:34], 2, v[5:6]
	v_add_nc_u32_e32 v5, -8, v3
	v_add_co_u32 v29, vcc_lo, s8, v29
	v_add_co_ci_u32_e32 v30, vcc_lo, s9, v30, vcc_lo
	s_delay_alu instid0(VALU_DEP_3) | instskip(SKIP_3) | instid1(VALU_DEP_3)
	v_lshlrev_b64 v[31:32], 2, v[5:6]
	v_add_nc_u32_e32 v5, 8, v8
	v_add_co_u32 v33, vcc_lo, s10, v33
	v_add_co_ci_u32_e32 v34, vcc_lo, s11, v34, vcc_lo
	v_lshlrev_b64 v[35:36], 2, v[5:6]
	v_add_co_u32 v31, vcc_lo, s8, v31
	v_add_co_ci_u32_e32 v32, vcc_lo, s9, v32, vcc_lo
	v_add_nc_u32_e32 v5, -6, v3
	s_delay_alu instid0(VALU_DEP_4)
	v_add_co_u32 v35, vcc_lo, s10, v35
	v_add_co_ci_u32_e32 v36, vcc_lo, s11, v36, vcc_lo
	global_load_b32 v50, v[33:34], off
	s_clause 0x1
	global_load_b64 v[29:30], v[29:30], off
	global_load_b64 v[31:32], v[31:32], off
	global_load_b32 v51, v[35:36], off
	v_lshlrev_b64 v[33:34], 2, v[5:6]
	v_add_nc_u32_e32 v5, 9, v8
	s_delay_alu instid0(VALU_DEP_1) | instskip(SKIP_1) | instid1(VALU_DEP_4)
	v_lshlrev_b64 v[37:38], 2, v[5:6]
	v_add_nc_u32_e32 v5, -4, v3
	v_add_co_u32 v33, vcc_lo, s8, v33
	v_add_co_ci_u32_e32 v34, vcc_lo, s9, v34, vcc_lo
	s_delay_alu instid0(VALU_DEP_3) | instskip(SKIP_3) | instid1(VALU_DEP_3)
	v_lshlrev_b64 v[35:36], 2, v[5:6]
	v_add_nc_u32_e32 v5, 10, v8
	v_add_co_u32 v37, vcc_lo, s10, v37
	v_add_co_ci_u32_e32 v38, vcc_lo, s11, v38, vcc_lo
	v_lshlrev_b64 v[39:40], 2, v[5:6]
	v_add_co_u32 v35, vcc_lo, s8, v35
	v_add_co_ci_u32_e32 v36, vcc_lo, s9, v36, vcc_lo
	v_add_nc_u32_e32 v5, -2, v3
	s_delay_alu instid0(VALU_DEP_4)
	v_add_co_u32 v39, vcc_lo, s10, v39
	v_add_co_ci_u32_e32 v40, vcc_lo, s11, v40, vcc_lo
	global_load_b32 v52, v[37:38], off
	s_clause 0x1
	global_load_b64 v[33:34], v[33:34], off
	global_load_b64 v[35:36], v[35:36], off
	global_load_b32 v39, v[39:40], off
	v_lshlrev_b64 v[37:38], 2, v[5:6]
	v_add_nc_u32_e32 v5, 11, v8
	v_add_nc_u32_e32 v3, 0xd0, v3
	s_delay_alu instid0(VALU_DEP_2) | instskip(SKIP_3) | instid1(VALU_DEP_3)
	v_lshlrev_b64 v[41:42], 2, v[5:6]
	v_add_nc_u32_e32 v5, 12, v8
	v_add_co_u32 v8, vcc_lo, s8, v37
	v_add_co_ci_u32_e32 v9, vcc_lo, s9, v38, vcc_lo
	v_lshlrev_b64 v[4:5], 2, v[5:6]
	v_add_co_u32 v37, vcc_lo, s10, v41
	v_add_co_ci_u32_e32 v38, vcc_lo, s11, v42, vcc_lo
	global_load_b64 v[8:9], v[8:9], off
	global_load_b32 v37, v[37:38], off
	v_add_co_u32 v4, vcc_lo, s10, v4
	v_add_co_ci_u32_e32 v5, vcc_lo, s11, v5, vcc_lo
	global_load_b64 v[15:16], v[15:16], off
	global_load_b32 v4, v[4:5], off
	v_cmp_ge_i32_e32 vcc_lo, v7, v12
	s_or_b32 s5, vcc_lo, s5
	s_waitcnt vmcnt(20)
	v_fmac_f32_e32 v10, v21, v45
	s_waitcnt vmcnt(17)
	s_delay_alu instid0(VALU_DEP_1) | instskip(SKIP_1) | instid1(VALU_DEP_1)
	v_dual_fmac_f32 v11, v22, v45 :: v_dual_fmac_f32 v10, v19, v46
	s_waitcnt vmcnt(16)
	v_dual_fmac_f32 v11, v20, v46 :: v_dual_fmac_f32 v10, v23, v47
	s_waitcnt vmcnt(14)
	s_delay_alu instid0(VALU_DEP_1) | instskip(SKIP_1) | instid1(VALU_DEP_1)
	v_dual_fmac_f32 v11, v24, v47 :: v_dual_fmac_f32 v10, v25, v48
	s_waitcnt vmcnt(12)
	v_dual_fmac_f32 v11, v26, v48 :: v_dual_fmac_f32 v10, v27, v49
	;; [unrolled: 5-line block ×4, first 2 shown]
	s_delay_alu instid0(VALU_DEP_1) | instskip(SKIP_1) | instid1(VALU_DEP_2)
	v_fmac_f32_e32 v11, v36, v39
	s_waitcnt vmcnt(2)
	v_fmac_f32_e32 v10, v8, v37
	s_waitcnt vmcnt(0)
	s_delay_alu instid0(VALU_DEP_1) | instskip(NEXT) | instid1(VALU_DEP_1)
	v_dual_fmac_f32 v11, v9, v37 :: v_dual_fmac_f32 v10, v15, v4
	v_fmac_f32_e32 v11, v16, v4
	s_and_not1_b32 exec_lo, exec_lo, s5
	s_cbranch_execnz .LBB56_9
; %bb.10:
	s_or_b32 exec_lo, exec_lo, s5
.LBB56_11:
	s_delay_alu instid0(SALU_CYCLE_1) | instskip(NEXT) | instid1(SALU_CYCLE_1)
	s_or_b32 exec_lo, exec_lo, s4
	s_and_not1_b32 vcc_lo, exec_lo, s3
	s_cbranch_vccz .LBB56_13
	s_branch .LBB56_18
.LBB56_12:
                                        ; implicit-def: $vgpr10
                                        ; implicit-def: $vgpr11
.LBB56_13:
	v_dual_mov_b32 v10, 0 :: v_dual_mov_b32 v11, 0
	s_delay_alu instid0(VALU_DEP_2)
	s_and_saveexec_b32 s3, s2
	s_cbranch_execz .LBB56_17
; %bb.14:
	v_mad_u64_u32 v[4:5], null, v2, 26, 25
	v_dual_mov_b32 v7, 0 :: v_dual_mov_b32 v10, 0
	v_mov_b32_e32 v11, 0
	s_mov_b32 s2, 0
.LBB56_15:                              ; =>This Inner Loop Header: Depth=1
	v_ashrrev_i32_e32 v3, 31, v2
	s_delay_alu instid0(VALU_DEP_3) | instskip(NEXT) | instid1(VALU_DEP_2)
	v_dual_mov_b32 v14, v7 :: v_dual_add_nc_u32 v13, -12, v4
	v_lshlrev_b64 v[5:6], 2, v[2:3]
	v_add_nc_u32_e32 v2, 8, v2
	s_delay_alu instid0(VALU_DEP_3) | instskip(NEXT) | instid1(VALU_DEP_3)
	v_lshlrev_b64 v[13:14], 2, v[13:14]
	v_add_co_u32 v5, vcc_lo, s6, v5
	s_delay_alu instid0(VALU_DEP_4) | instskip(SKIP_3) | instid1(VALU_DEP_2)
	v_add_co_ci_u32_e32 v6, vcc_lo, s7, v6, vcc_lo
	global_load_b32 v3, v[5:6], off
	v_subrev_nc_u32_e32 v6, 25, v4
	v_mov_b32_e32 v5, v7
	v_lshlrev_b64 v[15:16], 2, v[6:7]
	s_delay_alu instid0(VALU_DEP_2) | instskip(NEXT) | instid1(VALU_DEP_2)
	v_lshlrev_b64 v[5:6], 2, v[4:5]
	v_add_co_u32 v15, vcc_lo, s8, v15
	s_delay_alu instid0(VALU_DEP_3)
	v_add_co_ci_u32_e32 v16, vcc_lo, s9, v16, vcc_lo
	v_add_co_u32 v13, vcc_lo, s8, v13
	v_add_co_ci_u32_e32 v14, vcc_lo, s9, v14, vcc_lo
	v_add_co_u32 v17, vcc_lo, s8, v5
	v_add_co_ci_u32_e32 v18, vcc_lo, s9, v6, vcc_lo
	s_clause 0x1
	global_load_b64 v[15:16], v[15:16], off
	global_load_b32 v23, v[13:14], off
	s_waitcnt vmcnt(2)
	v_subrev_nc_u32_e32 v3, s18, v3
	s_delay_alu instid0(VALU_DEP_1) | instskip(NEXT) | instid1(VALU_DEP_1)
	v_mul_lo_u32 v8, v3, 13
	v_dual_mov_b32 v9, v7 :: v_dual_add_nc_u32 v6, 1, v8
	s_delay_alu instid0(VALU_DEP_1) | instskip(NEXT) | instid1(VALU_DEP_2)
	v_lshlrev_b64 v[13:14], 2, v[8:9]
	v_lshlrev_b64 v[19:20], 2, v[6:7]
	v_add_nc_u32_e32 v6, -11, v4
	s_delay_alu instid0(VALU_DEP_3) | instskip(NEXT) | instid1(VALU_DEP_4)
	v_add_co_u32 v13, vcc_lo, s10, v13
	v_add_co_ci_u32_e32 v14, vcc_lo, s11, v14, vcc_lo
	s_delay_alu instid0(VALU_DEP_3)
	v_lshlrev_b64 v[21:22], 2, v[6:7]
	v_subrev_nc_u32_e32 v6, 23, v4
	global_load_b32 v3, v[13:14], off
	v_add_co_u32 v13, vcc_lo, s10, v19
	v_add_co_ci_u32_e32 v14, vcc_lo, s11, v20, vcc_lo
	v_add_co_u32 v21, vcc_lo, s8, v21
	v_add_co_ci_u32_e32 v22, vcc_lo, s9, v22, vcc_lo
	global_load_b32 v24, v[13:14], off
	v_lshlrev_b64 v[19:20], 2, v[6:7]
	v_add_nc_u32_e32 v6, 2, v8
	global_load_b32 v25, v[21:22], off
	v_add_co_u32 v19, vcc_lo, s8, v19
	v_add_co_ci_u32_e32 v20, vcc_lo, s9, v20, vcc_lo
	global_load_b32 v26, v[19:20], off
	s_waitcnt vmcnt(3)
	v_fmac_f32_e32 v11, v23, v3
	v_lshlrev_b64 v[13:14], 2, v[6:7]
	v_fmac_f32_e32 v10, v15, v3
	s_delay_alu instid0(VALU_DEP_2) | instskip(NEXT) | instid1(VALU_DEP_3)
	v_add_co_u32 v13, vcc_lo, s10, v13
	v_add_co_ci_u32_e32 v14, vcc_lo, s11, v14, vcc_lo
	s_waitcnt vmcnt(1)
	v_fmac_f32_e32 v11, v25, v24
	v_fmac_f32_e32 v10, v16, v24
	global_load_b32 v27, v[13:14], off
	v_add_nc_u32_e32 v6, -10, v4
	s_delay_alu instid0(VALU_DEP_1) | instskip(SKIP_1) | instid1(VALU_DEP_2)
	v_lshlrev_b64 v[21:22], 2, v[6:7]
	v_subrev_nc_u32_e32 v6, 22, v4
	v_add_co_u32 v13, vcc_lo, s8, v21
	s_delay_alu instid0(VALU_DEP_3) | instskip(SKIP_2) | instid1(VALU_DEP_1)
	v_add_co_ci_u32_e32 v14, vcc_lo, s9, v22, vcc_lo
	global_load_b32 v28, v[13:14], off
	v_lshlrev_b64 v[19:20], 2, v[6:7]
	v_add_co_u32 v19, vcc_lo, s8, v19
	s_delay_alu instid0(VALU_DEP_2) | instskip(SKIP_3) | instid1(VALU_DEP_1)
	v_add_co_ci_u32_e32 v20, vcc_lo, s9, v20, vcc_lo
	global_load_b32 v29, v[19:20], off
	s_waitcnt vmcnt(1)
	v_dual_fmac_f32 v11, v28, v27 :: v_dual_add_nc_u32 v6, 3, v8
	v_lshlrev_b64 v[21:22], 2, v[6:7]
	v_add_nc_u32_e32 v6, -9, v4
	s_delay_alu instid0(VALU_DEP_1) | instskip(SKIP_1) | instid1(VALU_DEP_4)
	v_lshlrev_b64 v[13:14], 2, v[6:7]
	v_subrev_nc_u32_e32 v6, 21, v4
	v_add_co_u32 v19, vcc_lo, s10, v21
	v_add_co_ci_u32_e32 v20, vcc_lo, s11, v22, vcc_lo
	s_delay_alu instid0(VALU_DEP_3)
	v_lshlrev_b64 v[21:22], 2, v[6:7]
	v_add_nc_u32_e32 v6, 4, v8
	v_add_co_u32 v13, vcc_lo, s8, v13
	v_add_co_ci_u32_e32 v14, vcc_lo, s9, v14, vcc_lo
	global_load_b32 v30, v[19:20], off
	v_lshlrev_b64 v[19:20], 2, v[6:7]
	v_add_nc_u32_e32 v6, -8, v4
	global_load_b32 v31, v[13:14], off
	v_add_co_u32 v13, vcc_lo, s8, v21
	v_add_co_ci_u32_e32 v14, vcc_lo, s9, v22, vcc_lo
	v_lshlrev_b64 v[21:22], 2, v[6:7]
	v_subrev_nc_u32_e32 v6, 20, v4
	v_add_co_u32 v19, vcc_lo, s10, v19
	v_add_co_ci_u32_e32 v20, vcc_lo, s11, v20, vcc_lo
	global_load_b32 v32, v[13:14], off
	v_lshlrev_b64 v[13:14], 2, v[6:7]
	v_add_nc_u32_e32 v6, 5, v8
	global_load_b32 v33, v[19:20], off
	v_add_co_u32 v19, vcc_lo, s8, v21
	v_add_co_ci_u32_e32 v20, vcc_lo, s9, v22, vcc_lo
	v_add_co_u32 v13, vcc_lo, s8, v13
	v_lshlrev_b64 v[21:22], 2, v[6:7]
	v_add_nc_u32_e32 v6, -7, v4
	v_add_co_ci_u32_e32 v14, vcc_lo, s9, v14, vcc_lo
	s_clause 0x1
	global_load_b32 v34, v[19:20], off
	global_load_b32 v35, v[13:14], off
	v_lshlrev_b64 v[19:20], 2, v[6:7]
	v_subrev_nc_u32_e32 v6, 19, v4
	v_add_co_u32 v13, vcc_lo, s10, v21
	v_add_co_ci_u32_e32 v14, vcc_lo, s11, v22, vcc_lo
	s_delay_alu instid0(VALU_DEP_3)
	v_lshlrev_b64 v[21:22], 2, v[6:7]
	v_add_nc_u32_e32 v6, 6, v8
	v_add_co_u32 v19, vcc_lo, s8, v19
	v_add_co_ci_u32_e32 v20, vcc_lo, s9, v20, vcc_lo
	global_load_b32 v36, v[13:14], off
	v_lshlrev_b64 v[13:14], 2, v[6:7]
	v_add_nc_u32_e32 v6, -6, v4
	global_load_b32 v37, v[19:20], off
	v_add_co_u32 v19, vcc_lo, s8, v21
	v_add_co_ci_u32_e32 v20, vcc_lo, s9, v22, vcc_lo
	v_add_co_u32 v13, vcc_lo, s10, v13
	v_lshlrev_b64 v[21:22], 2, v[6:7]
	v_add_co_ci_u32_e32 v14, vcc_lo, s11, v14, vcc_lo
	v_subrev_nc_u32_e32 v6, 18, v4
	global_load_b32 v38, v[19:20], off
	global_load_b32 v39, v[13:14], off
	v_add_co_u32 v13, vcc_lo, s8, v21
	v_add_co_ci_u32_e32 v14, vcc_lo, s9, v22, vcc_lo
	global_load_b32 v40, v[13:14], off
	v_lshlrev_b64 v[19:20], 2, v[6:7]
	v_add_nc_u32_e32 v6, 7, v8
	s_delay_alu instid0(VALU_DEP_1) | instskip(SKIP_1) | instid1(VALU_DEP_4)
	v_lshlrev_b64 v[21:22], 2, v[6:7]
	v_add_nc_u32_e32 v6, -5, v4
	v_add_co_u32 v19, vcc_lo, s8, v19
	v_add_co_ci_u32_e32 v20, vcc_lo, s9, v20, vcc_lo
	s_delay_alu instid0(VALU_DEP_3)
	v_lshlrev_b64 v[13:14], 2, v[6:7]
	v_subrev_nc_u32_e32 v6, 17, v4
	global_load_b32 v41, v[19:20], off
	v_add_co_u32 v19, vcc_lo, s10, v21
	v_add_co_ci_u32_e32 v20, vcc_lo, s11, v22, vcc_lo
	v_lshlrev_b64 v[21:22], 2, v[6:7]
	v_add_nc_u32_e32 v6, 8, v8
	v_add_co_u32 v13, vcc_lo, s8, v13
	v_add_co_ci_u32_e32 v14, vcc_lo, s9, v14, vcc_lo
	global_load_b32 v42, v[19:20], off
	v_lshlrev_b64 v[19:20], 2, v[6:7]
	v_add_nc_u32_e32 v6, -4, v4
	global_load_b32 v43, v[13:14], off
	v_add_co_u32 v13, vcc_lo, s8, v21
	v_add_co_ci_u32_e32 v14, vcc_lo, s9, v22, vcc_lo
	v_lshlrev_b64 v[21:22], 2, v[6:7]
	v_add_nc_u32_e32 v6, -16, v4
	v_add_co_u32 v19, vcc_lo, s10, v19
	v_add_co_ci_u32_e32 v20, vcc_lo, s11, v20, vcc_lo
	global_load_b32 v44, v[13:14], off
	v_lshlrev_b64 v[13:14], 2, v[6:7]
	v_add_nc_u32_e32 v6, 9, v8
	global_load_b32 v45, v[19:20], off
	v_add_co_u32 v19, vcc_lo, s8, v21
	v_add_co_ci_u32_e32 v20, vcc_lo, s9, v22, vcc_lo
	v_add_co_u32 v13, vcc_lo, s8, v13
	v_lshlrev_b64 v[21:22], 2, v[6:7]
	v_add_nc_u32_e32 v6, -3, v4
	v_add_co_ci_u32_e32 v14, vcc_lo, s9, v14, vcc_lo
	s_clause 0x1
	global_load_b32 v46, v[19:20], off
	global_load_b32 v47, v[13:14], off
	v_lshlrev_b64 v[19:20], 2, v[6:7]
	v_add_nc_u32_e32 v6, -15, v4
	v_add_co_u32 v13, vcc_lo, s10, v21
	v_add_co_ci_u32_e32 v14, vcc_lo, s11, v22, vcc_lo
	s_delay_alu instid0(VALU_DEP_3)
	v_lshlrev_b64 v[21:22], 2, v[6:7]
	v_add_nc_u32_e32 v6, 10, v8
	v_add_co_u32 v19, vcc_lo, s8, v19
	v_add_co_ci_u32_e32 v20, vcc_lo, s9, v20, vcc_lo
	global_load_b32 v48, v[13:14], off
	v_lshlrev_b64 v[13:14], 2, v[6:7]
	v_add_nc_u32_e32 v6, -2, v4
	global_load_b32 v49, v[19:20], off
	v_add_co_u32 v19, vcc_lo, s8, v21
	v_add_co_ci_u32_e32 v20, vcc_lo, s9, v22, vcc_lo
	v_add_co_u32 v13, vcc_lo, s10, v13
	v_lshlrev_b64 v[21:22], 2, v[6:7]
	v_add_co_ci_u32_e32 v14, vcc_lo, s11, v14, vcc_lo
	v_add_nc_u32_e32 v6, -14, v4
	global_load_b32 v50, v[19:20], off
	global_load_b32 v51, v[13:14], off
	v_add_co_u32 v13, vcc_lo, s8, v21
	v_add_co_ci_u32_e32 v14, vcc_lo, s9, v22, vcc_lo
	global_load_b32 v52, v[13:14], off
	v_lshlrev_b64 v[19:20], 2, v[6:7]
	v_add_nc_u32_e32 v6, 11, v8
	s_delay_alu instid0(VALU_DEP_1) | instskip(SKIP_1) | instid1(VALU_DEP_4)
	v_lshlrev_b64 v[21:22], 2, v[6:7]
	v_add_nc_u32_e32 v6, -1, v4
	v_add_co_u32 v19, vcc_lo, s8, v19
	v_add_co_ci_u32_e32 v20, vcc_lo, s9, v20, vcc_lo
	s_delay_alu instid0(VALU_DEP_3)
	v_lshlrev_b64 v[13:14], 2, v[6:7]
	v_add_nc_u32_e32 v6, -13, v4
	v_add_nc_u32_e32 v4, 0xd0, v4
	global_load_b32 v53, v[19:20], off
	v_add_co_u32 v19, vcc_lo, s10, v21
	v_add_co_ci_u32_e32 v20, vcc_lo, s11, v22, vcc_lo
	v_lshlrev_b64 v[21:22], 2, v[6:7]
	v_add_nc_u32_e32 v6, 12, v8
	v_add_co_u32 v8, vcc_lo, s8, v13
	v_add_co_ci_u32_e32 v9, vcc_lo, s9, v14, vcc_lo
	s_delay_alu instid0(VALU_DEP_3)
	v_lshlrev_b64 v[5:6], 2, v[6:7]
	global_load_b32 v13, v[19:20], off
	global_load_b32 v14, v[8:9], off
	v_add_co_u32 v8, vcc_lo, s8, v21
	v_add_co_ci_u32_e32 v9, vcc_lo, s9, v22, vcc_lo
	v_add_co_u32 v5, vcc_lo, s10, v5
	v_add_co_ci_u32_e32 v6, vcc_lo, s11, v6, vcc_lo
	s_clause 0x1
	global_load_b32 v17, v[17:18], off
	global_load_b32 v8, v[8:9], off
	;; [unrolled: 1-line block ×3, first 2 shown]
	v_cmp_ge_i32_e32 vcc_lo, v2, v12
	s_or_b32 s2, vcc_lo, s2
	s_waitcnt vmcnt(27)
	v_fmac_f32_e32 v11, v31, v30
	s_waitcnt vmcnt(24)
	s_delay_alu instid0(VALU_DEP_1) | instskip(SKIP_1) | instid1(VALU_DEP_1)
	v_fmac_f32_e32 v11, v34, v33
	s_waitcnt vmcnt(21)
	v_dual_fmac_f32 v10, v26, v27 :: v_dual_fmac_f32 v11, v37, v36
	s_waitcnt vmcnt(18)
	s_delay_alu instid0(VALU_DEP_1) | instskip(SKIP_1) | instid1(VALU_DEP_1)
	v_dual_fmac_f32 v10, v29, v30 :: v_dual_fmac_f32 v11, v40, v39
	s_waitcnt vmcnt(15)
	v_fmac_f32_e32 v11, v43, v42
	s_waitcnt vmcnt(12)
	s_delay_alu instid0(VALU_DEP_1) | instskip(SKIP_1) | instid1(VALU_DEP_1)
	v_fmac_f32_e32 v11, v46, v45
	s_waitcnt vmcnt(9)
	v_dual_fmac_f32 v10, v32, v33 :: v_dual_fmac_f32 v11, v49, v48
	s_delay_alu instid0(VALU_DEP_1) | instskip(NEXT) | instid1(VALU_DEP_1)
	v_fmac_f32_e32 v10, v35, v36
	v_fmac_f32_e32 v10, v38, v39
	s_delay_alu instid0(VALU_DEP_1) | instskip(NEXT) | instid1(VALU_DEP_1)
	v_fmac_f32_e32 v10, v41, v42
	v_fmac_f32_e32 v10, v44, v45
	s_waitcnt vmcnt(6)
	s_delay_alu instid0(VALU_DEP_1) | instskip(NEXT) | instid1(VALU_DEP_1)
	v_dual_fmac_f32 v10, v47, v48 :: v_dual_fmac_f32 v11, v52, v51
	v_fmac_f32_e32 v10, v50, v51
	s_waitcnt vmcnt(4)
	s_delay_alu instid0(VALU_DEP_1) | instskip(SKIP_3) | instid1(VALU_DEP_2)
	v_fmac_f32_e32 v10, v53, v13
	s_waitcnt vmcnt(3)
	v_fmac_f32_e32 v11, v14, v13
	s_waitcnt vmcnt(0)
	v_fmac_f32_e32 v10, v8, v5
	s_delay_alu instid0(VALU_DEP_2)
	v_fmac_f32_e32 v11, v17, v5
	s_and_not1_b32 exec_lo, exec_lo, s2
	s_cbranch_execnz .LBB56_15
; %bb.16:
	s_or_b32 exec_lo, exec_lo, s2
.LBB56_17:
	s_delay_alu instid0(SALU_CYCLE_1)
	s_or_b32 exec_lo, exec_lo, s3
.LBB56_18:
	v_mbcnt_lo_u32_b32 v2, -1, 0
	s_mov_b32 s2, -1
	s_delay_alu instid0(VALU_DEP_1) | instskip(SKIP_2) | instid1(VALU_DEP_3)
	v_xor_b32_e32 v3, 4, v2
	v_xor_b32_e32 v5, 2, v2
	;; [unrolled: 1-line block ×3, first 2 shown]
	v_cmp_gt_i32_e32 vcc_lo, 32, v3
	v_cndmask_b32_e32 v3, v2, v3, vcc_lo
	s_delay_alu instid0(VALU_DEP_4) | instskip(NEXT) | instid1(VALU_DEP_2)
	v_cmp_gt_i32_e32 vcc_lo, 32, v5
	v_lshlrev_b32_e32 v3, 2, v3
	v_cndmask_b32_e32 v5, v2, v5, vcc_lo
	v_cmp_gt_i32_e32 vcc_lo, 32, v7
	ds_bpermute_b32 v4, v3, v10
	v_dual_cndmask_b32 v2, v2, v7 :: v_dual_lshlrev_b32 v5, 2, v5
	v_cmp_eq_u32_e32 vcc_lo, 7, v0
	s_waitcnt lgkmcnt(0)
	s_delay_alu instid0(VALU_DEP_2)
	v_dual_add_f32 v4, v10, v4 :: v_dual_lshlrev_b32 v7, 2, v2
	ds_bpermute_b32 v3, v3, v11
	ds_bpermute_b32 v6, v5, v4
	s_waitcnt lgkmcnt(0)
	v_dual_add_f32 v3, v11, v3 :: v_dual_add_f32 v2, v4, v6
	ds_bpermute_b32 v5, v5, v3
	ds_bpermute_b32 v4, v7, v2
	s_waitcnt lgkmcnt(1)
	v_add_f32_e32 v3, v3, v5
	ds_bpermute_b32 v5, v7, v3
	s_and_b32 exec_lo, exec_lo, vcc_lo
	s_cbranch_execz .LBB56_23
; %bb.19:
	s_load_b64 s[0:1], s[0:1], 0x38
	s_waitcnt lgkmcnt(0)
	v_dual_add_f32 v0, v2, v4 :: v_dual_add_f32 v3, v3, v5
	v_cmp_eq_f32_e64 s3, s12, 0
	s_delay_alu instid0(VALU_DEP_2) | instskip(SKIP_1) | instid1(VALU_DEP_3)
	v_dual_mul_f32 v2, s16, v0 :: v_dual_mul_f32 v3, s16, v3
	v_lshlrev_b32_e32 v0, 1, v1
	s_and_b32 vcc_lo, exec_lo, s3
	s_cbranch_vccz .LBB56_21
; %bb.20:
	s_delay_alu instid0(VALU_DEP_1) | instskip(SKIP_1) | instid1(VALU_DEP_1)
	v_ashrrev_i32_e32 v1, 31, v0
	s_mov_b32 s2, 0
	v_lshlrev_b64 v[4:5], 2, v[0:1]
	s_delay_alu instid0(VALU_DEP_1) | instskip(NEXT) | instid1(VALU_DEP_2)
	v_add_co_u32 v4, vcc_lo, s0, v4
	v_add_co_ci_u32_e32 v5, vcc_lo, s1, v5, vcc_lo
	global_store_b64 v[4:5], v[2:3], off
.LBB56_21:
	s_and_not1_b32 vcc_lo, exec_lo, s2
	s_cbranch_vccnz .LBB56_23
; %bb.22:
	v_ashrrev_i32_e32 v1, 31, v0
	s_delay_alu instid0(VALU_DEP_1) | instskip(NEXT) | instid1(VALU_DEP_1)
	v_lshlrev_b64 v[0:1], 2, v[0:1]
	v_add_co_u32 v0, vcc_lo, s0, v0
	s_delay_alu instid0(VALU_DEP_2)
	v_add_co_ci_u32_e32 v1, vcc_lo, s1, v1, vcc_lo
	global_load_b64 v[4:5], v[0:1], off
	s_waitcnt vmcnt(0)
	v_dual_fmac_f32 v2, s12, v4 :: v_dual_fmac_f32 v3, s12, v5
	global_store_b64 v[0:1], v[2:3], off
.LBB56_23:
	s_nop 0
	s_sendmsg sendmsg(MSG_DEALLOC_VGPRS)
	s_endpgm
	.section	.rodata,"a",@progbits
	.p2align	6, 0x0
	.amdhsa_kernel _ZN9rocsparseL19gebsrmvn_2xn_kernelILj128ELj13ELj8EfEEvi20rocsparse_direction_NS_24const_host_device_scalarIT2_EEPKiS6_PKS3_S8_S4_PS3_21rocsparse_index_base_b
		.amdhsa_group_segment_fixed_size 0
		.amdhsa_private_segment_fixed_size 0
		.amdhsa_kernarg_size 72
		.amdhsa_user_sgpr_count 15
		.amdhsa_user_sgpr_dispatch_ptr 0
		.amdhsa_user_sgpr_queue_ptr 0
		.amdhsa_user_sgpr_kernarg_segment_ptr 1
		.amdhsa_user_sgpr_dispatch_id 0
		.amdhsa_user_sgpr_private_segment_size 0
		.amdhsa_wavefront_size32 1
		.amdhsa_uses_dynamic_stack 0
		.amdhsa_enable_private_segment 0
		.amdhsa_system_sgpr_workgroup_id_x 1
		.amdhsa_system_sgpr_workgroup_id_y 0
		.amdhsa_system_sgpr_workgroup_id_z 0
		.amdhsa_system_sgpr_workgroup_info 0
		.amdhsa_system_vgpr_workitem_id 0
		.amdhsa_next_free_vgpr 54
		.amdhsa_next_free_sgpr 20
		.amdhsa_reserve_vcc 1
		.amdhsa_float_round_mode_32 0
		.amdhsa_float_round_mode_16_64 0
		.amdhsa_float_denorm_mode_32 3
		.amdhsa_float_denorm_mode_16_64 3
		.amdhsa_dx10_clamp 1
		.amdhsa_ieee_mode 1
		.amdhsa_fp16_overflow 0
		.amdhsa_workgroup_processor_mode 1
		.amdhsa_memory_ordered 1
		.amdhsa_forward_progress 0
		.amdhsa_shared_vgpr_count 0
		.amdhsa_exception_fp_ieee_invalid_op 0
		.amdhsa_exception_fp_denorm_src 0
		.amdhsa_exception_fp_ieee_div_zero 0
		.amdhsa_exception_fp_ieee_overflow 0
		.amdhsa_exception_fp_ieee_underflow 0
		.amdhsa_exception_fp_ieee_inexact 0
		.amdhsa_exception_int_div_zero 0
	.end_amdhsa_kernel
	.section	.text._ZN9rocsparseL19gebsrmvn_2xn_kernelILj128ELj13ELj8EfEEvi20rocsparse_direction_NS_24const_host_device_scalarIT2_EEPKiS6_PKS3_S8_S4_PS3_21rocsparse_index_base_b,"axG",@progbits,_ZN9rocsparseL19gebsrmvn_2xn_kernelILj128ELj13ELj8EfEEvi20rocsparse_direction_NS_24const_host_device_scalarIT2_EEPKiS6_PKS3_S8_S4_PS3_21rocsparse_index_base_b,comdat
.Lfunc_end56:
	.size	_ZN9rocsparseL19gebsrmvn_2xn_kernelILj128ELj13ELj8EfEEvi20rocsparse_direction_NS_24const_host_device_scalarIT2_EEPKiS6_PKS3_S8_S4_PS3_21rocsparse_index_base_b, .Lfunc_end56-_ZN9rocsparseL19gebsrmvn_2xn_kernelILj128ELj13ELj8EfEEvi20rocsparse_direction_NS_24const_host_device_scalarIT2_EEPKiS6_PKS3_S8_S4_PS3_21rocsparse_index_base_b
                                        ; -- End function
	.section	.AMDGPU.csdata,"",@progbits
; Kernel info:
; codeLenInByte = 3504
; NumSgprs: 22
; NumVgprs: 54
; ScratchSize: 0
; MemoryBound: 0
; FloatMode: 240
; IeeeMode: 1
; LDSByteSize: 0 bytes/workgroup (compile time only)
; SGPRBlocks: 2
; VGPRBlocks: 6
; NumSGPRsForWavesPerEU: 22
; NumVGPRsForWavesPerEU: 54
; Occupancy: 16
; WaveLimiterHint : 1
; COMPUTE_PGM_RSRC2:SCRATCH_EN: 0
; COMPUTE_PGM_RSRC2:USER_SGPR: 15
; COMPUTE_PGM_RSRC2:TRAP_HANDLER: 0
; COMPUTE_PGM_RSRC2:TGID_X_EN: 1
; COMPUTE_PGM_RSRC2:TGID_Y_EN: 0
; COMPUTE_PGM_RSRC2:TGID_Z_EN: 0
; COMPUTE_PGM_RSRC2:TIDIG_COMP_CNT: 0
	.section	.text._ZN9rocsparseL19gebsrmvn_2xn_kernelILj128ELj13ELj16EfEEvi20rocsparse_direction_NS_24const_host_device_scalarIT2_EEPKiS6_PKS3_S8_S4_PS3_21rocsparse_index_base_b,"axG",@progbits,_ZN9rocsparseL19gebsrmvn_2xn_kernelILj128ELj13ELj16EfEEvi20rocsparse_direction_NS_24const_host_device_scalarIT2_EEPKiS6_PKS3_S8_S4_PS3_21rocsparse_index_base_b,comdat
	.globl	_ZN9rocsparseL19gebsrmvn_2xn_kernelILj128ELj13ELj16EfEEvi20rocsparse_direction_NS_24const_host_device_scalarIT2_EEPKiS6_PKS3_S8_S4_PS3_21rocsparse_index_base_b ; -- Begin function _ZN9rocsparseL19gebsrmvn_2xn_kernelILj128ELj13ELj16EfEEvi20rocsparse_direction_NS_24const_host_device_scalarIT2_EEPKiS6_PKS3_S8_S4_PS3_21rocsparse_index_base_b
	.p2align	8
	.type	_ZN9rocsparseL19gebsrmvn_2xn_kernelILj128ELj13ELj16EfEEvi20rocsparse_direction_NS_24const_host_device_scalarIT2_EEPKiS6_PKS3_S8_S4_PS3_21rocsparse_index_base_b,@function
_ZN9rocsparseL19gebsrmvn_2xn_kernelILj128ELj13ELj16EfEEvi20rocsparse_direction_NS_24const_host_device_scalarIT2_EEPKiS6_PKS3_S8_S4_PS3_21rocsparse_index_base_b: ; @_ZN9rocsparseL19gebsrmvn_2xn_kernelILj128ELj13ELj16EfEEvi20rocsparse_direction_NS_24const_host_device_scalarIT2_EEPKiS6_PKS3_S8_S4_PS3_21rocsparse_index_base_b
; %bb.0:
	s_clause 0x2
	s_load_b64 s[18:19], s[0:1], 0x40
	s_load_b64 s[16:17], s[0:1], 0x8
	;; [unrolled: 1-line block ×3, first 2 shown]
	s_waitcnt lgkmcnt(0)
	s_bitcmp1_b32 s19, 0
	s_cselect_b32 s2, -1, 0
	s_delay_alu instid0(SALU_CYCLE_1)
	s_and_b32 vcc_lo, exec_lo, s2
	s_xor_b32 s2, s2, -1
	s_cbranch_vccnz .LBB57_2
; %bb.1:
	s_load_b32 s16, s[16:17], 0x0
.LBB57_2:
	s_and_not1_b32 vcc_lo, exec_lo, s2
	s_cbranch_vccnz .LBB57_4
; %bb.3:
	s_load_b32 s12, s[12:13], 0x0
.LBB57_4:
	s_waitcnt lgkmcnt(0)
	v_cmp_eq_f32_e64 s2, s16, 0
	v_cmp_eq_f32_e64 s3, s12, 1.0
	s_delay_alu instid0(VALU_DEP_1) | instskip(NEXT) | instid1(SALU_CYCLE_1)
	s_and_b32 s2, s2, s3
	s_and_b32 vcc_lo, exec_lo, s2
	s_cbranch_vccnz .LBB57_23
; %bb.5:
	s_load_b64 s[2:3], s[0:1], 0x0
	v_lshrrev_b32_e32 v1, 4, v0
	s_delay_alu instid0(VALU_DEP_1) | instskip(SKIP_1) | instid1(VALU_DEP_1)
	v_lshl_or_b32 v1, s15, 3, v1
	s_waitcnt lgkmcnt(0)
	v_cmp_gt_i32_e32 vcc_lo, s2, v1
	s_and_saveexec_b32 s2, vcc_lo
	s_cbranch_execz .LBB57_23
; %bb.6:
	s_load_b256 s[4:11], s[0:1], 0x10
	v_ashrrev_i32_e32 v2, 31, v1
	v_and_b32_e32 v0, 15, v0
	s_cmp_lg_u32 s3, 0
	s_delay_alu instid0(VALU_DEP_2) | instskip(SKIP_1) | instid1(VALU_DEP_1)
	v_lshlrev_b64 v[2:3], 2, v[1:2]
	s_waitcnt lgkmcnt(0)
	v_add_co_u32 v2, vcc_lo, s4, v2
	s_delay_alu instid0(VALU_DEP_2) | instskip(SKIP_4) | instid1(VALU_DEP_2)
	v_add_co_ci_u32_e32 v3, vcc_lo, s5, v3, vcc_lo
	global_load_b64 v[2:3], v[2:3], off
	s_waitcnt vmcnt(0)
	v_subrev_nc_u32_e32 v2, s18, v2
	v_subrev_nc_u32_e32 v12, s18, v3
	v_add_nc_u32_e32 v2, v2, v0
	s_delay_alu instid0(VALU_DEP_1)
	v_cmp_lt_i32_e64 s2, v2, v12
	s_cbranch_scc0 .LBB57_12
; %bb.7:
	v_dual_mov_b32 v10, 0 :: v_dual_mov_b32 v11, 0
	s_mov_b32 s3, 0
	s_delay_alu instid0(VALU_DEP_2)
	s_and_saveexec_b32 s4, s2
	s_cbranch_execz .LBB57_11
; %bb.8:
	v_mad_u64_u32 v[3:4], null, v2, 26, 24
	v_dual_mov_b32 v6, 0 :: v_dual_mov_b32 v7, v2
	v_dual_mov_b32 v10, 0 :: v_dual_mov_b32 v11, 0
	s_mov_b32 s5, 0
.LBB57_9:                               ; =>This Inner Loop Header: Depth=1
	s_delay_alu instid0(VALU_DEP_2) | instskip(NEXT) | instid1(VALU_DEP_1)
	v_ashrrev_i32_e32 v8, 31, v7
	v_lshlrev_b64 v[4:5], 2, v[7:8]
	v_add_nc_u32_e32 v7, 16, v7
	s_delay_alu instid0(VALU_DEP_2) | instskip(NEXT) | instid1(VALU_DEP_3)
	v_add_co_u32 v4, vcc_lo, s6, v4
	v_add_co_ci_u32_e32 v5, vcc_lo, s7, v5, vcc_lo
	global_load_b32 v8, v[4:5], off
	v_subrev_nc_u32_e32 v5, 24, v3
	v_mov_b32_e32 v4, v6
	s_delay_alu instid0(VALU_DEP_2) | instskip(SKIP_1) | instid1(VALU_DEP_3)
	v_lshlrev_b64 v[13:14], 2, v[5:6]
	v_subrev_nc_u32_e32 v5, 22, v3
	v_lshlrev_b64 v[15:16], 2, v[3:4]
	s_delay_alu instid0(VALU_DEP_2) | instskip(NEXT) | instid1(VALU_DEP_4)
	v_lshlrev_b64 v[4:5], 2, v[5:6]
	v_add_co_u32 v13, vcc_lo, s8, v13
	v_add_co_ci_u32_e32 v14, vcc_lo, s9, v14, vcc_lo
	s_delay_alu instid0(VALU_DEP_4)
	v_add_co_u32 v15, vcc_lo, s8, v15
	v_add_co_ci_u32_e32 v16, vcc_lo, s9, v16, vcc_lo
	v_add_co_u32 v4, vcc_lo, s8, v4
	v_add_co_ci_u32_e32 v5, vcc_lo, s9, v5, vcc_lo
	s_clause 0x1
	global_load_b64 v[13:14], v[13:14], off
	global_load_b64 v[17:18], v[4:5], off
	v_mov_b32_e32 v9, v6
	s_waitcnt vmcnt(2)
	v_subrev_nc_u32_e32 v4, s18, v8
	s_delay_alu instid0(VALU_DEP_1) | instskip(NEXT) | instid1(VALU_DEP_1)
	v_mul_lo_u32 v8, v4, 13
	v_add_nc_u32_e32 v5, 1, v8
	v_lshlrev_b64 v[19:20], 2, v[8:9]
	s_delay_alu instid0(VALU_DEP_2) | instskip(SKIP_1) | instid1(VALU_DEP_3)
	v_lshlrev_b64 v[21:22], 2, v[5:6]
	v_subrev_nc_u32_e32 v5, 20, v3
	v_add_co_u32 v19, vcc_lo, s10, v19
	s_delay_alu instid0(VALU_DEP_4) | instskip(NEXT) | instid1(VALU_DEP_4)
	v_add_co_ci_u32_e32 v20, vcc_lo, s11, v20, vcc_lo
	v_add_co_u32 v21, vcc_lo, s10, v21
	v_add_co_ci_u32_e32 v22, vcc_lo, s11, v22, vcc_lo
	global_load_b32 v43, v[19:20], off
	v_lshlrev_b64 v[23:24], 2, v[5:6]
	global_load_b32 v44, v[21:22], off
	v_add_co_u32 v21, vcc_lo, s8, v23
	v_add_co_ci_u32_e32 v22, vcc_lo, s9, v24, vcc_lo
	global_load_b64 v[21:22], v[21:22], off
	s_waitcnt vmcnt(2)
	v_fmac_f32_e32 v10, v13, v43
	s_waitcnt vmcnt(1)
	s_delay_alu instid0(VALU_DEP_1) | instskip(SKIP_1) | instid1(VALU_DEP_2)
	v_dual_fmac_f32 v11, v14, v43 :: v_dual_fmac_f32 v10, v17, v44
	v_add_nc_u32_e32 v5, 2, v8
	v_fmac_f32_e32 v11, v18, v44
	s_delay_alu instid0(VALU_DEP_2) | instskip(SKIP_1) | instid1(VALU_DEP_1)
	v_lshlrev_b64 v[19:20], 2, v[5:6]
	v_subrev_nc_u32_e32 v5, 18, v3
	v_lshlrev_b64 v[23:24], 2, v[5:6]
	v_add_nc_u32_e32 v5, 3, v8
	s_delay_alu instid0(VALU_DEP_4) | instskip(SKIP_1) | instid1(VALU_DEP_3)
	v_add_co_u32 v19, vcc_lo, s10, v19
	v_add_co_ci_u32_e32 v20, vcc_lo, s11, v20, vcc_lo
	v_lshlrev_b64 v[25:26], 2, v[5:6]
	v_add_nc_u32_e32 v5, -16, v3
	global_load_b32 v45, v[19:20], off
	v_add_co_u32 v19, vcc_lo, s8, v23
	v_add_co_ci_u32_e32 v20, vcc_lo, s9, v24, vcc_lo
	v_lshlrev_b64 v[23:24], 2, v[5:6]
	v_add_co_u32 v25, vcc_lo, s10, v25
	v_add_co_ci_u32_e32 v26, vcc_lo, s11, v26, vcc_lo
	s_delay_alu instid0(VALU_DEP_3) | instskip(NEXT) | instid1(VALU_DEP_4)
	v_add_co_u32 v23, vcc_lo, s8, v23
	v_add_co_ci_u32_e32 v24, vcc_lo, s9, v24, vcc_lo
	global_load_b32 v46, v[25:26], off
	global_load_b64 v[23:24], v[23:24], off
	v_add_nc_u32_e32 v5, 4, v8
	global_load_b64 v[19:20], v[19:20], off
	v_lshlrev_b64 v[27:28], 2, v[5:6]
	v_add_nc_u32_e32 v5, -14, v3
	s_delay_alu instid0(VALU_DEP_2) | instskip(NEXT) | instid1(VALU_DEP_3)
	v_add_co_u32 v27, vcc_lo, s10, v27
	v_add_co_ci_u32_e32 v28, vcc_lo, s11, v28, vcc_lo
	global_load_b32 v47, v[27:28], off
	v_lshlrev_b64 v[25:26], 2, v[5:6]
	v_add_nc_u32_e32 v5, 5, v8
	s_delay_alu instid0(VALU_DEP_1) | instskip(SKIP_1) | instid1(VALU_DEP_4)
	v_lshlrev_b64 v[29:30], 2, v[5:6]
	v_add_nc_u32_e32 v5, -12, v3
	v_add_co_u32 v25, vcc_lo, s8, v25
	v_add_co_ci_u32_e32 v26, vcc_lo, s9, v26, vcc_lo
	s_delay_alu instid0(VALU_DEP_3) | instskip(SKIP_3) | instid1(VALU_DEP_3)
	v_lshlrev_b64 v[27:28], 2, v[5:6]
	v_add_nc_u32_e32 v5, 6, v8
	v_add_co_u32 v29, vcc_lo, s10, v29
	v_add_co_ci_u32_e32 v30, vcc_lo, s11, v30, vcc_lo
	v_lshlrev_b64 v[31:32], 2, v[5:6]
	v_add_co_u32 v27, vcc_lo, s8, v27
	v_add_co_ci_u32_e32 v28, vcc_lo, s9, v28, vcc_lo
	v_add_nc_u32_e32 v5, -10, v3
	s_delay_alu instid0(VALU_DEP_4)
	v_add_co_u32 v31, vcc_lo, s10, v31
	v_add_co_ci_u32_e32 v32, vcc_lo, s11, v32, vcc_lo
	global_load_b32 v48, v[29:30], off
	s_clause 0x1
	global_load_b64 v[25:26], v[25:26], off
	global_load_b64 v[27:28], v[27:28], off
	global_load_b32 v49, v[31:32], off
	v_lshlrev_b64 v[29:30], 2, v[5:6]
	v_add_nc_u32_e32 v5, 7, v8
	s_delay_alu instid0(VALU_DEP_1) | instskip(SKIP_1) | instid1(VALU_DEP_4)
	v_lshlrev_b64 v[33:34], 2, v[5:6]
	v_add_nc_u32_e32 v5, -8, v3
	v_add_co_u32 v29, vcc_lo, s8, v29
	v_add_co_ci_u32_e32 v30, vcc_lo, s9, v30, vcc_lo
	s_delay_alu instid0(VALU_DEP_3) | instskip(SKIP_3) | instid1(VALU_DEP_3)
	v_lshlrev_b64 v[31:32], 2, v[5:6]
	v_add_nc_u32_e32 v5, 8, v8
	v_add_co_u32 v33, vcc_lo, s10, v33
	v_add_co_ci_u32_e32 v34, vcc_lo, s11, v34, vcc_lo
	v_lshlrev_b64 v[35:36], 2, v[5:6]
	v_add_co_u32 v31, vcc_lo, s8, v31
	v_add_co_ci_u32_e32 v32, vcc_lo, s9, v32, vcc_lo
	v_add_nc_u32_e32 v5, -6, v3
	s_delay_alu instid0(VALU_DEP_4)
	v_add_co_u32 v35, vcc_lo, s10, v35
	v_add_co_ci_u32_e32 v36, vcc_lo, s11, v36, vcc_lo
	global_load_b32 v50, v[33:34], off
	s_clause 0x1
	global_load_b64 v[29:30], v[29:30], off
	global_load_b64 v[31:32], v[31:32], off
	;; [unrolled: 24-line block ×3, first 2 shown]
	global_load_b32 v39, v[39:40], off
	v_lshlrev_b64 v[37:38], 2, v[5:6]
	v_add_nc_u32_e32 v5, 11, v8
	v_add_nc_u32_e32 v3, 0x1a0, v3
	s_delay_alu instid0(VALU_DEP_2) | instskip(SKIP_3) | instid1(VALU_DEP_3)
	v_lshlrev_b64 v[41:42], 2, v[5:6]
	v_add_nc_u32_e32 v5, 12, v8
	v_add_co_u32 v8, vcc_lo, s8, v37
	v_add_co_ci_u32_e32 v9, vcc_lo, s9, v38, vcc_lo
	v_lshlrev_b64 v[4:5], 2, v[5:6]
	v_add_co_u32 v37, vcc_lo, s10, v41
	v_add_co_ci_u32_e32 v38, vcc_lo, s11, v42, vcc_lo
	global_load_b64 v[8:9], v[8:9], off
	global_load_b32 v37, v[37:38], off
	v_add_co_u32 v4, vcc_lo, s10, v4
	v_add_co_ci_u32_e32 v5, vcc_lo, s11, v5, vcc_lo
	global_load_b64 v[15:16], v[15:16], off
	global_load_b32 v4, v[4:5], off
	v_cmp_ge_i32_e32 vcc_lo, v7, v12
	s_or_b32 s5, vcc_lo, s5
	s_waitcnt vmcnt(20)
	v_fmac_f32_e32 v10, v21, v45
	s_waitcnt vmcnt(17)
	s_delay_alu instid0(VALU_DEP_1) | instskip(SKIP_1) | instid1(VALU_DEP_1)
	v_dual_fmac_f32 v11, v22, v45 :: v_dual_fmac_f32 v10, v19, v46
	s_waitcnt vmcnt(16)
	v_dual_fmac_f32 v11, v20, v46 :: v_dual_fmac_f32 v10, v23, v47
	s_waitcnt vmcnt(14)
	s_delay_alu instid0(VALU_DEP_1) | instskip(SKIP_1) | instid1(VALU_DEP_1)
	v_dual_fmac_f32 v11, v24, v47 :: v_dual_fmac_f32 v10, v25, v48
	s_waitcnt vmcnt(12)
	v_dual_fmac_f32 v11, v26, v48 :: v_dual_fmac_f32 v10, v27, v49
	;; [unrolled: 5-line block ×4, first 2 shown]
	s_delay_alu instid0(VALU_DEP_1) | instskip(SKIP_1) | instid1(VALU_DEP_2)
	v_fmac_f32_e32 v11, v36, v39
	s_waitcnt vmcnt(2)
	v_fmac_f32_e32 v10, v8, v37
	s_waitcnt vmcnt(0)
	s_delay_alu instid0(VALU_DEP_1) | instskip(NEXT) | instid1(VALU_DEP_1)
	v_dual_fmac_f32 v11, v9, v37 :: v_dual_fmac_f32 v10, v15, v4
	v_fmac_f32_e32 v11, v16, v4
	s_and_not1_b32 exec_lo, exec_lo, s5
	s_cbranch_execnz .LBB57_9
; %bb.10:
	s_or_b32 exec_lo, exec_lo, s5
.LBB57_11:
	s_delay_alu instid0(SALU_CYCLE_1) | instskip(NEXT) | instid1(SALU_CYCLE_1)
	s_or_b32 exec_lo, exec_lo, s4
	s_and_not1_b32 vcc_lo, exec_lo, s3
	s_cbranch_vccz .LBB57_13
	s_branch .LBB57_18
.LBB57_12:
                                        ; implicit-def: $vgpr10
                                        ; implicit-def: $vgpr11
.LBB57_13:
	v_dual_mov_b32 v10, 0 :: v_dual_mov_b32 v11, 0
	s_delay_alu instid0(VALU_DEP_2)
	s_and_saveexec_b32 s3, s2
	s_cbranch_execz .LBB57_17
; %bb.14:
	v_mad_u64_u32 v[4:5], null, v2, 26, 25
	v_dual_mov_b32 v7, 0 :: v_dual_mov_b32 v10, 0
	v_mov_b32_e32 v11, 0
	s_mov_b32 s2, 0
.LBB57_15:                              ; =>This Inner Loop Header: Depth=1
	v_ashrrev_i32_e32 v3, 31, v2
	s_delay_alu instid0(VALU_DEP_3) | instskip(NEXT) | instid1(VALU_DEP_2)
	v_dual_mov_b32 v14, v7 :: v_dual_add_nc_u32 v13, -12, v4
	v_lshlrev_b64 v[5:6], 2, v[2:3]
	v_add_nc_u32_e32 v2, 16, v2
	s_delay_alu instid0(VALU_DEP_3) | instskip(NEXT) | instid1(VALU_DEP_3)
	v_lshlrev_b64 v[13:14], 2, v[13:14]
	v_add_co_u32 v5, vcc_lo, s6, v5
	s_delay_alu instid0(VALU_DEP_4) | instskip(SKIP_3) | instid1(VALU_DEP_2)
	v_add_co_ci_u32_e32 v6, vcc_lo, s7, v6, vcc_lo
	global_load_b32 v3, v[5:6], off
	v_subrev_nc_u32_e32 v6, 25, v4
	v_mov_b32_e32 v5, v7
	v_lshlrev_b64 v[15:16], 2, v[6:7]
	s_delay_alu instid0(VALU_DEP_2) | instskip(NEXT) | instid1(VALU_DEP_2)
	v_lshlrev_b64 v[5:6], 2, v[4:5]
	v_add_co_u32 v15, vcc_lo, s8, v15
	s_delay_alu instid0(VALU_DEP_3)
	v_add_co_ci_u32_e32 v16, vcc_lo, s9, v16, vcc_lo
	v_add_co_u32 v13, vcc_lo, s8, v13
	v_add_co_ci_u32_e32 v14, vcc_lo, s9, v14, vcc_lo
	v_add_co_u32 v17, vcc_lo, s8, v5
	v_add_co_ci_u32_e32 v18, vcc_lo, s9, v6, vcc_lo
	s_clause 0x1
	global_load_b64 v[15:16], v[15:16], off
	global_load_b32 v23, v[13:14], off
	s_waitcnt vmcnt(2)
	v_subrev_nc_u32_e32 v3, s18, v3
	s_delay_alu instid0(VALU_DEP_1) | instskip(NEXT) | instid1(VALU_DEP_1)
	v_mul_lo_u32 v8, v3, 13
	v_dual_mov_b32 v9, v7 :: v_dual_add_nc_u32 v6, 1, v8
	s_delay_alu instid0(VALU_DEP_1) | instskip(NEXT) | instid1(VALU_DEP_2)
	v_lshlrev_b64 v[13:14], 2, v[8:9]
	v_lshlrev_b64 v[19:20], 2, v[6:7]
	v_add_nc_u32_e32 v6, -11, v4
	s_delay_alu instid0(VALU_DEP_3) | instskip(NEXT) | instid1(VALU_DEP_4)
	v_add_co_u32 v13, vcc_lo, s10, v13
	v_add_co_ci_u32_e32 v14, vcc_lo, s11, v14, vcc_lo
	s_delay_alu instid0(VALU_DEP_3)
	v_lshlrev_b64 v[21:22], 2, v[6:7]
	v_subrev_nc_u32_e32 v6, 23, v4
	global_load_b32 v3, v[13:14], off
	v_add_co_u32 v13, vcc_lo, s10, v19
	v_add_co_ci_u32_e32 v14, vcc_lo, s11, v20, vcc_lo
	v_add_co_u32 v21, vcc_lo, s8, v21
	v_add_co_ci_u32_e32 v22, vcc_lo, s9, v22, vcc_lo
	global_load_b32 v24, v[13:14], off
	v_lshlrev_b64 v[19:20], 2, v[6:7]
	v_add_nc_u32_e32 v6, 2, v8
	global_load_b32 v25, v[21:22], off
	v_add_co_u32 v19, vcc_lo, s8, v19
	v_add_co_ci_u32_e32 v20, vcc_lo, s9, v20, vcc_lo
	global_load_b32 v26, v[19:20], off
	s_waitcnt vmcnt(3)
	v_fmac_f32_e32 v11, v23, v3
	v_lshlrev_b64 v[13:14], 2, v[6:7]
	v_fmac_f32_e32 v10, v15, v3
	s_delay_alu instid0(VALU_DEP_2) | instskip(NEXT) | instid1(VALU_DEP_3)
	v_add_co_u32 v13, vcc_lo, s10, v13
	v_add_co_ci_u32_e32 v14, vcc_lo, s11, v14, vcc_lo
	s_waitcnt vmcnt(1)
	v_fmac_f32_e32 v11, v25, v24
	v_fmac_f32_e32 v10, v16, v24
	global_load_b32 v27, v[13:14], off
	v_add_nc_u32_e32 v6, -10, v4
	s_delay_alu instid0(VALU_DEP_1) | instskip(SKIP_1) | instid1(VALU_DEP_2)
	v_lshlrev_b64 v[21:22], 2, v[6:7]
	v_subrev_nc_u32_e32 v6, 22, v4
	v_add_co_u32 v13, vcc_lo, s8, v21
	s_delay_alu instid0(VALU_DEP_3) | instskip(SKIP_2) | instid1(VALU_DEP_1)
	v_add_co_ci_u32_e32 v14, vcc_lo, s9, v22, vcc_lo
	global_load_b32 v28, v[13:14], off
	v_lshlrev_b64 v[19:20], 2, v[6:7]
	v_add_co_u32 v19, vcc_lo, s8, v19
	s_delay_alu instid0(VALU_DEP_2) | instskip(SKIP_3) | instid1(VALU_DEP_1)
	v_add_co_ci_u32_e32 v20, vcc_lo, s9, v20, vcc_lo
	global_load_b32 v29, v[19:20], off
	s_waitcnt vmcnt(1)
	v_dual_fmac_f32 v11, v28, v27 :: v_dual_add_nc_u32 v6, 3, v8
	v_lshlrev_b64 v[21:22], 2, v[6:7]
	v_add_nc_u32_e32 v6, -9, v4
	s_delay_alu instid0(VALU_DEP_1) | instskip(SKIP_1) | instid1(VALU_DEP_4)
	v_lshlrev_b64 v[13:14], 2, v[6:7]
	v_subrev_nc_u32_e32 v6, 21, v4
	v_add_co_u32 v19, vcc_lo, s10, v21
	v_add_co_ci_u32_e32 v20, vcc_lo, s11, v22, vcc_lo
	s_delay_alu instid0(VALU_DEP_3)
	v_lshlrev_b64 v[21:22], 2, v[6:7]
	v_add_nc_u32_e32 v6, 4, v8
	v_add_co_u32 v13, vcc_lo, s8, v13
	v_add_co_ci_u32_e32 v14, vcc_lo, s9, v14, vcc_lo
	global_load_b32 v30, v[19:20], off
	v_lshlrev_b64 v[19:20], 2, v[6:7]
	v_add_nc_u32_e32 v6, -8, v4
	global_load_b32 v31, v[13:14], off
	v_add_co_u32 v13, vcc_lo, s8, v21
	v_add_co_ci_u32_e32 v14, vcc_lo, s9, v22, vcc_lo
	v_lshlrev_b64 v[21:22], 2, v[6:7]
	v_subrev_nc_u32_e32 v6, 20, v4
	v_add_co_u32 v19, vcc_lo, s10, v19
	v_add_co_ci_u32_e32 v20, vcc_lo, s11, v20, vcc_lo
	global_load_b32 v32, v[13:14], off
	v_lshlrev_b64 v[13:14], 2, v[6:7]
	v_add_nc_u32_e32 v6, 5, v8
	global_load_b32 v33, v[19:20], off
	v_add_co_u32 v19, vcc_lo, s8, v21
	v_add_co_ci_u32_e32 v20, vcc_lo, s9, v22, vcc_lo
	v_add_co_u32 v13, vcc_lo, s8, v13
	v_lshlrev_b64 v[21:22], 2, v[6:7]
	v_add_nc_u32_e32 v6, -7, v4
	v_add_co_ci_u32_e32 v14, vcc_lo, s9, v14, vcc_lo
	s_clause 0x1
	global_load_b32 v34, v[19:20], off
	global_load_b32 v35, v[13:14], off
	v_lshlrev_b64 v[19:20], 2, v[6:7]
	v_subrev_nc_u32_e32 v6, 19, v4
	v_add_co_u32 v13, vcc_lo, s10, v21
	v_add_co_ci_u32_e32 v14, vcc_lo, s11, v22, vcc_lo
	s_delay_alu instid0(VALU_DEP_3)
	v_lshlrev_b64 v[21:22], 2, v[6:7]
	v_add_nc_u32_e32 v6, 6, v8
	v_add_co_u32 v19, vcc_lo, s8, v19
	v_add_co_ci_u32_e32 v20, vcc_lo, s9, v20, vcc_lo
	global_load_b32 v36, v[13:14], off
	v_lshlrev_b64 v[13:14], 2, v[6:7]
	v_add_nc_u32_e32 v6, -6, v4
	global_load_b32 v37, v[19:20], off
	v_add_co_u32 v19, vcc_lo, s8, v21
	v_add_co_ci_u32_e32 v20, vcc_lo, s9, v22, vcc_lo
	v_add_co_u32 v13, vcc_lo, s10, v13
	v_lshlrev_b64 v[21:22], 2, v[6:7]
	v_add_co_ci_u32_e32 v14, vcc_lo, s11, v14, vcc_lo
	v_subrev_nc_u32_e32 v6, 18, v4
	global_load_b32 v38, v[19:20], off
	global_load_b32 v39, v[13:14], off
	v_add_co_u32 v13, vcc_lo, s8, v21
	v_add_co_ci_u32_e32 v14, vcc_lo, s9, v22, vcc_lo
	global_load_b32 v40, v[13:14], off
	v_lshlrev_b64 v[19:20], 2, v[6:7]
	v_add_nc_u32_e32 v6, 7, v8
	s_delay_alu instid0(VALU_DEP_1) | instskip(SKIP_1) | instid1(VALU_DEP_4)
	v_lshlrev_b64 v[21:22], 2, v[6:7]
	v_add_nc_u32_e32 v6, -5, v4
	v_add_co_u32 v19, vcc_lo, s8, v19
	v_add_co_ci_u32_e32 v20, vcc_lo, s9, v20, vcc_lo
	s_delay_alu instid0(VALU_DEP_3)
	v_lshlrev_b64 v[13:14], 2, v[6:7]
	v_subrev_nc_u32_e32 v6, 17, v4
	global_load_b32 v41, v[19:20], off
	v_add_co_u32 v19, vcc_lo, s10, v21
	v_add_co_ci_u32_e32 v20, vcc_lo, s11, v22, vcc_lo
	v_lshlrev_b64 v[21:22], 2, v[6:7]
	v_add_nc_u32_e32 v6, 8, v8
	v_add_co_u32 v13, vcc_lo, s8, v13
	v_add_co_ci_u32_e32 v14, vcc_lo, s9, v14, vcc_lo
	global_load_b32 v42, v[19:20], off
	v_lshlrev_b64 v[19:20], 2, v[6:7]
	v_add_nc_u32_e32 v6, -4, v4
	global_load_b32 v43, v[13:14], off
	v_add_co_u32 v13, vcc_lo, s8, v21
	v_add_co_ci_u32_e32 v14, vcc_lo, s9, v22, vcc_lo
	v_lshlrev_b64 v[21:22], 2, v[6:7]
	v_add_nc_u32_e32 v6, -16, v4
	v_add_co_u32 v19, vcc_lo, s10, v19
	v_add_co_ci_u32_e32 v20, vcc_lo, s11, v20, vcc_lo
	global_load_b32 v44, v[13:14], off
	v_lshlrev_b64 v[13:14], 2, v[6:7]
	v_add_nc_u32_e32 v6, 9, v8
	global_load_b32 v45, v[19:20], off
	v_add_co_u32 v19, vcc_lo, s8, v21
	v_add_co_ci_u32_e32 v20, vcc_lo, s9, v22, vcc_lo
	v_add_co_u32 v13, vcc_lo, s8, v13
	v_lshlrev_b64 v[21:22], 2, v[6:7]
	v_add_nc_u32_e32 v6, -3, v4
	v_add_co_ci_u32_e32 v14, vcc_lo, s9, v14, vcc_lo
	s_clause 0x1
	global_load_b32 v46, v[19:20], off
	global_load_b32 v47, v[13:14], off
	v_lshlrev_b64 v[19:20], 2, v[6:7]
	v_add_nc_u32_e32 v6, -15, v4
	v_add_co_u32 v13, vcc_lo, s10, v21
	v_add_co_ci_u32_e32 v14, vcc_lo, s11, v22, vcc_lo
	s_delay_alu instid0(VALU_DEP_3)
	v_lshlrev_b64 v[21:22], 2, v[6:7]
	v_add_nc_u32_e32 v6, 10, v8
	v_add_co_u32 v19, vcc_lo, s8, v19
	v_add_co_ci_u32_e32 v20, vcc_lo, s9, v20, vcc_lo
	global_load_b32 v48, v[13:14], off
	v_lshlrev_b64 v[13:14], 2, v[6:7]
	v_add_nc_u32_e32 v6, -2, v4
	global_load_b32 v49, v[19:20], off
	v_add_co_u32 v19, vcc_lo, s8, v21
	v_add_co_ci_u32_e32 v20, vcc_lo, s9, v22, vcc_lo
	v_add_co_u32 v13, vcc_lo, s10, v13
	v_lshlrev_b64 v[21:22], 2, v[6:7]
	v_add_co_ci_u32_e32 v14, vcc_lo, s11, v14, vcc_lo
	v_add_nc_u32_e32 v6, -14, v4
	global_load_b32 v50, v[19:20], off
	global_load_b32 v51, v[13:14], off
	v_add_co_u32 v13, vcc_lo, s8, v21
	v_add_co_ci_u32_e32 v14, vcc_lo, s9, v22, vcc_lo
	global_load_b32 v52, v[13:14], off
	v_lshlrev_b64 v[19:20], 2, v[6:7]
	v_add_nc_u32_e32 v6, 11, v8
	s_delay_alu instid0(VALU_DEP_1) | instskip(SKIP_1) | instid1(VALU_DEP_4)
	v_lshlrev_b64 v[21:22], 2, v[6:7]
	v_add_nc_u32_e32 v6, -1, v4
	v_add_co_u32 v19, vcc_lo, s8, v19
	v_add_co_ci_u32_e32 v20, vcc_lo, s9, v20, vcc_lo
	s_delay_alu instid0(VALU_DEP_3)
	v_lshlrev_b64 v[13:14], 2, v[6:7]
	v_add_nc_u32_e32 v6, -13, v4
	v_add_nc_u32_e32 v4, 0x1a0, v4
	global_load_b32 v53, v[19:20], off
	v_add_co_u32 v19, vcc_lo, s10, v21
	v_add_co_ci_u32_e32 v20, vcc_lo, s11, v22, vcc_lo
	v_lshlrev_b64 v[21:22], 2, v[6:7]
	v_add_nc_u32_e32 v6, 12, v8
	v_add_co_u32 v8, vcc_lo, s8, v13
	v_add_co_ci_u32_e32 v9, vcc_lo, s9, v14, vcc_lo
	s_delay_alu instid0(VALU_DEP_3)
	v_lshlrev_b64 v[5:6], 2, v[6:7]
	global_load_b32 v13, v[19:20], off
	global_load_b32 v14, v[8:9], off
	v_add_co_u32 v8, vcc_lo, s8, v21
	v_add_co_ci_u32_e32 v9, vcc_lo, s9, v22, vcc_lo
	v_add_co_u32 v5, vcc_lo, s10, v5
	v_add_co_ci_u32_e32 v6, vcc_lo, s11, v6, vcc_lo
	s_clause 0x1
	global_load_b32 v17, v[17:18], off
	global_load_b32 v8, v[8:9], off
	;; [unrolled: 1-line block ×3, first 2 shown]
	v_cmp_ge_i32_e32 vcc_lo, v2, v12
	s_or_b32 s2, vcc_lo, s2
	s_waitcnt vmcnt(27)
	v_fmac_f32_e32 v11, v31, v30
	s_waitcnt vmcnt(24)
	s_delay_alu instid0(VALU_DEP_1) | instskip(SKIP_1) | instid1(VALU_DEP_1)
	v_fmac_f32_e32 v11, v34, v33
	s_waitcnt vmcnt(21)
	v_dual_fmac_f32 v10, v26, v27 :: v_dual_fmac_f32 v11, v37, v36
	s_waitcnt vmcnt(18)
	s_delay_alu instid0(VALU_DEP_1) | instskip(SKIP_1) | instid1(VALU_DEP_1)
	v_dual_fmac_f32 v10, v29, v30 :: v_dual_fmac_f32 v11, v40, v39
	s_waitcnt vmcnt(15)
	v_fmac_f32_e32 v11, v43, v42
	s_waitcnt vmcnt(12)
	s_delay_alu instid0(VALU_DEP_1) | instskip(SKIP_1) | instid1(VALU_DEP_1)
	v_fmac_f32_e32 v11, v46, v45
	s_waitcnt vmcnt(9)
	v_dual_fmac_f32 v10, v32, v33 :: v_dual_fmac_f32 v11, v49, v48
	s_delay_alu instid0(VALU_DEP_1) | instskip(NEXT) | instid1(VALU_DEP_1)
	v_fmac_f32_e32 v10, v35, v36
	v_fmac_f32_e32 v10, v38, v39
	s_delay_alu instid0(VALU_DEP_1) | instskip(NEXT) | instid1(VALU_DEP_1)
	v_fmac_f32_e32 v10, v41, v42
	v_fmac_f32_e32 v10, v44, v45
	s_waitcnt vmcnt(6)
	s_delay_alu instid0(VALU_DEP_1) | instskip(NEXT) | instid1(VALU_DEP_1)
	v_dual_fmac_f32 v10, v47, v48 :: v_dual_fmac_f32 v11, v52, v51
	v_fmac_f32_e32 v10, v50, v51
	s_waitcnt vmcnt(4)
	s_delay_alu instid0(VALU_DEP_1) | instskip(SKIP_3) | instid1(VALU_DEP_2)
	v_fmac_f32_e32 v10, v53, v13
	s_waitcnt vmcnt(3)
	v_fmac_f32_e32 v11, v14, v13
	s_waitcnt vmcnt(0)
	v_fmac_f32_e32 v10, v8, v5
	s_delay_alu instid0(VALU_DEP_2)
	v_fmac_f32_e32 v11, v17, v5
	s_and_not1_b32 exec_lo, exec_lo, s2
	s_cbranch_execnz .LBB57_15
; %bb.16:
	s_or_b32 exec_lo, exec_lo, s2
.LBB57_17:
	s_delay_alu instid0(SALU_CYCLE_1)
	s_or_b32 exec_lo, exec_lo, s3
.LBB57_18:
	v_mbcnt_lo_u32_b32 v2, -1, 0
	s_mov_b32 s2, -1
	s_delay_alu instid0(VALU_DEP_1) | instskip(SKIP_2) | instid1(VALU_DEP_3)
	v_xor_b32_e32 v3, 8, v2
	v_xor_b32_e32 v5, 4, v2
	;; [unrolled: 1-line block ×3, first 2 shown]
	v_cmp_gt_i32_e32 vcc_lo, 32, v3
	v_cndmask_b32_e32 v3, v2, v3, vcc_lo
	s_delay_alu instid0(VALU_DEP_4) | instskip(NEXT) | instid1(VALU_DEP_2)
	v_cmp_gt_i32_e32 vcc_lo, 32, v5
	v_lshlrev_b32_e32 v3, 2, v3
	v_cndmask_b32_e32 v5, v2, v5, vcc_lo
	v_cmp_gt_i32_e32 vcc_lo, 32, v7
	ds_bpermute_b32 v4, v3, v10
	v_lshlrev_b32_e32 v5, 2, v5
	v_cndmask_b32_e32 v7, v2, v7, vcc_lo
	s_waitcnt lgkmcnt(0)
	s_delay_alu instid0(VALU_DEP_1)
	v_dual_add_f32 v4, v10, v4 :: v_dual_lshlrev_b32 v7, 2, v7
	ds_bpermute_b32 v3, v3, v11
	ds_bpermute_b32 v6, v5, v4
	s_waitcnt lgkmcnt(0)
	v_dual_add_f32 v4, v4, v6 :: v_dual_add_f32 v3, v11, v3
	ds_bpermute_b32 v5, v5, v3
	s_waitcnt lgkmcnt(0)
	v_add_f32_e32 v3, v3, v5
	ds_bpermute_b32 v5, v7, v4
	ds_bpermute_b32 v6, v7, v3
	v_xor_b32_e32 v7, 1, v2
	s_delay_alu instid0(VALU_DEP_1) | instskip(SKIP_3) | instid1(VALU_DEP_2)
	v_cmp_gt_i32_e32 vcc_lo, 32, v7
	v_cndmask_b32_e32 v2, v2, v7, vcc_lo
	v_cmp_eq_u32_e32 vcc_lo, 15, v0
	s_waitcnt lgkmcnt(1)
	v_dual_add_f32 v2, v4, v5 :: v_dual_lshlrev_b32 v7, 2, v2
	s_waitcnt lgkmcnt(0)
	v_add_f32_e32 v3, v3, v6
	ds_bpermute_b32 v4, v7, v2
	ds_bpermute_b32 v5, v7, v3
	s_and_b32 exec_lo, exec_lo, vcc_lo
	s_cbranch_execz .LBB57_23
; %bb.19:
	s_load_b64 s[0:1], s[0:1], 0x38
	s_waitcnt lgkmcnt(0)
	v_dual_add_f32 v0, v2, v4 :: v_dual_add_f32 v3, v3, v5
	v_cmp_eq_f32_e64 s3, s12, 0
	s_delay_alu instid0(VALU_DEP_2) | instskip(SKIP_1) | instid1(VALU_DEP_3)
	v_dual_mul_f32 v2, s16, v0 :: v_dual_mul_f32 v3, s16, v3
	v_lshlrev_b32_e32 v0, 1, v1
	s_and_b32 vcc_lo, exec_lo, s3
	s_cbranch_vccz .LBB57_21
; %bb.20:
	s_delay_alu instid0(VALU_DEP_1) | instskip(SKIP_1) | instid1(VALU_DEP_1)
	v_ashrrev_i32_e32 v1, 31, v0
	s_mov_b32 s2, 0
	v_lshlrev_b64 v[4:5], 2, v[0:1]
	s_delay_alu instid0(VALU_DEP_1) | instskip(NEXT) | instid1(VALU_DEP_2)
	v_add_co_u32 v4, vcc_lo, s0, v4
	v_add_co_ci_u32_e32 v5, vcc_lo, s1, v5, vcc_lo
	global_store_b64 v[4:5], v[2:3], off
.LBB57_21:
	s_and_not1_b32 vcc_lo, exec_lo, s2
	s_cbranch_vccnz .LBB57_23
; %bb.22:
	v_ashrrev_i32_e32 v1, 31, v0
	s_delay_alu instid0(VALU_DEP_1) | instskip(NEXT) | instid1(VALU_DEP_1)
	v_lshlrev_b64 v[0:1], 2, v[0:1]
	v_add_co_u32 v0, vcc_lo, s0, v0
	s_delay_alu instid0(VALU_DEP_2)
	v_add_co_ci_u32_e32 v1, vcc_lo, s1, v1, vcc_lo
	global_load_b64 v[4:5], v[0:1], off
	s_waitcnt vmcnt(0)
	v_dual_fmac_f32 v2, s12, v4 :: v_dual_fmac_f32 v3, s12, v5
	global_store_b64 v[0:1], v[2:3], off
.LBB57_23:
	s_nop 0
	s_sendmsg sendmsg(MSG_DEALLOC_VGPRS)
	s_endpgm
	.section	.rodata,"a",@progbits
	.p2align	6, 0x0
	.amdhsa_kernel _ZN9rocsparseL19gebsrmvn_2xn_kernelILj128ELj13ELj16EfEEvi20rocsparse_direction_NS_24const_host_device_scalarIT2_EEPKiS6_PKS3_S8_S4_PS3_21rocsparse_index_base_b
		.amdhsa_group_segment_fixed_size 0
		.amdhsa_private_segment_fixed_size 0
		.amdhsa_kernarg_size 72
		.amdhsa_user_sgpr_count 15
		.amdhsa_user_sgpr_dispatch_ptr 0
		.amdhsa_user_sgpr_queue_ptr 0
		.amdhsa_user_sgpr_kernarg_segment_ptr 1
		.amdhsa_user_sgpr_dispatch_id 0
		.amdhsa_user_sgpr_private_segment_size 0
		.amdhsa_wavefront_size32 1
		.amdhsa_uses_dynamic_stack 0
		.amdhsa_enable_private_segment 0
		.amdhsa_system_sgpr_workgroup_id_x 1
		.amdhsa_system_sgpr_workgroup_id_y 0
		.amdhsa_system_sgpr_workgroup_id_z 0
		.amdhsa_system_sgpr_workgroup_info 0
		.amdhsa_system_vgpr_workitem_id 0
		.amdhsa_next_free_vgpr 54
		.amdhsa_next_free_sgpr 20
		.amdhsa_reserve_vcc 1
		.amdhsa_float_round_mode_32 0
		.amdhsa_float_round_mode_16_64 0
		.amdhsa_float_denorm_mode_32 3
		.amdhsa_float_denorm_mode_16_64 3
		.amdhsa_dx10_clamp 1
		.amdhsa_ieee_mode 1
		.amdhsa_fp16_overflow 0
		.amdhsa_workgroup_processor_mode 1
		.amdhsa_memory_ordered 1
		.amdhsa_forward_progress 0
		.amdhsa_shared_vgpr_count 0
		.amdhsa_exception_fp_ieee_invalid_op 0
		.amdhsa_exception_fp_denorm_src 0
		.amdhsa_exception_fp_ieee_div_zero 0
		.amdhsa_exception_fp_ieee_overflow 0
		.amdhsa_exception_fp_ieee_underflow 0
		.amdhsa_exception_fp_ieee_inexact 0
		.amdhsa_exception_int_div_zero 0
	.end_amdhsa_kernel
	.section	.text._ZN9rocsparseL19gebsrmvn_2xn_kernelILj128ELj13ELj16EfEEvi20rocsparse_direction_NS_24const_host_device_scalarIT2_EEPKiS6_PKS3_S8_S4_PS3_21rocsparse_index_base_b,"axG",@progbits,_ZN9rocsparseL19gebsrmvn_2xn_kernelILj128ELj13ELj16EfEEvi20rocsparse_direction_NS_24const_host_device_scalarIT2_EEPKiS6_PKS3_S8_S4_PS3_21rocsparse_index_base_b,comdat
.Lfunc_end57:
	.size	_ZN9rocsparseL19gebsrmvn_2xn_kernelILj128ELj13ELj16EfEEvi20rocsparse_direction_NS_24const_host_device_scalarIT2_EEPKiS6_PKS3_S8_S4_PS3_21rocsparse_index_base_b, .Lfunc_end57-_ZN9rocsparseL19gebsrmvn_2xn_kernelILj128ELj13ELj16EfEEvi20rocsparse_direction_NS_24const_host_device_scalarIT2_EEPKiS6_PKS3_S8_S4_PS3_21rocsparse_index_base_b
                                        ; -- End function
	.section	.AMDGPU.csdata,"",@progbits
; Kernel info:
; codeLenInByte = 3556
; NumSgprs: 22
; NumVgprs: 54
; ScratchSize: 0
; MemoryBound: 0
; FloatMode: 240
; IeeeMode: 1
; LDSByteSize: 0 bytes/workgroup (compile time only)
; SGPRBlocks: 2
; VGPRBlocks: 6
; NumSGPRsForWavesPerEU: 22
; NumVGPRsForWavesPerEU: 54
; Occupancy: 16
; WaveLimiterHint : 1
; COMPUTE_PGM_RSRC2:SCRATCH_EN: 0
; COMPUTE_PGM_RSRC2:USER_SGPR: 15
; COMPUTE_PGM_RSRC2:TRAP_HANDLER: 0
; COMPUTE_PGM_RSRC2:TGID_X_EN: 1
; COMPUTE_PGM_RSRC2:TGID_Y_EN: 0
; COMPUTE_PGM_RSRC2:TGID_Z_EN: 0
; COMPUTE_PGM_RSRC2:TIDIG_COMP_CNT: 0
	.section	.text._ZN9rocsparseL19gebsrmvn_2xn_kernelILj128ELj13ELj32EfEEvi20rocsparse_direction_NS_24const_host_device_scalarIT2_EEPKiS6_PKS3_S8_S4_PS3_21rocsparse_index_base_b,"axG",@progbits,_ZN9rocsparseL19gebsrmvn_2xn_kernelILj128ELj13ELj32EfEEvi20rocsparse_direction_NS_24const_host_device_scalarIT2_EEPKiS6_PKS3_S8_S4_PS3_21rocsparse_index_base_b,comdat
	.globl	_ZN9rocsparseL19gebsrmvn_2xn_kernelILj128ELj13ELj32EfEEvi20rocsparse_direction_NS_24const_host_device_scalarIT2_EEPKiS6_PKS3_S8_S4_PS3_21rocsparse_index_base_b ; -- Begin function _ZN9rocsparseL19gebsrmvn_2xn_kernelILj128ELj13ELj32EfEEvi20rocsparse_direction_NS_24const_host_device_scalarIT2_EEPKiS6_PKS3_S8_S4_PS3_21rocsparse_index_base_b
	.p2align	8
	.type	_ZN9rocsparseL19gebsrmvn_2xn_kernelILj128ELj13ELj32EfEEvi20rocsparse_direction_NS_24const_host_device_scalarIT2_EEPKiS6_PKS3_S8_S4_PS3_21rocsparse_index_base_b,@function
_ZN9rocsparseL19gebsrmvn_2xn_kernelILj128ELj13ELj32EfEEvi20rocsparse_direction_NS_24const_host_device_scalarIT2_EEPKiS6_PKS3_S8_S4_PS3_21rocsparse_index_base_b: ; @_ZN9rocsparseL19gebsrmvn_2xn_kernelILj128ELj13ELj32EfEEvi20rocsparse_direction_NS_24const_host_device_scalarIT2_EEPKiS6_PKS3_S8_S4_PS3_21rocsparse_index_base_b
; %bb.0:
	s_clause 0x2
	s_load_b64 s[18:19], s[0:1], 0x40
	s_load_b64 s[16:17], s[0:1], 0x8
	;; [unrolled: 1-line block ×3, first 2 shown]
	s_waitcnt lgkmcnt(0)
	s_bitcmp1_b32 s19, 0
	s_cselect_b32 s2, -1, 0
	s_delay_alu instid0(SALU_CYCLE_1)
	s_and_b32 vcc_lo, exec_lo, s2
	s_xor_b32 s2, s2, -1
	s_cbranch_vccnz .LBB58_2
; %bb.1:
	s_load_b32 s16, s[16:17], 0x0
.LBB58_2:
	s_and_not1_b32 vcc_lo, exec_lo, s2
	s_cbranch_vccnz .LBB58_4
; %bb.3:
	s_load_b32 s12, s[12:13], 0x0
.LBB58_4:
	s_waitcnt lgkmcnt(0)
	v_cmp_eq_f32_e64 s2, s16, 0
	v_cmp_eq_f32_e64 s3, s12, 1.0
	s_delay_alu instid0(VALU_DEP_1) | instskip(NEXT) | instid1(SALU_CYCLE_1)
	s_and_b32 s2, s2, s3
	s_and_b32 vcc_lo, exec_lo, s2
	s_cbranch_vccnz .LBB58_23
; %bb.5:
	s_load_b64 s[2:3], s[0:1], 0x0
	v_lshrrev_b32_e32 v1, 5, v0
	s_delay_alu instid0(VALU_DEP_1) | instskip(SKIP_1) | instid1(VALU_DEP_1)
	v_lshl_or_b32 v1, s15, 2, v1
	s_waitcnt lgkmcnt(0)
	v_cmp_gt_i32_e32 vcc_lo, s2, v1
	s_and_saveexec_b32 s2, vcc_lo
	s_cbranch_execz .LBB58_23
; %bb.6:
	s_load_b256 s[4:11], s[0:1], 0x10
	v_ashrrev_i32_e32 v2, 31, v1
	v_and_b32_e32 v0, 31, v0
	s_cmp_lg_u32 s3, 0
	s_delay_alu instid0(VALU_DEP_2) | instskip(SKIP_1) | instid1(VALU_DEP_1)
	v_lshlrev_b64 v[2:3], 2, v[1:2]
	s_waitcnt lgkmcnt(0)
	v_add_co_u32 v2, vcc_lo, s4, v2
	s_delay_alu instid0(VALU_DEP_2) | instskip(SKIP_4) | instid1(VALU_DEP_2)
	v_add_co_ci_u32_e32 v3, vcc_lo, s5, v3, vcc_lo
	global_load_b64 v[2:3], v[2:3], off
	s_waitcnt vmcnt(0)
	v_subrev_nc_u32_e32 v2, s18, v2
	v_subrev_nc_u32_e32 v12, s18, v3
	v_add_nc_u32_e32 v2, v2, v0
	s_delay_alu instid0(VALU_DEP_1)
	v_cmp_lt_i32_e64 s2, v2, v12
	s_cbranch_scc0 .LBB58_12
; %bb.7:
	v_dual_mov_b32 v10, 0 :: v_dual_mov_b32 v11, 0
	s_mov_b32 s3, 0
	s_delay_alu instid0(VALU_DEP_2)
	s_and_saveexec_b32 s4, s2
	s_cbranch_execz .LBB58_11
; %bb.8:
	v_mad_u64_u32 v[3:4], null, v2, 26, 24
	v_dual_mov_b32 v6, 0 :: v_dual_mov_b32 v7, v2
	v_dual_mov_b32 v10, 0 :: v_dual_mov_b32 v11, 0
	s_mov_b32 s5, 0
.LBB58_9:                               ; =>This Inner Loop Header: Depth=1
	s_delay_alu instid0(VALU_DEP_2) | instskip(NEXT) | instid1(VALU_DEP_1)
	v_ashrrev_i32_e32 v8, 31, v7
	v_lshlrev_b64 v[4:5], 2, v[7:8]
	v_add_nc_u32_e32 v7, 32, v7
	s_delay_alu instid0(VALU_DEP_2) | instskip(NEXT) | instid1(VALU_DEP_3)
	v_add_co_u32 v4, vcc_lo, s6, v4
	v_add_co_ci_u32_e32 v5, vcc_lo, s7, v5, vcc_lo
	global_load_b32 v8, v[4:5], off
	v_subrev_nc_u32_e32 v5, 24, v3
	v_mov_b32_e32 v4, v6
	s_delay_alu instid0(VALU_DEP_2) | instskip(SKIP_1) | instid1(VALU_DEP_3)
	v_lshlrev_b64 v[13:14], 2, v[5:6]
	v_subrev_nc_u32_e32 v5, 22, v3
	v_lshlrev_b64 v[15:16], 2, v[3:4]
	s_delay_alu instid0(VALU_DEP_2) | instskip(NEXT) | instid1(VALU_DEP_4)
	v_lshlrev_b64 v[4:5], 2, v[5:6]
	v_add_co_u32 v13, vcc_lo, s8, v13
	v_add_co_ci_u32_e32 v14, vcc_lo, s9, v14, vcc_lo
	s_delay_alu instid0(VALU_DEP_4)
	v_add_co_u32 v15, vcc_lo, s8, v15
	v_add_co_ci_u32_e32 v16, vcc_lo, s9, v16, vcc_lo
	v_add_co_u32 v4, vcc_lo, s8, v4
	v_add_co_ci_u32_e32 v5, vcc_lo, s9, v5, vcc_lo
	s_clause 0x1
	global_load_b64 v[13:14], v[13:14], off
	global_load_b64 v[17:18], v[4:5], off
	v_mov_b32_e32 v9, v6
	s_waitcnt vmcnt(2)
	v_subrev_nc_u32_e32 v4, s18, v8
	s_delay_alu instid0(VALU_DEP_1) | instskip(NEXT) | instid1(VALU_DEP_1)
	v_mul_lo_u32 v8, v4, 13
	v_add_nc_u32_e32 v5, 1, v8
	v_lshlrev_b64 v[19:20], 2, v[8:9]
	s_delay_alu instid0(VALU_DEP_2) | instskip(SKIP_1) | instid1(VALU_DEP_3)
	v_lshlrev_b64 v[21:22], 2, v[5:6]
	v_subrev_nc_u32_e32 v5, 20, v3
	v_add_co_u32 v19, vcc_lo, s10, v19
	s_delay_alu instid0(VALU_DEP_4) | instskip(NEXT) | instid1(VALU_DEP_4)
	v_add_co_ci_u32_e32 v20, vcc_lo, s11, v20, vcc_lo
	v_add_co_u32 v21, vcc_lo, s10, v21
	v_add_co_ci_u32_e32 v22, vcc_lo, s11, v22, vcc_lo
	global_load_b32 v43, v[19:20], off
	v_lshlrev_b64 v[23:24], 2, v[5:6]
	global_load_b32 v44, v[21:22], off
	v_add_co_u32 v21, vcc_lo, s8, v23
	v_add_co_ci_u32_e32 v22, vcc_lo, s9, v24, vcc_lo
	global_load_b64 v[21:22], v[21:22], off
	s_waitcnt vmcnt(2)
	v_fmac_f32_e32 v10, v13, v43
	s_waitcnt vmcnt(1)
	s_delay_alu instid0(VALU_DEP_1) | instskip(SKIP_1) | instid1(VALU_DEP_2)
	v_dual_fmac_f32 v11, v14, v43 :: v_dual_fmac_f32 v10, v17, v44
	v_add_nc_u32_e32 v5, 2, v8
	v_fmac_f32_e32 v11, v18, v44
	s_delay_alu instid0(VALU_DEP_2) | instskip(SKIP_1) | instid1(VALU_DEP_1)
	v_lshlrev_b64 v[19:20], 2, v[5:6]
	v_subrev_nc_u32_e32 v5, 18, v3
	v_lshlrev_b64 v[23:24], 2, v[5:6]
	v_add_nc_u32_e32 v5, 3, v8
	s_delay_alu instid0(VALU_DEP_4) | instskip(SKIP_1) | instid1(VALU_DEP_3)
	v_add_co_u32 v19, vcc_lo, s10, v19
	v_add_co_ci_u32_e32 v20, vcc_lo, s11, v20, vcc_lo
	v_lshlrev_b64 v[25:26], 2, v[5:6]
	v_add_nc_u32_e32 v5, -16, v3
	global_load_b32 v45, v[19:20], off
	v_add_co_u32 v19, vcc_lo, s8, v23
	v_add_co_ci_u32_e32 v20, vcc_lo, s9, v24, vcc_lo
	v_lshlrev_b64 v[23:24], 2, v[5:6]
	v_add_co_u32 v25, vcc_lo, s10, v25
	v_add_co_ci_u32_e32 v26, vcc_lo, s11, v26, vcc_lo
	s_delay_alu instid0(VALU_DEP_3) | instskip(NEXT) | instid1(VALU_DEP_4)
	v_add_co_u32 v23, vcc_lo, s8, v23
	v_add_co_ci_u32_e32 v24, vcc_lo, s9, v24, vcc_lo
	global_load_b32 v46, v[25:26], off
	global_load_b64 v[23:24], v[23:24], off
	v_add_nc_u32_e32 v5, 4, v8
	global_load_b64 v[19:20], v[19:20], off
	v_lshlrev_b64 v[27:28], 2, v[5:6]
	v_add_nc_u32_e32 v5, -14, v3
	s_delay_alu instid0(VALU_DEP_2) | instskip(NEXT) | instid1(VALU_DEP_3)
	v_add_co_u32 v27, vcc_lo, s10, v27
	v_add_co_ci_u32_e32 v28, vcc_lo, s11, v28, vcc_lo
	global_load_b32 v47, v[27:28], off
	v_lshlrev_b64 v[25:26], 2, v[5:6]
	v_add_nc_u32_e32 v5, 5, v8
	s_delay_alu instid0(VALU_DEP_1) | instskip(SKIP_1) | instid1(VALU_DEP_4)
	v_lshlrev_b64 v[29:30], 2, v[5:6]
	v_add_nc_u32_e32 v5, -12, v3
	v_add_co_u32 v25, vcc_lo, s8, v25
	v_add_co_ci_u32_e32 v26, vcc_lo, s9, v26, vcc_lo
	s_delay_alu instid0(VALU_DEP_3) | instskip(SKIP_3) | instid1(VALU_DEP_3)
	v_lshlrev_b64 v[27:28], 2, v[5:6]
	v_add_nc_u32_e32 v5, 6, v8
	v_add_co_u32 v29, vcc_lo, s10, v29
	v_add_co_ci_u32_e32 v30, vcc_lo, s11, v30, vcc_lo
	v_lshlrev_b64 v[31:32], 2, v[5:6]
	v_add_co_u32 v27, vcc_lo, s8, v27
	v_add_co_ci_u32_e32 v28, vcc_lo, s9, v28, vcc_lo
	v_add_nc_u32_e32 v5, -10, v3
	s_delay_alu instid0(VALU_DEP_4)
	v_add_co_u32 v31, vcc_lo, s10, v31
	v_add_co_ci_u32_e32 v32, vcc_lo, s11, v32, vcc_lo
	global_load_b32 v48, v[29:30], off
	s_clause 0x1
	global_load_b64 v[25:26], v[25:26], off
	global_load_b64 v[27:28], v[27:28], off
	global_load_b32 v49, v[31:32], off
	v_lshlrev_b64 v[29:30], 2, v[5:6]
	v_add_nc_u32_e32 v5, 7, v8
	s_delay_alu instid0(VALU_DEP_1) | instskip(SKIP_1) | instid1(VALU_DEP_4)
	v_lshlrev_b64 v[33:34], 2, v[5:6]
	v_add_nc_u32_e32 v5, -8, v3
	v_add_co_u32 v29, vcc_lo, s8, v29
	v_add_co_ci_u32_e32 v30, vcc_lo, s9, v30, vcc_lo
	s_delay_alu instid0(VALU_DEP_3) | instskip(SKIP_3) | instid1(VALU_DEP_3)
	v_lshlrev_b64 v[31:32], 2, v[5:6]
	v_add_nc_u32_e32 v5, 8, v8
	v_add_co_u32 v33, vcc_lo, s10, v33
	v_add_co_ci_u32_e32 v34, vcc_lo, s11, v34, vcc_lo
	v_lshlrev_b64 v[35:36], 2, v[5:6]
	v_add_co_u32 v31, vcc_lo, s8, v31
	v_add_co_ci_u32_e32 v32, vcc_lo, s9, v32, vcc_lo
	v_add_nc_u32_e32 v5, -6, v3
	s_delay_alu instid0(VALU_DEP_4)
	v_add_co_u32 v35, vcc_lo, s10, v35
	v_add_co_ci_u32_e32 v36, vcc_lo, s11, v36, vcc_lo
	global_load_b32 v50, v[33:34], off
	s_clause 0x1
	global_load_b64 v[29:30], v[29:30], off
	global_load_b64 v[31:32], v[31:32], off
	;; [unrolled: 24-line block ×3, first 2 shown]
	global_load_b32 v39, v[39:40], off
	v_lshlrev_b64 v[37:38], 2, v[5:6]
	v_add_nc_u32_e32 v5, 11, v8
	v_add_nc_u32_e32 v3, 0x340, v3
	s_delay_alu instid0(VALU_DEP_2) | instskip(SKIP_3) | instid1(VALU_DEP_3)
	v_lshlrev_b64 v[41:42], 2, v[5:6]
	v_add_nc_u32_e32 v5, 12, v8
	v_add_co_u32 v8, vcc_lo, s8, v37
	v_add_co_ci_u32_e32 v9, vcc_lo, s9, v38, vcc_lo
	v_lshlrev_b64 v[4:5], 2, v[5:6]
	v_add_co_u32 v37, vcc_lo, s10, v41
	v_add_co_ci_u32_e32 v38, vcc_lo, s11, v42, vcc_lo
	global_load_b64 v[8:9], v[8:9], off
	global_load_b32 v37, v[37:38], off
	v_add_co_u32 v4, vcc_lo, s10, v4
	v_add_co_ci_u32_e32 v5, vcc_lo, s11, v5, vcc_lo
	global_load_b64 v[15:16], v[15:16], off
	global_load_b32 v4, v[4:5], off
	v_cmp_ge_i32_e32 vcc_lo, v7, v12
	s_or_b32 s5, vcc_lo, s5
	s_waitcnt vmcnt(20)
	v_fmac_f32_e32 v10, v21, v45
	s_waitcnt vmcnt(17)
	s_delay_alu instid0(VALU_DEP_1) | instskip(SKIP_1) | instid1(VALU_DEP_1)
	v_dual_fmac_f32 v11, v22, v45 :: v_dual_fmac_f32 v10, v19, v46
	s_waitcnt vmcnt(16)
	v_dual_fmac_f32 v11, v20, v46 :: v_dual_fmac_f32 v10, v23, v47
	s_waitcnt vmcnt(14)
	s_delay_alu instid0(VALU_DEP_1) | instskip(SKIP_1) | instid1(VALU_DEP_1)
	v_dual_fmac_f32 v11, v24, v47 :: v_dual_fmac_f32 v10, v25, v48
	s_waitcnt vmcnt(12)
	v_dual_fmac_f32 v11, v26, v48 :: v_dual_fmac_f32 v10, v27, v49
	s_waitcnt vmcnt(10)
	s_delay_alu instid0(VALU_DEP_1) | instskip(SKIP_1) | instid1(VALU_DEP_1)
	v_dual_fmac_f32 v11, v28, v49 :: v_dual_fmac_f32 v10, v29, v50
	s_waitcnt vmcnt(8)
	v_dual_fmac_f32 v11, v30, v50 :: v_dual_fmac_f32 v10, v31, v51
	s_waitcnt vmcnt(6)
	s_delay_alu instid0(VALU_DEP_1) | instskip(SKIP_1) | instid1(VALU_DEP_1)
	v_dual_fmac_f32 v11, v32, v51 :: v_dual_fmac_f32 v10, v33, v52
	s_waitcnt vmcnt(4)
	v_dual_fmac_f32 v11, v34, v52 :: v_dual_fmac_f32 v10, v35, v39
	s_delay_alu instid0(VALU_DEP_1) | instskip(SKIP_1) | instid1(VALU_DEP_2)
	v_fmac_f32_e32 v11, v36, v39
	s_waitcnt vmcnt(2)
	v_fmac_f32_e32 v10, v8, v37
	s_waitcnt vmcnt(0)
	s_delay_alu instid0(VALU_DEP_1) | instskip(NEXT) | instid1(VALU_DEP_1)
	v_dual_fmac_f32 v11, v9, v37 :: v_dual_fmac_f32 v10, v15, v4
	v_fmac_f32_e32 v11, v16, v4
	s_and_not1_b32 exec_lo, exec_lo, s5
	s_cbranch_execnz .LBB58_9
; %bb.10:
	s_or_b32 exec_lo, exec_lo, s5
.LBB58_11:
	s_delay_alu instid0(SALU_CYCLE_1) | instskip(NEXT) | instid1(SALU_CYCLE_1)
	s_or_b32 exec_lo, exec_lo, s4
	s_and_not1_b32 vcc_lo, exec_lo, s3
	s_cbranch_vccz .LBB58_13
	s_branch .LBB58_18
.LBB58_12:
                                        ; implicit-def: $vgpr10
                                        ; implicit-def: $vgpr11
.LBB58_13:
	v_dual_mov_b32 v10, 0 :: v_dual_mov_b32 v11, 0
	s_delay_alu instid0(VALU_DEP_2)
	s_and_saveexec_b32 s3, s2
	s_cbranch_execz .LBB58_17
; %bb.14:
	v_mad_u64_u32 v[4:5], null, v2, 26, 25
	v_dual_mov_b32 v7, 0 :: v_dual_mov_b32 v10, 0
	v_mov_b32_e32 v11, 0
	s_mov_b32 s2, 0
.LBB58_15:                              ; =>This Inner Loop Header: Depth=1
	v_ashrrev_i32_e32 v3, 31, v2
	s_delay_alu instid0(VALU_DEP_3) | instskip(NEXT) | instid1(VALU_DEP_2)
	v_dual_mov_b32 v14, v7 :: v_dual_add_nc_u32 v13, -12, v4
	v_lshlrev_b64 v[5:6], 2, v[2:3]
	v_add_nc_u32_e32 v2, 32, v2
	s_delay_alu instid0(VALU_DEP_3) | instskip(NEXT) | instid1(VALU_DEP_3)
	v_lshlrev_b64 v[13:14], 2, v[13:14]
	v_add_co_u32 v5, vcc_lo, s6, v5
	s_delay_alu instid0(VALU_DEP_4) | instskip(SKIP_3) | instid1(VALU_DEP_2)
	v_add_co_ci_u32_e32 v6, vcc_lo, s7, v6, vcc_lo
	global_load_b32 v3, v[5:6], off
	v_subrev_nc_u32_e32 v6, 25, v4
	v_mov_b32_e32 v5, v7
	v_lshlrev_b64 v[15:16], 2, v[6:7]
	s_delay_alu instid0(VALU_DEP_2) | instskip(NEXT) | instid1(VALU_DEP_2)
	v_lshlrev_b64 v[5:6], 2, v[4:5]
	v_add_co_u32 v15, vcc_lo, s8, v15
	s_delay_alu instid0(VALU_DEP_3)
	v_add_co_ci_u32_e32 v16, vcc_lo, s9, v16, vcc_lo
	v_add_co_u32 v13, vcc_lo, s8, v13
	v_add_co_ci_u32_e32 v14, vcc_lo, s9, v14, vcc_lo
	v_add_co_u32 v17, vcc_lo, s8, v5
	v_add_co_ci_u32_e32 v18, vcc_lo, s9, v6, vcc_lo
	s_clause 0x1
	global_load_b64 v[15:16], v[15:16], off
	global_load_b32 v23, v[13:14], off
	s_waitcnt vmcnt(2)
	v_subrev_nc_u32_e32 v3, s18, v3
	s_delay_alu instid0(VALU_DEP_1) | instskip(NEXT) | instid1(VALU_DEP_1)
	v_mul_lo_u32 v8, v3, 13
	v_dual_mov_b32 v9, v7 :: v_dual_add_nc_u32 v6, 1, v8
	s_delay_alu instid0(VALU_DEP_1) | instskip(NEXT) | instid1(VALU_DEP_2)
	v_lshlrev_b64 v[13:14], 2, v[8:9]
	v_lshlrev_b64 v[19:20], 2, v[6:7]
	v_add_nc_u32_e32 v6, -11, v4
	s_delay_alu instid0(VALU_DEP_3) | instskip(NEXT) | instid1(VALU_DEP_4)
	v_add_co_u32 v13, vcc_lo, s10, v13
	v_add_co_ci_u32_e32 v14, vcc_lo, s11, v14, vcc_lo
	s_delay_alu instid0(VALU_DEP_3)
	v_lshlrev_b64 v[21:22], 2, v[6:7]
	v_subrev_nc_u32_e32 v6, 23, v4
	global_load_b32 v3, v[13:14], off
	v_add_co_u32 v13, vcc_lo, s10, v19
	v_add_co_ci_u32_e32 v14, vcc_lo, s11, v20, vcc_lo
	v_add_co_u32 v21, vcc_lo, s8, v21
	v_add_co_ci_u32_e32 v22, vcc_lo, s9, v22, vcc_lo
	global_load_b32 v24, v[13:14], off
	v_lshlrev_b64 v[19:20], 2, v[6:7]
	v_add_nc_u32_e32 v6, 2, v8
	global_load_b32 v25, v[21:22], off
	v_add_co_u32 v19, vcc_lo, s8, v19
	v_add_co_ci_u32_e32 v20, vcc_lo, s9, v20, vcc_lo
	global_load_b32 v26, v[19:20], off
	s_waitcnt vmcnt(3)
	v_fmac_f32_e32 v11, v23, v3
	v_lshlrev_b64 v[13:14], 2, v[6:7]
	v_fmac_f32_e32 v10, v15, v3
	s_delay_alu instid0(VALU_DEP_2) | instskip(NEXT) | instid1(VALU_DEP_3)
	v_add_co_u32 v13, vcc_lo, s10, v13
	v_add_co_ci_u32_e32 v14, vcc_lo, s11, v14, vcc_lo
	s_waitcnt vmcnt(1)
	v_fmac_f32_e32 v11, v25, v24
	v_fmac_f32_e32 v10, v16, v24
	global_load_b32 v27, v[13:14], off
	v_add_nc_u32_e32 v6, -10, v4
	s_delay_alu instid0(VALU_DEP_1) | instskip(SKIP_1) | instid1(VALU_DEP_2)
	v_lshlrev_b64 v[21:22], 2, v[6:7]
	v_subrev_nc_u32_e32 v6, 22, v4
	v_add_co_u32 v13, vcc_lo, s8, v21
	s_delay_alu instid0(VALU_DEP_3) | instskip(SKIP_2) | instid1(VALU_DEP_1)
	v_add_co_ci_u32_e32 v14, vcc_lo, s9, v22, vcc_lo
	global_load_b32 v28, v[13:14], off
	v_lshlrev_b64 v[19:20], 2, v[6:7]
	v_add_co_u32 v19, vcc_lo, s8, v19
	s_delay_alu instid0(VALU_DEP_2) | instskip(SKIP_3) | instid1(VALU_DEP_1)
	v_add_co_ci_u32_e32 v20, vcc_lo, s9, v20, vcc_lo
	global_load_b32 v29, v[19:20], off
	s_waitcnt vmcnt(1)
	v_dual_fmac_f32 v11, v28, v27 :: v_dual_add_nc_u32 v6, 3, v8
	v_lshlrev_b64 v[21:22], 2, v[6:7]
	v_add_nc_u32_e32 v6, -9, v4
	s_delay_alu instid0(VALU_DEP_1) | instskip(SKIP_1) | instid1(VALU_DEP_4)
	v_lshlrev_b64 v[13:14], 2, v[6:7]
	v_subrev_nc_u32_e32 v6, 21, v4
	v_add_co_u32 v19, vcc_lo, s10, v21
	v_add_co_ci_u32_e32 v20, vcc_lo, s11, v22, vcc_lo
	s_delay_alu instid0(VALU_DEP_3)
	v_lshlrev_b64 v[21:22], 2, v[6:7]
	v_add_nc_u32_e32 v6, 4, v8
	v_add_co_u32 v13, vcc_lo, s8, v13
	v_add_co_ci_u32_e32 v14, vcc_lo, s9, v14, vcc_lo
	global_load_b32 v30, v[19:20], off
	v_lshlrev_b64 v[19:20], 2, v[6:7]
	v_add_nc_u32_e32 v6, -8, v4
	global_load_b32 v31, v[13:14], off
	v_add_co_u32 v13, vcc_lo, s8, v21
	v_add_co_ci_u32_e32 v14, vcc_lo, s9, v22, vcc_lo
	v_lshlrev_b64 v[21:22], 2, v[6:7]
	v_subrev_nc_u32_e32 v6, 20, v4
	v_add_co_u32 v19, vcc_lo, s10, v19
	v_add_co_ci_u32_e32 v20, vcc_lo, s11, v20, vcc_lo
	global_load_b32 v32, v[13:14], off
	v_lshlrev_b64 v[13:14], 2, v[6:7]
	v_add_nc_u32_e32 v6, 5, v8
	global_load_b32 v33, v[19:20], off
	v_add_co_u32 v19, vcc_lo, s8, v21
	v_add_co_ci_u32_e32 v20, vcc_lo, s9, v22, vcc_lo
	v_add_co_u32 v13, vcc_lo, s8, v13
	v_lshlrev_b64 v[21:22], 2, v[6:7]
	v_add_nc_u32_e32 v6, -7, v4
	v_add_co_ci_u32_e32 v14, vcc_lo, s9, v14, vcc_lo
	s_clause 0x1
	global_load_b32 v34, v[19:20], off
	global_load_b32 v35, v[13:14], off
	v_lshlrev_b64 v[19:20], 2, v[6:7]
	v_subrev_nc_u32_e32 v6, 19, v4
	v_add_co_u32 v13, vcc_lo, s10, v21
	v_add_co_ci_u32_e32 v14, vcc_lo, s11, v22, vcc_lo
	s_delay_alu instid0(VALU_DEP_3)
	v_lshlrev_b64 v[21:22], 2, v[6:7]
	v_add_nc_u32_e32 v6, 6, v8
	v_add_co_u32 v19, vcc_lo, s8, v19
	v_add_co_ci_u32_e32 v20, vcc_lo, s9, v20, vcc_lo
	global_load_b32 v36, v[13:14], off
	v_lshlrev_b64 v[13:14], 2, v[6:7]
	v_add_nc_u32_e32 v6, -6, v4
	global_load_b32 v37, v[19:20], off
	v_add_co_u32 v19, vcc_lo, s8, v21
	v_add_co_ci_u32_e32 v20, vcc_lo, s9, v22, vcc_lo
	v_add_co_u32 v13, vcc_lo, s10, v13
	v_lshlrev_b64 v[21:22], 2, v[6:7]
	v_add_co_ci_u32_e32 v14, vcc_lo, s11, v14, vcc_lo
	v_subrev_nc_u32_e32 v6, 18, v4
	global_load_b32 v38, v[19:20], off
	global_load_b32 v39, v[13:14], off
	v_add_co_u32 v13, vcc_lo, s8, v21
	v_add_co_ci_u32_e32 v14, vcc_lo, s9, v22, vcc_lo
	global_load_b32 v40, v[13:14], off
	v_lshlrev_b64 v[19:20], 2, v[6:7]
	v_add_nc_u32_e32 v6, 7, v8
	s_delay_alu instid0(VALU_DEP_1) | instskip(SKIP_1) | instid1(VALU_DEP_4)
	v_lshlrev_b64 v[21:22], 2, v[6:7]
	v_add_nc_u32_e32 v6, -5, v4
	v_add_co_u32 v19, vcc_lo, s8, v19
	v_add_co_ci_u32_e32 v20, vcc_lo, s9, v20, vcc_lo
	s_delay_alu instid0(VALU_DEP_3)
	v_lshlrev_b64 v[13:14], 2, v[6:7]
	v_subrev_nc_u32_e32 v6, 17, v4
	global_load_b32 v41, v[19:20], off
	v_add_co_u32 v19, vcc_lo, s10, v21
	v_add_co_ci_u32_e32 v20, vcc_lo, s11, v22, vcc_lo
	v_lshlrev_b64 v[21:22], 2, v[6:7]
	v_add_nc_u32_e32 v6, 8, v8
	v_add_co_u32 v13, vcc_lo, s8, v13
	v_add_co_ci_u32_e32 v14, vcc_lo, s9, v14, vcc_lo
	global_load_b32 v42, v[19:20], off
	v_lshlrev_b64 v[19:20], 2, v[6:7]
	v_add_nc_u32_e32 v6, -4, v4
	global_load_b32 v43, v[13:14], off
	v_add_co_u32 v13, vcc_lo, s8, v21
	v_add_co_ci_u32_e32 v14, vcc_lo, s9, v22, vcc_lo
	v_lshlrev_b64 v[21:22], 2, v[6:7]
	v_add_nc_u32_e32 v6, -16, v4
	v_add_co_u32 v19, vcc_lo, s10, v19
	v_add_co_ci_u32_e32 v20, vcc_lo, s11, v20, vcc_lo
	global_load_b32 v44, v[13:14], off
	v_lshlrev_b64 v[13:14], 2, v[6:7]
	v_add_nc_u32_e32 v6, 9, v8
	global_load_b32 v45, v[19:20], off
	v_add_co_u32 v19, vcc_lo, s8, v21
	v_add_co_ci_u32_e32 v20, vcc_lo, s9, v22, vcc_lo
	v_add_co_u32 v13, vcc_lo, s8, v13
	v_lshlrev_b64 v[21:22], 2, v[6:7]
	v_add_nc_u32_e32 v6, -3, v4
	v_add_co_ci_u32_e32 v14, vcc_lo, s9, v14, vcc_lo
	s_clause 0x1
	global_load_b32 v46, v[19:20], off
	global_load_b32 v47, v[13:14], off
	v_lshlrev_b64 v[19:20], 2, v[6:7]
	v_add_nc_u32_e32 v6, -15, v4
	v_add_co_u32 v13, vcc_lo, s10, v21
	v_add_co_ci_u32_e32 v14, vcc_lo, s11, v22, vcc_lo
	s_delay_alu instid0(VALU_DEP_3)
	v_lshlrev_b64 v[21:22], 2, v[6:7]
	v_add_nc_u32_e32 v6, 10, v8
	v_add_co_u32 v19, vcc_lo, s8, v19
	v_add_co_ci_u32_e32 v20, vcc_lo, s9, v20, vcc_lo
	global_load_b32 v48, v[13:14], off
	v_lshlrev_b64 v[13:14], 2, v[6:7]
	v_add_nc_u32_e32 v6, -2, v4
	global_load_b32 v49, v[19:20], off
	v_add_co_u32 v19, vcc_lo, s8, v21
	v_add_co_ci_u32_e32 v20, vcc_lo, s9, v22, vcc_lo
	v_add_co_u32 v13, vcc_lo, s10, v13
	v_lshlrev_b64 v[21:22], 2, v[6:7]
	v_add_co_ci_u32_e32 v14, vcc_lo, s11, v14, vcc_lo
	v_add_nc_u32_e32 v6, -14, v4
	global_load_b32 v50, v[19:20], off
	global_load_b32 v51, v[13:14], off
	v_add_co_u32 v13, vcc_lo, s8, v21
	v_add_co_ci_u32_e32 v14, vcc_lo, s9, v22, vcc_lo
	global_load_b32 v52, v[13:14], off
	v_lshlrev_b64 v[19:20], 2, v[6:7]
	v_add_nc_u32_e32 v6, 11, v8
	s_delay_alu instid0(VALU_DEP_1) | instskip(SKIP_1) | instid1(VALU_DEP_4)
	v_lshlrev_b64 v[21:22], 2, v[6:7]
	v_add_nc_u32_e32 v6, -1, v4
	v_add_co_u32 v19, vcc_lo, s8, v19
	v_add_co_ci_u32_e32 v20, vcc_lo, s9, v20, vcc_lo
	s_delay_alu instid0(VALU_DEP_3)
	v_lshlrev_b64 v[13:14], 2, v[6:7]
	v_add_nc_u32_e32 v6, -13, v4
	v_add_nc_u32_e32 v4, 0x340, v4
	global_load_b32 v53, v[19:20], off
	v_add_co_u32 v19, vcc_lo, s10, v21
	v_add_co_ci_u32_e32 v20, vcc_lo, s11, v22, vcc_lo
	v_lshlrev_b64 v[21:22], 2, v[6:7]
	v_add_nc_u32_e32 v6, 12, v8
	v_add_co_u32 v8, vcc_lo, s8, v13
	v_add_co_ci_u32_e32 v9, vcc_lo, s9, v14, vcc_lo
	s_delay_alu instid0(VALU_DEP_3)
	v_lshlrev_b64 v[5:6], 2, v[6:7]
	global_load_b32 v13, v[19:20], off
	global_load_b32 v14, v[8:9], off
	v_add_co_u32 v8, vcc_lo, s8, v21
	v_add_co_ci_u32_e32 v9, vcc_lo, s9, v22, vcc_lo
	v_add_co_u32 v5, vcc_lo, s10, v5
	v_add_co_ci_u32_e32 v6, vcc_lo, s11, v6, vcc_lo
	s_clause 0x1
	global_load_b32 v17, v[17:18], off
	global_load_b32 v8, v[8:9], off
	;; [unrolled: 1-line block ×3, first 2 shown]
	v_cmp_ge_i32_e32 vcc_lo, v2, v12
	s_or_b32 s2, vcc_lo, s2
	s_waitcnt vmcnt(27)
	v_fmac_f32_e32 v11, v31, v30
	s_waitcnt vmcnt(24)
	s_delay_alu instid0(VALU_DEP_1) | instskip(SKIP_1) | instid1(VALU_DEP_1)
	v_fmac_f32_e32 v11, v34, v33
	s_waitcnt vmcnt(21)
	v_dual_fmac_f32 v10, v26, v27 :: v_dual_fmac_f32 v11, v37, v36
	s_waitcnt vmcnt(18)
	s_delay_alu instid0(VALU_DEP_1) | instskip(SKIP_1) | instid1(VALU_DEP_1)
	v_dual_fmac_f32 v10, v29, v30 :: v_dual_fmac_f32 v11, v40, v39
	s_waitcnt vmcnt(15)
	v_fmac_f32_e32 v11, v43, v42
	s_waitcnt vmcnt(12)
	s_delay_alu instid0(VALU_DEP_1) | instskip(SKIP_1) | instid1(VALU_DEP_1)
	v_fmac_f32_e32 v11, v46, v45
	s_waitcnt vmcnt(9)
	v_dual_fmac_f32 v10, v32, v33 :: v_dual_fmac_f32 v11, v49, v48
	s_delay_alu instid0(VALU_DEP_1) | instskip(NEXT) | instid1(VALU_DEP_1)
	v_fmac_f32_e32 v10, v35, v36
	v_fmac_f32_e32 v10, v38, v39
	s_delay_alu instid0(VALU_DEP_1) | instskip(NEXT) | instid1(VALU_DEP_1)
	v_fmac_f32_e32 v10, v41, v42
	v_fmac_f32_e32 v10, v44, v45
	s_waitcnt vmcnt(6)
	s_delay_alu instid0(VALU_DEP_1) | instskip(NEXT) | instid1(VALU_DEP_1)
	v_dual_fmac_f32 v10, v47, v48 :: v_dual_fmac_f32 v11, v52, v51
	v_fmac_f32_e32 v10, v50, v51
	s_waitcnt vmcnt(4)
	s_delay_alu instid0(VALU_DEP_1) | instskip(SKIP_3) | instid1(VALU_DEP_2)
	v_fmac_f32_e32 v10, v53, v13
	s_waitcnt vmcnt(3)
	v_fmac_f32_e32 v11, v14, v13
	s_waitcnt vmcnt(0)
	v_fmac_f32_e32 v10, v8, v5
	s_delay_alu instid0(VALU_DEP_2)
	v_fmac_f32_e32 v11, v17, v5
	s_and_not1_b32 exec_lo, exec_lo, s2
	s_cbranch_execnz .LBB58_15
; %bb.16:
	s_or_b32 exec_lo, exec_lo, s2
.LBB58_17:
	s_delay_alu instid0(SALU_CYCLE_1)
	s_or_b32 exec_lo, exec_lo, s3
.LBB58_18:
	v_mbcnt_lo_u32_b32 v2, -1, 0
	s_mov_b32 s2, -1
	s_delay_alu instid0(VALU_DEP_1) | instskip(SKIP_2) | instid1(VALU_DEP_3)
	v_xor_b32_e32 v3, 16, v2
	v_xor_b32_e32 v5, 8, v2
	;; [unrolled: 1-line block ×3, first 2 shown]
	v_cmp_gt_i32_e32 vcc_lo, 32, v3
	v_cndmask_b32_e32 v3, v2, v3, vcc_lo
	s_delay_alu instid0(VALU_DEP_4) | instskip(NEXT) | instid1(VALU_DEP_2)
	v_cmp_gt_i32_e32 vcc_lo, 32, v5
	v_lshlrev_b32_e32 v3, 2, v3
	v_cndmask_b32_e32 v5, v2, v5, vcc_lo
	v_cmp_gt_i32_e32 vcc_lo, 32, v7
	ds_bpermute_b32 v4, v3, v10
	v_lshlrev_b32_e32 v5, 2, v5
	v_cndmask_b32_e32 v7, v2, v7, vcc_lo
	s_waitcnt lgkmcnt(0)
	s_delay_alu instid0(VALU_DEP_1)
	v_dual_add_f32 v4, v10, v4 :: v_dual_lshlrev_b32 v7, 2, v7
	ds_bpermute_b32 v3, v3, v11
	ds_bpermute_b32 v6, v5, v4
	s_waitcnt lgkmcnt(0)
	v_dual_add_f32 v4, v4, v6 :: v_dual_add_f32 v3, v11, v3
	ds_bpermute_b32 v5, v5, v3
	s_waitcnt lgkmcnt(0)
	v_add_f32_e32 v3, v3, v5
	ds_bpermute_b32 v5, v7, v4
	ds_bpermute_b32 v6, v7, v3
	v_xor_b32_e32 v7, 2, v2
	s_delay_alu instid0(VALU_DEP_1) | instskip(SKIP_2) | instid1(VALU_DEP_1)
	v_cmp_gt_i32_e32 vcc_lo, 32, v7
	s_waitcnt lgkmcnt(1)
	v_dual_cndmask_b32 v7, v2, v7 :: v_dual_add_f32 v4, v4, v5
	v_lshlrev_b32_e32 v7, 2, v7
	s_waitcnt lgkmcnt(0)
	v_add_f32_e32 v3, v3, v6
	ds_bpermute_b32 v5, v7, v4
	ds_bpermute_b32 v6, v7, v3
	v_xor_b32_e32 v7, 1, v2
	s_delay_alu instid0(VALU_DEP_1) | instskip(SKIP_3) | instid1(VALU_DEP_2)
	v_cmp_gt_i32_e32 vcc_lo, 32, v7
	v_cndmask_b32_e32 v2, v2, v7, vcc_lo
	v_cmp_eq_u32_e32 vcc_lo, 31, v0
	s_waitcnt lgkmcnt(1)
	v_dual_add_f32 v2, v4, v5 :: v_dual_lshlrev_b32 v7, 2, v2
	s_waitcnt lgkmcnt(0)
	v_add_f32_e32 v3, v3, v6
	ds_bpermute_b32 v4, v7, v2
	ds_bpermute_b32 v5, v7, v3
	s_and_b32 exec_lo, exec_lo, vcc_lo
	s_cbranch_execz .LBB58_23
; %bb.19:
	s_load_b64 s[0:1], s[0:1], 0x38
	s_waitcnt lgkmcnt(0)
	v_dual_add_f32 v0, v2, v4 :: v_dual_add_f32 v3, v3, v5
	v_cmp_eq_f32_e64 s3, s12, 0
	s_delay_alu instid0(VALU_DEP_2) | instskip(SKIP_1) | instid1(VALU_DEP_3)
	v_dual_mul_f32 v2, s16, v0 :: v_dual_mul_f32 v3, s16, v3
	v_lshlrev_b32_e32 v0, 1, v1
	s_and_b32 vcc_lo, exec_lo, s3
	s_cbranch_vccz .LBB58_21
; %bb.20:
	s_delay_alu instid0(VALU_DEP_1) | instskip(SKIP_1) | instid1(VALU_DEP_1)
	v_ashrrev_i32_e32 v1, 31, v0
	s_mov_b32 s2, 0
	v_lshlrev_b64 v[4:5], 2, v[0:1]
	s_delay_alu instid0(VALU_DEP_1) | instskip(NEXT) | instid1(VALU_DEP_2)
	v_add_co_u32 v4, vcc_lo, s0, v4
	v_add_co_ci_u32_e32 v5, vcc_lo, s1, v5, vcc_lo
	global_store_b64 v[4:5], v[2:3], off
.LBB58_21:
	s_and_not1_b32 vcc_lo, exec_lo, s2
	s_cbranch_vccnz .LBB58_23
; %bb.22:
	v_ashrrev_i32_e32 v1, 31, v0
	s_delay_alu instid0(VALU_DEP_1) | instskip(NEXT) | instid1(VALU_DEP_1)
	v_lshlrev_b64 v[0:1], 2, v[0:1]
	v_add_co_u32 v0, vcc_lo, s0, v0
	s_delay_alu instid0(VALU_DEP_2)
	v_add_co_ci_u32_e32 v1, vcc_lo, s1, v1, vcc_lo
	global_load_b64 v[4:5], v[0:1], off
	s_waitcnt vmcnt(0)
	v_dual_fmac_f32 v2, s12, v4 :: v_dual_fmac_f32 v3, s12, v5
	global_store_b64 v[0:1], v[2:3], off
.LBB58_23:
	s_nop 0
	s_sendmsg sendmsg(MSG_DEALLOC_VGPRS)
	s_endpgm
	.section	.rodata,"a",@progbits
	.p2align	6, 0x0
	.amdhsa_kernel _ZN9rocsparseL19gebsrmvn_2xn_kernelILj128ELj13ELj32EfEEvi20rocsparse_direction_NS_24const_host_device_scalarIT2_EEPKiS6_PKS3_S8_S4_PS3_21rocsparse_index_base_b
		.amdhsa_group_segment_fixed_size 0
		.amdhsa_private_segment_fixed_size 0
		.amdhsa_kernarg_size 72
		.amdhsa_user_sgpr_count 15
		.amdhsa_user_sgpr_dispatch_ptr 0
		.amdhsa_user_sgpr_queue_ptr 0
		.amdhsa_user_sgpr_kernarg_segment_ptr 1
		.amdhsa_user_sgpr_dispatch_id 0
		.amdhsa_user_sgpr_private_segment_size 0
		.amdhsa_wavefront_size32 1
		.amdhsa_uses_dynamic_stack 0
		.amdhsa_enable_private_segment 0
		.amdhsa_system_sgpr_workgroup_id_x 1
		.amdhsa_system_sgpr_workgroup_id_y 0
		.amdhsa_system_sgpr_workgroup_id_z 0
		.amdhsa_system_sgpr_workgroup_info 0
		.amdhsa_system_vgpr_workitem_id 0
		.amdhsa_next_free_vgpr 54
		.amdhsa_next_free_sgpr 20
		.amdhsa_reserve_vcc 1
		.amdhsa_float_round_mode_32 0
		.amdhsa_float_round_mode_16_64 0
		.amdhsa_float_denorm_mode_32 3
		.amdhsa_float_denorm_mode_16_64 3
		.amdhsa_dx10_clamp 1
		.amdhsa_ieee_mode 1
		.amdhsa_fp16_overflow 0
		.amdhsa_workgroup_processor_mode 1
		.amdhsa_memory_ordered 1
		.amdhsa_forward_progress 0
		.amdhsa_shared_vgpr_count 0
		.amdhsa_exception_fp_ieee_invalid_op 0
		.amdhsa_exception_fp_denorm_src 0
		.amdhsa_exception_fp_ieee_div_zero 0
		.amdhsa_exception_fp_ieee_overflow 0
		.amdhsa_exception_fp_ieee_underflow 0
		.amdhsa_exception_fp_ieee_inexact 0
		.amdhsa_exception_int_div_zero 0
	.end_amdhsa_kernel
	.section	.text._ZN9rocsparseL19gebsrmvn_2xn_kernelILj128ELj13ELj32EfEEvi20rocsparse_direction_NS_24const_host_device_scalarIT2_EEPKiS6_PKS3_S8_S4_PS3_21rocsparse_index_base_b,"axG",@progbits,_ZN9rocsparseL19gebsrmvn_2xn_kernelILj128ELj13ELj32EfEEvi20rocsparse_direction_NS_24const_host_device_scalarIT2_EEPKiS6_PKS3_S8_S4_PS3_21rocsparse_index_base_b,comdat
.Lfunc_end58:
	.size	_ZN9rocsparseL19gebsrmvn_2xn_kernelILj128ELj13ELj32EfEEvi20rocsparse_direction_NS_24const_host_device_scalarIT2_EEPKiS6_PKS3_S8_S4_PS3_21rocsparse_index_base_b, .Lfunc_end58-_ZN9rocsparseL19gebsrmvn_2xn_kernelILj128ELj13ELj32EfEEvi20rocsparse_direction_NS_24const_host_device_scalarIT2_EEPKiS6_PKS3_S8_S4_PS3_21rocsparse_index_base_b
                                        ; -- End function
	.section	.AMDGPU.csdata,"",@progbits
; Kernel info:
; codeLenInByte = 3608
; NumSgprs: 22
; NumVgprs: 54
; ScratchSize: 0
; MemoryBound: 0
; FloatMode: 240
; IeeeMode: 1
; LDSByteSize: 0 bytes/workgroup (compile time only)
; SGPRBlocks: 2
; VGPRBlocks: 6
; NumSGPRsForWavesPerEU: 22
; NumVGPRsForWavesPerEU: 54
; Occupancy: 16
; WaveLimiterHint : 1
; COMPUTE_PGM_RSRC2:SCRATCH_EN: 0
; COMPUTE_PGM_RSRC2:USER_SGPR: 15
; COMPUTE_PGM_RSRC2:TRAP_HANDLER: 0
; COMPUTE_PGM_RSRC2:TGID_X_EN: 1
; COMPUTE_PGM_RSRC2:TGID_Y_EN: 0
; COMPUTE_PGM_RSRC2:TGID_Z_EN: 0
; COMPUTE_PGM_RSRC2:TIDIG_COMP_CNT: 0
	.section	.text._ZN9rocsparseL19gebsrmvn_2xn_kernelILj128ELj13ELj64EfEEvi20rocsparse_direction_NS_24const_host_device_scalarIT2_EEPKiS6_PKS3_S8_S4_PS3_21rocsparse_index_base_b,"axG",@progbits,_ZN9rocsparseL19gebsrmvn_2xn_kernelILj128ELj13ELj64EfEEvi20rocsparse_direction_NS_24const_host_device_scalarIT2_EEPKiS6_PKS3_S8_S4_PS3_21rocsparse_index_base_b,comdat
	.globl	_ZN9rocsparseL19gebsrmvn_2xn_kernelILj128ELj13ELj64EfEEvi20rocsparse_direction_NS_24const_host_device_scalarIT2_EEPKiS6_PKS3_S8_S4_PS3_21rocsparse_index_base_b ; -- Begin function _ZN9rocsparseL19gebsrmvn_2xn_kernelILj128ELj13ELj64EfEEvi20rocsparse_direction_NS_24const_host_device_scalarIT2_EEPKiS6_PKS3_S8_S4_PS3_21rocsparse_index_base_b
	.p2align	8
	.type	_ZN9rocsparseL19gebsrmvn_2xn_kernelILj128ELj13ELj64EfEEvi20rocsparse_direction_NS_24const_host_device_scalarIT2_EEPKiS6_PKS3_S8_S4_PS3_21rocsparse_index_base_b,@function
_ZN9rocsparseL19gebsrmvn_2xn_kernelILj128ELj13ELj64EfEEvi20rocsparse_direction_NS_24const_host_device_scalarIT2_EEPKiS6_PKS3_S8_S4_PS3_21rocsparse_index_base_b: ; @_ZN9rocsparseL19gebsrmvn_2xn_kernelILj128ELj13ELj64EfEEvi20rocsparse_direction_NS_24const_host_device_scalarIT2_EEPKiS6_PKS3_S8_S4_PS3_21rocsparse_index_base_b
; %bb.0:
	s_clause 0x2
	s_load_b64 s[18:19], s[0:1], 0x40
	s_load_b64 s[16:17], s[0:1], 0x8
	;; [unrolled: 1-line block ×3, first 2 shown]
	s_waitcnt lgkmcnt(0)
	s_bitcmp1_b32 s19, 0
	s_cselect_b32 s2, -1, 0
	s_delay_alu instid0(SALU_CYCLE_1)
	s_and_b32 vcc_lo, exec_lo, s2
	s_xor_b32 s2, s2, -1
	s_cbranch_vccnz .LBB59_2
; %bb.1:
	s_load_b32 s16, s[16:17], 0x0
.LBB59_2:
	s_and_not1_b32 vcc_lo, exec_lo, s2
	s_cbranch_vccnz .LBB59_4
; %bb.3:
	s_load_b32 s12, s[12:13], 0x0
.LBB59_4:
	s_waitcnt lgkmcnt(0)
	v_cmp_eq_f32_e64 s2, s16, 0
	v_cmp_eq_f32_e64 s3, s12, 1.0
	s_delay_alu instid0(VALU_DEP_1) | instskip(NEXT) | instid1(SALU_CYCLE_1)
	s_and_b32 s2, s2, s3
	s_and_b32 vcc_lo, exec_lo, s2
	s_cbranch_vccnz .LBB59_23
; %bb.5:
	s_load_b64 s[2:3], s[0:1], 0x0
	v_lshrrev_b32_e32 v1, 6, v0
	s_delay_alu instid0(VALU_DEP_1) | instskip(SKIP_1) | instid1(VALU_DEP_1)
	v_lshl_or_b32 v1, s15, 1, v1
	s_waitcnt lgkmcnt(0)
	v_cmp_gt_i32_e32 vcc_lo, s2, v1
	s_and_saveexec_b32 s2, vcc_lo
	s_cbranch_execz .LBB59_23
; %bb.6:
	s_load_b256 s[4:11], s[0:1], 0x10
	v_ashrrev_i32_e32 v2, 31, v1
	v_and_b32_e32 v0, 63, v0
	s_cmp_lg_u32 s3, 0
	s_delay_alu instid0(VALU_DEP_2) | instskip(SKIP_1) | instid1(VALU_DEP_1)
	v_lshlrev_b64 v[2:3], 2, v[1:2]
	s_waitcnt lgkmcnt(0)
	v_add_co_u32 v2, vcc_lo, s4, v2
	s_delay_alu instid0(VALU_DEP_2) | instskip(SKIP_4) | instid1(VALU_DEP_2)
	v_add_co_ci_u32_e32 v3, vcc_lo, s5, v3, vcc_lo
	global_load_b64 v[2:3], v[2:3], off
	s_waitcnt vmcnt(0)
	v_subrev_nc_u32_e32 v2, s18, v2
	v_subrev_nc_u32_e32 v12, s18, v3
	v_add_nc_u32_e32 v2, v2, v0
	s_delay_alu instid0(VALU_DEP_1)
	v_cmp_lt_i32_e64 s2, v2, v12
	s_cbranch_scc0 .LBB59_12
; %bb.7:
	v_dual_mov_b32 v10, 0 :: v_dual_mov_b32 v11, 0
	s_mov_b32 s3, 0
	s_delay_alu instid0(VALU_DEP_2)
	s_and_saveexec_b32 s4, s2
	s_cbranch_execz .LBB59_11
; %bb.8:
	v_mad_u64_u32 v[3:4], null, v2, 26, 24
	v_dual_mov_b32 v6, 0 :: v_dual_mov_b32 v7, v2
	v_dual_mov_b32 v10, 0 :: v_dual_mov_b32 v11, 0
	s_mov_b32 s5, 0
.LBB59_9:                               ; =>This Inner Loop Header: Depth=1
	s_delay_alu instid0(VALU_DEP_2) | instskip(NEXT) | instid1(VALU_DEP_1)
	v_ashrrev_i32_e32 v8, 31, v7
	v_lshlrev_b64 v[4:5], 2, v[7:8]
	v_add_nc_u32_e32 v7, 64, v7
	s_delay_alu instid0(VALU_DEP_2) | instskip(NEXT) | instid1(VALU_DEP_3)
	v_add_co_u32 v4, vcc_lo, s6, v4
	v_add_co_ci_u32_e32 v5, vcc_lo, s7, v5, vcc_lo
	global_load_b32 v8, v[4:5], off
	v_subrev_nc_u32_e32 v5, 24, v3
	v_mov_b32_e32 v4, v6
	s_delay_alu instid0(VALU_DEP_2) | instskip(SKIP_1) | instid1(VALU_DEP_3)
	v_lshlrev_b64 v[13:14], 2, v[5:6]
	v_subrev_nc_u32_e32 v5, 22, v3
	v_lshlrev_b64 v[15:16], 2, v[3:4]
	s_delay_alu instid0(VALU_DEP_2) | instskip(NEXT) | instid1(VALU_DEP_4)
	v_lshlrev_b64 v[4:5], 2, v[5:6]
	v_add_co_u32 v13, vcc_lo, s8, v13
	v_add_co_ci_u32_e32 v14, vcc_lo, s9, v14, vcc_lo
	s_delay_alu instid0(VALU_DEP_4)
	v_add_co_u32 v15, vcc_lo, s8, v15
	v_add_co_ci_u32_e32 v16, vcc_lo, s9, v16, vcc_lo
	v_add_co_u32 v4, vcc_lo, s8, v4
	v_add_co_ci_u32_e32 v5, vcc_lo, s9, v5, vcc_lo
	s_clause 0x1
	global_load_b64 v[13:14], v[13:14], off
	global_load_b64 v[17:18], v[4:5], off
	v_mov_b32_e32 v9, v6
	s_waitcnt vmcnt(2)
	v_subrev_nc_u32_e32 v4, s18, v8
	s_delay_alu instid0(VALU_DEP_1) | instskip(NEXT) | instid1(VALU_DEP_1)
	v_mul_lo_u32 v8, v4, 13
	v_add_nc_u32_e32 v5, 1, v8
	v_lshlrev_b64 v[19:20], 2, v[8:9]
	s_delay_alu instid0(VALU_DEP_2) | instskip(SKIP_1) | instid1(VALU_DEP_3)
	v_lshlrev_b64 v[21:22], 2, v[5:6]
	v_subrev_nc_u32_e32 v5, 20, v3
	v_add_co_u32 v19, vcc_lo, s10, v19
	s_delay_alu instid0(VALU_DEP_4) | instskip(NEXT) | instid1(VALU_DEP_4)
	v_add_co_ci_u32_e32 v20, vcc_lo, s11, v20, vcc_lo
	v_add_co_u32 v21, vcc_lo, s10, v21
	v_add_co_ci_u32_e32 v22, vcc_lo, s11, v22, vcc_lo
	global_load_b32 v43, v[19:20], off
	v_lshlrev_b64 v[23:24], 2, v[5:6]
	global_load_b32 v44, v[21:22], off
	v_add_co_u32 v21, vcc_lo, s8, v23
	v_add_co_ci_u32_e32 v22, vcc_lo, s9, v24, vcc_lo
	global_load_b64 v[21:22], v[21:22], off
	s_waitcnt vmcnt(2)
	v_fmac_f32_e32 v10, v13, v43
	s_waitcnt vmcnt(1)
	s_delay_alu instid0(VALU_DEP_1) | instskip(SKIP_1) | instid1(VALU_DEP_2)
	v_dual_fmac_f32 v11, v14, v43 :: v_dual_fmac_f32 v10, v17, v44
	v_add_nc_u32_e32 v5, 2, v8
	v_fmac_f32_e32 v11, v18, v44
	s_delay_alu instid0(VALU_DEP_2) | instskip(SKIP_1) | instid1(VALU_DEP_1)
	v_lshlrev_b64 v[19:20], 2, v[5:6]
	v_subrev_nc_u32_e32 v5, 18, v3
	v_lshlrev_b64 v[23:24], 2, v[5:6]
	v_add_nc_u32_e32 v5, 3, v8
	s_delay_alu instid0(VALU_DEP_4) | instskip(SKIP_1) | instid1(VALU_DEP_3)
	v_add_co_u32 v19, vcc_lo, s10, v19
	v_add_co_ci_u32_e32 v20, vcc_lo, s11, v20, vcc_lo
	v_lshlrev_b64 v[25:26], 2, v[5:6]
	v_add_nc_u32_e32 v5, -16, v3
	global_load_b32 v45, v[19:20], off
	v_add_co_u32 v19, vcc_lo, s8, v23
	v_add_co_ci_u32_e32 v20, vcc_lo, s9, v24, vcc_lo
	v_lshlrev_b64 v[23:24], 2, v[5:6]
	v_add_co_u32 v25, vcc_lo, s10, v25
	v_add_co_ci_u32_e32 v26, vcc_lo, s11, v26, vcc_lo
	s_delay_alu instid0(VALU_DEP_3) | instskip(NEXT) | instid1(VALU_DEP_4)
	v_add_co_u32 v23, vcc_lo, s8, v23
	v_add_co_ci_u32_e32 v24, vcc_lo, s9, v24, vcc_lo
	global_load_b32 v46, v[25:26], off
	global_load_b64 v[23:24], v[23:24], off
	v_add_nc_u32_e32 v5, 4, v8
	global_load_b64 v[19:20], v[19:20], off
	v_lshlrev_b64 v[27:28], 2, v[5:6]
	v_add_nc_u32_e32 v5, -14, v3
	s_delay_alu instid0(VALU_DEP_2) | instskip(NEXT) | instid1(VALU_DEP_3)
	v_add_co_u32 v27, vcc_lo, s10, v27
	v_add_co_ci_u32_e32 v28, vcc_lo, s11, v28, vcc_lo
	global_load_b32 v47, v[27:28], off
	v_lshlrev_b64 v[25:26], 2, v[5:6]
	v_add_nc_u32_e32 v5, 5, v8
	s_delay_alu instid0(VALU_DEP_1) | instskip(SKIP_1) | instid1(VALU_DEP_4)
	v_lshlrev_b64 v[29:30], 2, v[5:6]
	v_add_nc_u32_e32 v5, -12, v3
	v_add_co_u32 v25, vcc_lo, s8, v25
	v_add_co_ci_u32_e32 v26, vcc_lo, s9, v26, vcc_lo
	s_delay_alu instid0(VALU_DEP_3) | instskip(SKIP_3) | instid1(VALU_DEP_3)
	v_lshlrev_b64 v[27:28], 2, v[5:6]
	v_add_nc_u32_e32 v5, 6, v8
	v_add_co_u32 v29, vcc_lo, s10, v29
	v_add_co_ci_u32_e32 v30, vcc_lo, s11, v30, vcc_lo
	v_lshlrev_b64 v[31:32], 2, v[5:6]
	v_add_co_u32 v27, vcc_lo, s8, v27
	v_add_co_ci_u32_e32 v28, vcc_lo, s9, v28, vcc_lo
	v_add_nc_u32_e32 v5, -10, v3
	s_delay_alu instid0(VALU_DEP_4)
	v_add_co_u32 v31, vcc_lo, s10, v31
	v_add_co_ci_u32_e32 v32, vcc_lo, s11, v32, vcc_lo
	global_load_b32 v48, v[29:30], off
	s_clause 0x1
	global_load_b64 v[25:26], v[25:26], off
	global_load_b64 v[27:28], v[27:28], off
	global_load_b32 v49, v[31:32], off
	v_lshlrev_b64 v[29:30], 2, v[5:6]
	v_add_nc_u32_e32 v5, 7, v8
	s_delay_alu instid0(VALU_DEP_1) | instskip(SKIP_1) | instid1(VALU_DEP_4)
	v_lshlrev_b64 v[33:34], 2, v[5:6]
	v_add_nc_u32_e32 v5, -8, v3
	v_add_co_u32 v29, vcc_lo, s8, v29
	v_add_co_ci_u32_e32 v30, vcc_lo, s9, v30, vcc_lo
	s_delay_alu instid0(VALU_DEP_3) | instskip(SKIP_3) | instid1(VALU_DEP_3)
	v_lshlrev_b64 v[31:32], 2, v[5:6]
	v_add_nc_u32_e32 v5, 8, v8
	v_add_co_u32 v33, vcc_lo, s10, v33
	v_add_co_ci_u32_e32 v34, vcc_lo, s11, v34, vcc_lo
	v_lshlrev_b64 v[35:36], 2, v[5:6]
	v_add_co_u32 v31, vcc_lo, s8, v31
	v_add_co_ci_u32_e32 v32, vcc_lo, s9, v32, vcc_lo
	v_add_nc_u32_e32 v5, -6, v3
	s_delay_alu instid0(VALU_DEP_4)
	v_add_co_u32 v35, vcc_lo, s10, v35
	v_add_co_ci_u32_e32 v36, vcc_lo, s11, v36, vcc_lo
	global_load_b32 v50, v[33:34], off
	s_clause 0x1
	global_load_b64 v[29:30], v[29:30], off
	global_load_b64 v[31:32], v[31:32], off
	;; [unrolled: 24-line block ×3, first 2 shown]
	global_load_b32 v39, v[39:40], off
	v_lshlrev_b64 v[37:38], 2, v[5:6]
	v_add_nc_u32_e32 v5, 11, v8
	v_add_nc_u32_e32 v3, 0x680, v3
	s_delay_alu instid0(VALU_DEP_2) | instskip(SKIP_3) | instid1(VALU_DEP_3)
	v_lshlrev_b64 v[41:42], 2, v[5:6]
	v_add_nc_u32_e32 v5, 12, v8
	v_add_co_u32 v8, vcc_lo, s8, v37
	v_add_co_ci_u32_e32 v9, vcc_lo, s9, v38, vcc_lo
	v_lshlrev_b64 v[4:5], 2, v[5:6]
	v_add_co_u32 v37, vcc_lo, s10, v41
	v_add_co_ci_u32_e32 v38, vcc_lo, s11, v42, vcc_lo
	global_load_b64 v[8:9], v[8:9], off
	global_load_b32 v37, v[37:38], off
	v_add_co_u32 v4, vcc_lo, s10, v4
	v_add_co_ci_u32_e32 v5, vcc_lo, s11, v5, vcc_lo
	global_load_b64 v[15:16], v[15:16], off
	global_load_b32 v4, v[4:5], off
	v_cmp_ge_i32_e32 vcc_lo, v7, v12
	s_or_b32 s5, vcc_lo, s5
	s_waitcnt vmcnt(20)
	v_fmac_f32_e32 v10, v21, v45
	s_waitcnt vmcnt(17)
	s_delay_alu instid0(VALU_DEP_1) | instskip(SKIP_1) | instid1(VALU_DEP_1)
	v_dual_fmac_f32 v11, v22, v45 :: v_dual_fmac_f32 v10, v19, v46
	s_waitcnt vmcnt(16)
	v_dual_fmac_f32 v11, v20, v46 :: v_dual_fmac_f32 v10, v23, v47
	s_waitcnt vmcnt(14)
	s_delay_alu instid0(VALU_DEP_1) | instskip(SKIP_1) | instid1(VALU_DEP_1)
	v_dual_fmac_f32 v11, v24, v47 :: v_dual_fmac_f32 v10, v25, v48
	s_waitcnt vmcnt(12)
	v_dual_fmac_f32 v11, v26, v48 :: v_dual_fmac_f32 v10, v27, v49
	;; [unrolled: 5-line block ×4, first 2 shown]
	s_delay_alu instid0(VALU_DEP_1) | instskip(SKIP_1) | instid1(VALU_DEP_2)
	v_fmac_f32_e32 v11, v36, v39
	s_waitcnt vmcnt(2)
	v_fmac_f32_e32 v10, v8, v37
	s_waitcnt vmcnt(0)
	s_delay_alu instid0(VALU_DEP_1) | instskip(NEXT) | instid1(VALU_DEP_1)
	v_dual_fmac_f32 v11, v9, v37 :: v_dual_fmac_f32 v10, v15, v4
	v_fmac_f32_e32 v11, v16, v4
	s_and_not1_b32 exec_lo, exec_lo, s5
	s_cbranch_execnz .LBB59_9
; %bb.10:
	s_or_b32 exec_lo, exec_lo, s5
.LBB59_11:
	s_delay_alu instid0(SALU_CYCLE_1) | instskip(NEXT) | instid1(SALU_CYCLE_1)
	s_or_b32 exec_lo, exec_lo, s4
	s_and_not1_b32 vcc_lo, exec_lo, s3
	s_cbranch_vccz .LBB59_13
	s_branch .LBB59_18
.LBB59_12:
                                        ; implicit-def: $vgpr10
                                        ; implicit-def: $vgpr11
.LBB59_13:
	v_dual_mov_b32 v10, 0 :: v_dual_mov_b32 v11, 0
	s_delay_alu instid0(VALU_DEP_2)
	s_and_saveexec_b32 s3, s2
	s_cbranch_execz .LBB59_17
; %bb.14:
	v_mad_u64_u32 v[4:5], null, v2, 26, 25
	v_dual_mov_b32 v7, 0 :: v_dual_mov_b32 v10, 0
	v_mov_b32_e32 v11, 0
	s_mov_b32 s2, 0
.LBB59_15:                              ; =>This Inner Loop Header: Depth=1
	v_ashrrev_i32_e32 v3, 31, v2
	s_delay_alu instid0(VALU_DEP_3) | instskip(NEXT) | instid1(VALU_DEP_2)
	v_dual_mov_b32 v14, v7 :: v_dual_add_nc_u32 v13, -12, v4
	v_lshlrev_b64 v[5:6], 2, v[2:3]
	v_add_nc_u32_e32 v2, 64, v2
	s_delay_alu instid0(VALU_DEP_3) | instskip(NEXT) | instid1(VALU_DEP_3)
	v_lshlrev_b64 v[13:14], 2, v[13:14]
	v_add_co_u32 v5, vcc_lo, s6, v5
	s_delay_alu instid0(VALU_DEP_4) | instskip(SKIP_3) | instid1(VALU_DEP_2)
	v_add_co_ci_u32_e32 v6, vcc_lo, s7, v6, vcc_lo
	global_load_b32 v3, v[5:6], off
	v_subrev_nc_u32_e32 v6, 25, v4
	v_mov_b32_e32 v5, v7
	v_lshlrev_b64 v[15:16], 2, v[6:7]
	s_delay_alu instid0(VALU_DEP_2) | instskip(NEXT) | instid1(VALU_DEP_2)
	v_lshlrev_b64 v[5:6], 2, v[4:5]
	v_add_co_u32 v15, vcc_lo, s8, v15
	s_delay_alu instid0(VALU_DEP_3)
	v_add_co_ci_u32_e32 v16, vcc_lo, s9, v16, vcc_lo
	v_add_co_u32 v13, vcc_lo, s8, v13
	v_add_co_ci_u32_e32 v14, vcc_lo, s9, v14, vcc_lo
	v_add_co_u32 v17, vcc_lo, s8, v5
	v_add_co_ci_u32_e32 v18, vcc_lo, s9, v6, vcc_lo
	s_clause 0x1
	global_load_b64 v[15:16], v[15:16], off
	global_load_b32 v23, v[13:14], off
	s_waitcnt vmcnt(2)
	v_subrev_nc_u32_e32 v3, s18, v3
	s_delay_alu instid0(VALU_DEP_1) | instskip(NEXT) | instid1(VALU_DEP_1)
	v_mul_lo_u32 v8, v3, 13
	v_dual_mov_b32 v9, v7 :: v_dual_add_nc_u32 v6, 1, v8
	s_delay_alu instid0(VALU_DEP_1) | instskip(NEXT) | instid1(VALU_DEP_2)
	v_lshlrev_b64 v[13:14], 2, v[8:9]
	v_lshlrev_b64 v[19:20], 2, v[6:7]
	v_add_nc_u32_e32 v6, -11, v4
	s_delay_alu instid0(VALU_DEP_3) | instskip(NEXT) | instid1(VALU_DEP_4)
	v_add_co_u32 v13, vcc_lo, s10, v13
	v_add_co_ci_u32_e32 v14, vcc_lo, s11, v14, vcc_lo
	s_delay_alu instid0(VALU_DEP_3)
	v_lshlrev_b64 v[21:22], 2, v[6:7]
	v_subrev_nc_u32_e32 v6, 23, v4
	global_load_b32 v3, v[13:14], off
	v_add_co_u32 v13, vcc_lo, s10, v19
	v_add_co_ci_u32_e32 v14, vcc_lo, s11, v20, vcc_lo
	v_add_co_u32 v21, vcc_lo, s8, v21
	v_add_co_ci_u32_e32 v22, vcc_lo, s9, v22, vcc_lo
	global_load_b32 v24, v[13:14], off
	v_lshlrev_b64 v[19:20], 2, v[6:7]
	v_add_nc_u32_e32 v6, 2, v8
	global_load_b32 v25, v[21:22], off
	v_add_co_u32 v19, vcc_lo, s8, v19
	v_add_co_ci_u32_e32 v20, vcc_lo, s9, v20, vcc_lo
	global_load_b32 v26, v[19:20], off
	s_waitcnt vmcnt(3)
	v_fmac_f32_e32 v11, v23, v3
	v_lshlrev_b64 v[13:14], 2, v[6:7]
	v_fmac_f32_e32 v10, v15, v3
	s_delay_alu instid0(VALU_DEP_2) | instskip(NEXT) | instid1(VALU_DEP_3)
	v_add_co_u32 v13, vcc_lo, s10, v13
	v_add_co_ci_u32_e32 v14, vcc_lo, s11, v14, vcc_lo
	s_waitcnt vmcnt(1)
	v_fmac_f32_e32 v11, v25, v24
	v_fmac_f32_e32 v10, v16, v24
	global_load_b32 v27, v[13:14], off
	v_add_nc_u32_e32 v6, -10, v4
	s_delay_alu instid0(VALU_DEP_1) | instskip(SKIP_1) | instid1(VALU_DEP_2)
	v_lshlrev_b64 v[21:22], 2, v[6:7]
	v_subrev_nc_u32_e32 v6, 22, v4
	v_add_co_u32 v13, vcc_lo, s8, v21
	s_delay_alu instid0(VALU_DEP_3) | instskip(SKIP_2) | instid1(VALU_DEP_1)
	v_add_co_ci_u32_e32 v14, vcc_lo, s9, v22, vcc_lo
	global_load_b32 v28, v[13:14], off
	v_lshlrev_b64 v[19:20], 2, v[6:7]
	v_add_co_u32 v19, vcc_lo, s8, v19
	s_delay_alu instid0(VALU_DEP_2) | instskip(SKIP_3) | instid1(VALU_DEP_1)
	v_add_co_ci_u32_e32 v20, vcc_lo, s9, v20, vcc_lo
	global_load_b32 v29, v[19:20], off
	s_waitcnt vmcnt(1)
	v_dual_fmac_f32 v11, v28, v27 :: v_dual_add_nc_u32 v6, 3, v8
	v_lshlrev_b64 v[21:22], 2, v[6:7]
	v_add_nc_u32_e32 v6, -9, v4
	s_delay_alu instid0(VALU_DEP_1) | instskip(SKIP_1) | instid1(VALU_DEP_4)
	v_lshlrev_b64 v[13:14], 2, v[6:7]
	v_subrev_nc_u32_e32 v6, 21, v4
	v_add_co_u32 v19, vcc_lo, s10, v21
	v_add_co_ci_u32_e32 v20, vcc_lo, s11, v22, vcc_lo
	s_delay_alu instid0(VALU_DEP_3)
	v_lshlrev_b64 v[21:22], 2, v[6:7]
	v_add_nc_u32_e32 v6, 4, v8
	v_add_co_u32 v13, vcc_lo, s8, v13
	v_add_co_ci_u32_e32 v14, vcc_lo, s9, v14, vcc_lo
	global_load_b32 v30, v[19:20], off
	v_lshlrev_b64 v[19:20], 2, v[6:7]
	v_add_nc_u32_e32 v6, -8, v4
	global_load_b32 v31, v[13:14], off
	v_add_co_u32 v13, vcc_lo, s8, v21
	v_add_co_ci_u32_e32 v14, vcc_lo, s9, v22, vcc_lo
	v_lshlrev_b64 v[21:22], 2, v[6:7]
	v_subrev_nc_u32_e32 v6, 20, v4
	v_add_co_u32 v19, vcc_lo, s10, v19
	v_add_co_ci_u32_e32 v20, vcc_lo, s11, v20, vcc_lo
	global_load_b32 v32, v[13:14], off
	v_lshlrev_b64 v[13:14], 2, v[6:7]
	v_add_nc_u32_e32 v6, 5, v8
	global_load_b32 v33, v[19:20], off
	v_add_co_u32 v19, vcc_lo, s8, v21
	v_add_co_ci_u32_e32 v20, vcc_lo, s9, v22, vcc_lo
	v_add_co_u32 v13, vcc_lo, s8, v13
	v_lshlrev_b64 v[21:22], 2, v[6:7]
	v_add_nc_u32_e32 v6, -7, v4
	v_add_co_ci_u32_e32 v14, vcc_lo, s9, v14, vcc_lo
	s_clause 0x1
	global_load_b32 v34, v[19:20], off
	global_load_b32 v35, v[13:14], off
	v_lshlrev_b64 v[19:20], 2, v[6:7]
	v_subrev_nc_u32_e32 v6, 19, v4
	v_add_co_u32 v13, vcc_lo, s10, v21
	v_add_co_ci_u32_e32 v14, vcc_lo, s11, v22, vcc_lo
	s_delay_alu instid0(VALU_DEP_3)
	v_lshlrev_b64 v[21:22], 2, v[6:7]
	v_add_nc_u32_e32 v6, 6, v8
	v_add_co_u32 v19, vcc_lo, s8, v19
	v_add_co_ci_u32_e32 v20, vcc_lo, s9, v20, vcc_lo
	global_load_b32 v36, v[13:14], off
	v_lshlrev_b64 v[13:14], 2, v[6:7]
	v_add_nc_u32_e32 v6, -6, v4
	global_load_b32 v37, v[19:20], off
	v_add_co_u32 v19, vcc_lo, s8, v21
	v_add_co_ci_u32_e32 v20, vcc_lo, s9, v22, vcc_lo
	v_add_co_u32 v13, vcc_lo, s10, v13
	v_lshlrev_b64 v[21:22], 2, v[6:7]
	v_add_co_ci_u32_e32 v14, vcc_lo, s11, v14, vcc_lo
	v_subrev_nc_u32_e32 v6, 18, v4
	global_load_b32 v38, v[19:20], off
	global_load_b32 v39, v[13:14], off
	v_add_co_u32 v13, vcc_lo, s8, v21
	v_add_co_ci_u32_e32 v14, vcc_lo, s9, v22, vcc_lo
	global_load_b32 v40, v[13:14], off
	v_lshlrev_b64 v[19:20], 2, v[6:7]
	v_add_nc_u32_e32 v6, 7, v8
	s_delay_alu instid0(VALU_DEP_1) | instskip(SKIP_1) | instid1(VALU_DEP_4)
	v_lshlrev_b64 v[21:22], 2, v[6:7]
	v_add_nc_u32_e32 v6, -5, v4
	v_add_co_u32 v19, vcc_lo, s8, v19
	v_add_co_ci_u32_e32 v20, vcc_lo, s9, v20, vcc_lo
	s_delay_alu instid0(VALU_DEP_3)
	v_lshlrev_b64 v[13:14], 2, v[6:7]
	v_subrev_nc_u32_e32 v6, 17, v4
	global_load_b32 v41, v[19:20], off
	v_add_co_u32 v19, vcc_lo, s10, v21
	v_add_co_ci_u32_e32 v20, vcc_lo, s11, v22, vcc_lo
	v_lshlrev_b64 v[21:22], 2, v[6:7]
	v_add_nc_u32_e32 v6, 8, v8
	v_add_co_u32 v13, vcc_lo, s8, v13
	v_add_co_ci_u32_e32 v14, vcc_lo, s9, v14, vcc_lo
	global_load_b32 v42, v[19:20], off
	v_lshlrev_b64 v[19:20], 2, v[6:7]
	v_add_nc_u32_e32 v6, -4, v4
	global_load_b32 v43, v[13:14], off
	v_add_co_u32 v13, vcc_lo, s8, v21
	v_add_co_ci_u32_e32 v14, vcc_lo, s9, v22, vcc_lo
	v_lshlrev_b64 v[21:22], 2, v[6:7]
	v_add_nc_u32_e32 v6, -16, v4
	v_add_co_u32 v19, vcc_lo, s10, v19
	v_add_co_ci_u32_e32 v20, vcc_lo, s11, v20, vcc_lo
	global_load_b32 v44, v[13:14], off
	v_lshlrev_b64 v[13:14], 2, v[6:7]
	v_add_nc_u32_e32 v6, 9, v8
	global_load_b32 v45, v[19:20], off
	v_add_co_u32 v19, vcc_lo, s8, v21
	v_add_co_ci_u32_e32 v20, vcc_lo, s9, v22, vcc_lo
	v_add_co_u32 v13, vcc_lo, s8, v13
	v_lshlrev_b64 v[21:22], 2, v[6:7]
	v_add_nc_u32_e32 v6, -3, v4
	v_add_co_ci_u32_e32 v14, vcc_lo, s9, v14, vcc_lo
	s_clause 0x1
	global_load_b32 v46, v[19:20], off
	global_load_b32 v47, v[13:14], off
	v_lshlrev_b64 v[19:20], 2, v[6:7]
	v_add_nc_u32_e32 v6, -15, v4
	v_add_co_u32 v13, vcc_lo, s10, v21
	v_add_co_ci_u32_e32 v14, vcc_lo, s11, v22, vcc_lo
	s_delay_alu instid0(VALU_DEP_3)
	v_lshlrev_b64 v[21:22], 2, v[6:7]
	v_add_nc_u32_e32 v6, 10, v8
	v_add_co_u32 v19, vcc_lo, s8, v19
	v_add_co_ci_u32_e32 v20, vcc_lo, s9, v20, vcc_lo
	global_load_b32 v48, v[13:14], off
	v_lshlrev_b64 v[13:14], 2, v[6:7]
	v_add_nc_u32_e32 v6, -2, v4
	global_load_b32 v49, v[19:20], off
	v_add_co_u32 v19, vcc_lo, s8, v21
	v_add_co_ci_u32_e32 v20, vcc_lo, s9, v22, vcc_lo
	v_add_co_u32 v13, vcc_lo, s10, v13
	v_lshlrev_b64 v[21:22], 2, v[6:7]
	v_add_co_ci_u32_e32 v14, vcc_lo, s11, v14, vcc_lo
	v_add_nc_u32_e32 v6, -14, v4
	global_load_b32 v50, v[19:20], off
	global_load_b32 v51, v[13:14], off
	v_add_co_u32 v13, vcc_lo, s8, v21
	v_add_co_ci_u32_e32 v14, vcc_lo, s9, v22, vcc_lo
	global_load_b32 v52, v[13:14], off
	v_lshlrev_b64 v[19:20], 2, v[6:7]
	v_add_nc_u32_e32 v6, 11, v8
	s_delay_alu instid0(VALU_DEP_1) | instskip(SKIP_1) | instid1(VALU_DEP_4)
	v_lshlrev_b64 v[21:22], 2, v[6:7]
	v_add_nc_u32_e32 v6, -1, v4
	v_add_co_u32 v19, vcc_lo, s8, v19
	v_add_co_ci_u32_e32 v20, vcc_lo, s9, v20, vcc_lo
	s_delay_alu instid0(VALU_DEP_3)
	v_lshlrev_b64 v[13:14], 2, v[6:7]
	v_add_nc_u32_e32 v6, -13, v4
	v_add_nc_u32_e32 v4, 0x680, v4
	global_load_b32 v53, v[19:20], off
	v_add_co_u32 v19, vcc_lo, s10, v21
	v_add_co_ci_u32_e32 v20, vcc_lo, s11, v22, vcc_lo
	v_lshlrev_b64 v[21:22], 2, v[6:7]
	v_add_nc_u32_e32 v6, 12, v8
	v_add_co_u32 v8, vcc_lo, s8, v13
	v_add_co_ci_u32_e32 v9, vcc_lo, s9, v14, vcc_lo
	s_delay_alu instid0(VALU_DEP_3)
	v_lshlrev_b64 v[5:6], 2, v[6:7]
	global_load_b32 v13, v[19:20], off
	global_load_b32 v14, v[8:9], off
	v_add_co_u32 v8, vcc_lo, s8, v21
	v_add_co_ci_u32_e32 v9, vcc_lo, s9, v22, vcc_lo
	v_add_co_u32 v5, vcc_lo, s10, v5
	v_add_co_ci_u32_e32 v6, vcc_lo, s11, v6, vcc_lo
	s_clause 0x1
	global_load_b32 v17, v[17:18], off
	global_load_b32 v8, v[8:9], off
	;; [unrolled: 1-line block ×3, first 2 shown]
	v_cmp_ge_i32_e32 vcc_lo, v2, v12
	s_or_b32 s2, vcc_lo, s2
	s_waitcnt vmcnt(27)
	v_fmac_f32_e32 v11, v31, v30
	s_waitcnt vmcnt(24)
	s_delay_alu instid0(VALU_DEP_1) | instskip(SKIP_1) | instid1(VALU_DEP_1)
	v_fmac_f32_e32 v11, v34, v33
	s_waitcnt vmcnt(21)
	v_dual_fmac_f32 v10, v26, v27 :: v_dual_fmac_f32 v11, v37, v36
	s_waitcnt vmcnt(18)
	s_delay_alu instid0(VALU_DEP_1) | instskip(SKIP_1) | instid1(VALU_DEP_1)
	v_dual_fmac_f32 v10, v29, v30 :: v_dual_fmac_f32 v11, v40, v39
	s_waitcnt vmcnt(15)
	v_fmac_f32_e32 v11, v43, v42
	s_waitcnt vmcnt(12)
	s_delay_alu instid0(VALU_DEP_1) | instskip(SKIP_1) | instid1(VALU_DEP_1)
	v_fmac_f32_e32 v11, v46, v45
	s_waitcnt vmcnt(9)
	v_dual_fmac_f32 v10, v32, v33 :: v_dual_fmac_f32 v11, v49, v48
	s_delay_alu instid0(VALU_DEP_1) | instskip(NEXT) | instid1(VALU_DEP_1)
	v_fmac_f32_e32 v10, v35, v36
	v_fmac_f32_e32 v10, v38, v39
	s_delay_alu instid0(VALU_DEP_1) | instskip(NEXT) | instid1(VALU_DEP_1)
	v_fmac_f32_e32 v10, v41, v42
	v_fmac_f32_e32 v10, v44, v45
	s_waitcnt vmcnt(6)
	s_delay_alu instid0(VALU_DEP_1) | instskip(NEXT) | instid1(VALU_DEP_1)
	v_dual_fmac_f32 v10, v47, v48 :: v_dual_fmac_f32 v11, v52, v51
	v_fmac_f32_e32 v10, v50, v51
	s_waitcnt vmcnt(4)
	s_delay_alu instid0(VALU_DEP_1) | instskip(SKIP_3) | instid1(VALU_DEP_2)
	v_fmac_f32_e32 v10, v53, v13
	s_waitcnt vmcnt(3)
	v_fmac_f32_e32 v11, v14, v13
	s_waitcnt vmcnt(0)
	v_fmac_f32_e32 v10, v8, v5
	s_delay_alu instid0(VALU_DEP_2)
	v_fmac_f32_e32 v11, v17, v5
	s_and_not1_b32 exec_lo, exec_lo, s2
	s_cbranch_execnz .LBB59_15
; %bb.16:
	s_or_b32 exec_lo, exec_lo, s2
.LBB59_17:
	s_delay_alu instid0(SALU_CYCLE_1)
	s_or_b32 exec_lo, exec_lo, s3
.LBB59_18:
	v_mbcnt_lo_u32_b32 v2, -1, 0
	s_mov_b32 s2, -1
	s_delay_alu instid0(VALU_DEP_1) | instskip(SKIP_2) | instid1(VALU_DEP_3)
	v_or_b32_e32 v3, 32, v2
	v_xor_b32_e32 v5, 16, v2
	v_xor_b32_e32 v7, 8, v2
	v_cmp_gt_i32_e32 vcc_lo, 32, v3
	v_cndmask_b32_e32 v3, v2, v3, vcc_lo
	s_delay_alu instid0(VALU_DEP_4) | instskip(NEXT) | instid1(VALU_DEP_2)
	v_cmp_gt_i32_e32 vcc_lo, 32, v5
	v_lshlrev_b32_e32 v3, 2, v3
	v_cndmask_b32_e32 v5, v2, v5, vcc_lo
	v_cmp_gt_i32_e32 vcc_lo, 32, v7
	ds_bpermute_b32 v4, v3, v10
	v_lshlrev_b32_e32 v5, 2, v5
	v_cndmask_b32_e32 v7, v2, v7, vcc_lo
	s_waitcnt lgkmcnt(0)
	s_delay_alu instid0(VALU_DEP_1)
	v_dual_add_f32 v4, v10, v4 :: v_dual_lshlrev_b32 v7, 2, v7
	ds_bpermute_b32 v3, v3, v11
	ds_bpermute_b32 v6, v5, v4
	s_waitcnt lgkmcnt(0)
	v_dual_add_f32 v4, v4, v6 :: v_dual_add_f32 v3, v11, v3
	ds_bpermute_b32 v5, v5, v3
	s_waitcnt lgkmcnt(0)
	v_add_f32_e32 v3, v3, v5
	ds_bpermute_b32 v5, v7, v4
	ds_bpermute_b32 v6, v7, v3
	v_xor_b32_e32 v7, 4, v2
	s_delay_alu instid0(VALU_DEP_1) | instskip(SKIP_2) | instid1(VALU_DEP_1)
	v_cmp_gt_i32_e32 vcc_lo, 32, v7
	s_waitcnt lgkmcnt(1)
	v_dual_cndmask_b32 v7, v2, v7 :: v_dual_add_f32 v4, v4, v5
	v_lshlrev_b32_e32 v7, 2, v7
	s_waitcnt lgkmcnt(0)
	v_add_f32_e32 v3, v3, v6
	ds_bpermute_b32 v5, v7, v4
	ds_bpermute_b32 v6, v7, v3
	v_xor_b32_e32 v7, 2, v2
	s_delay_alu instid0(VALU_DEP_1) | instskip(SKIP_2) | instid1(VALU_DEP_1)
	v_cmp_gt_i32_e32 vcc_lo, 32, v7
	v_cndmask_b32_e32 v7, v2, v7, vcc_lo
	s_waitcnt lgkmcnt(1)
	v_dual_add_f32 v4, v4, v5 :: v_dual_lshlrev_b32 v7, 2, v7
	s_waitcnt lgkmcnt(0)
	v_add_f32_e32 v3, v3, v6
	ds_bpermute_b32 v5, v7, v4
	ds_bpermute_b32 v6, v7, v3
	v_xor_b32_e32 v7, 1, v2
	s_delay_alu instid0(VALU_DEP_1) | instskip(SKIP_3) | instid1(VALU_DEP_2)
	v_cmp_gt_i32_e32 vcc_lo, 32, v7
	v_cndmask_b32_e32 v2, v2, v7, vcc_lo
	v_cmp_eq_u32_e32 vcc_lo, 63, v0
	s_waitcnt lgkmcnt(1)
	v_dual_add_f32 v2, v4, v5 :: v_dual_lshlrev_b32 v7, 2, v2
	s_waitcnt lgkmcnt(0)
	v_add_f32_e32 v3, v3, v6
	ds_bpermute_b32 v4, v7, v2
	ds_bpermute_b32 v5, v7, v3
	s_and_b32 exec_lo, exec_lo, vcc_lo
	s_cbranch_execz .LBB59_23
; %bb.19:
	s_load_b64 s[0:1], s[0:1], 0x38
	s_waitcnt lgkmcnt(0)
	v_dual_add_f32 v0, v2, v4 :: v_dual_add_f32 v3, v3, v5
	v_cmp_eq_f32_e64 s3, s12, 0
	s_delay_alu instid0(VALU_DEP_2) | instskip(SKIP_1) | instid1(VALU_DEP_3)
	v_dual_mul_f32 v2, s16, v0 :: v_dual_mul_f32 v3, s16, v3
	v_lshlrev_b32_e32 v0, 1, v1
	s_and_b32 vcc_lo, exec_lo, s3
	s_cbranch_vccz .LBB59_21
; %bb.20:
	s_delay_alu instid0(VALU_DEP_1) | instskip(SKIP_1) | instid1(VALU_DEP_1)
	v_ashrrev_i32_e32 v1, 31, v0
	s_mov_b32 s2, 0
	v_lshlrev_b64 v[4:5], 2, v[0:1]
	s_delay_alu instid0(VALU_DEP_1) | instskip(NEXT) | instid1(VALU_DEP_2)
	v_add_co_u32 v4, vcc_lo, s0, v4
	v_add_co_ci_u32_e32 v5, vcc_lo, s1, v5, vcc_lo
	global_store_b64 v[4:5], v[2:3], off
.LBB59_21:
	s_and_not1_b32 vcc_lo, exec_lo, s2
	s_cbranch_vccnz .LBB59_23
; %bb.22:
	v_ashrrev_i32_e32 v1, 31, v0
	s_delay_alu instid0(VALU_DEP_1) | instskip(NEXT) | instid1(VALU_DEP_1)
	v_lshlrev_b64 v[0:1], 2, v[0:1]
	v_add_co_u32 v0, vcc_lo, s0, v0
	s_delay_alu instid0(VALU_DEP_2)
	v_add_co_ci_u32_e32 v1, vcc_lo, s1, v1, vcc_lo
	global_load_b64 v[4:5], v[0:1], off
	s_waitcnt vmcnt(0)
	v_dual_fmac_f32 v2, s12, v4 :: v_dual_fmac_f32 v3, s12, v5
	global_store_b64 v[0:1], v[2:3], off
.LBB59_23:
	s_nop 0
	s_sendmsg sendmsg(MSG_DEALLOC_VGPRS)
	s_endpgm
	.section	.rodata,"a",@progbits
	.p2align	6, 0x0
	.amdhsa_kernel _ZN9rocsparseL19gebsrmvn_2xn_kernelILj128ELj13ELj64EfEEvi20rocsparse_direction_NS_24const_host_device_scalarIT2_EEPKiS6_PKS3_S8_S4_PS3_21rocsparse_index_base_b
		.amdhsa_group_segment_fixed_size 0
		.amdhsa_private_segment_fixed_size 0
		.amdhsa_kernarg_size 72
		.amdhsa_user_sgpr_count 15
		.amdhsa_user_sgpr_dispatch_ptr 0
		.amdhsa_user_sgpr_queue_ptr 0
		.amdhsa_user_sgpr_kernarg_segment_ptr 1
		.amdhsa_user_sgpr_dispatch_id 0
		.amdhsa_user_sgpr_private_segment_size 0
		.amdhsa_wavefront_size32 1
		.amdhsa_uses_dynamic_stack 0
		.amdhsa_enable_private_segment 0
		.amdhsa_system_sgpr_workgroup_id_x 1
		.amdhsa_system_sgpr_workgroup_id_y 0
		.amdhsa_system_sgpr_workgroup_id_z 0
		.amdhsa_system_sgpr_workgroup_info 0
		.amdhsa_system_vgpr_workitem_id 0
		.amdhsa_next_free_vgpr 54
		.amdhsa_next_free_sgpr 20
		.amdhsa_reserve_vcc 1
		.amdhsa_float_round_mode_32 0
		.amdhsa_float_round_mode_16_64 0
		.amdhsa_float_denorm_mode_32 3
		.amdhsa_float_denorm_mode_16_64 3
		.amdhsa_dx10_clamp 1
		.amdhsa_ieee_mode 1
		.amdhsa_fp16_overflow 0
		.amdhsa_workgroup_processor_mode 1
		.amdhsa_memory_ordered 1
		.amdhsa_forward_progress 0
		.amdhsa_shared_vgpr_count 0
		.amdhsa_exception_fp_ieee_invalid_op 0
		.amdhsa_exception_fp_denorm_src 0
		.amdhsa_exception_fp_ieee_div_zero 0
		.amdhsa_exception_fp_ieee_overflow 0
		.amdhsa_exception_fp_ieee_underflow 0
		.amdhsa_exception_fp_ieee_inexact 0
		.amdhsa_exception_int_div_zero 0
	.end_amdhsa_kernel
	.section	.text._ZN9rocsparseL19gebsrmvn_2xn_kernelILj128ELj13ELj64EfEEvi20rocsparse_direction_NS_24const_host_device_scalarIT2_EEPKiS6_PKS3_S8_S4_PS3_21rocsparse_index_base_b,"axG",@progbits,_ZN9rocsparseL19gebsrmvn_2xn_kernelILj128ELj13ELj64EfEEvi20rocsparse_direction_NS_24const_host_device_scalarIT2_EEPKiS6_PKS3_S8_S4_PS3_21rocsparse_index_base_b,comdat
.Lfunc_end59:
	.size	_ZN9rocsparseL19gebsrmvn_2xn_kernelILj128ELj13ELj64EfEEvi20rocsparse_direction_NS_24const_host_device_scalarIT2_EEPKiS6_PKS3_S8_S4_PS3_21rocsparse_index_base_b, .Lfunc_end59-_ZN9rocsparseL19gebsrmvn_2xn_kernelILj128ELj13ELj64EfEEvi20rocsparse_direction_NS_24const_host_device_scalarIT2_EEPKiS6_PKS3_S8_S4_PS3_21rocsparse_index_base_b
                                        ; -- End function
	.section	.AMDGPU.csdata,"",@progbits
; Kernel info:
; codeLenInByte = 3660
; NumSgprs: 22
; NumVgprs: 54
; ScratchSize: 0
; MemoryBound: 0
; FloatMode: 240
; IeeeMode: 1
; LDSByteSize: 0 bytes/workgroup (compile time only)
; SGPRBlocks: 2
; VGPRBlocks: 6
; NumSGPRsForWavesPerEU: 22
; NumVGPRsForWavesPerEU: 54
; Occupancy: 16
; WaveLimiterHint : 1
; COMPUTE_PGM_RSRC2:SCRATCH_EN: 0
; COMPUTE_PGM_RSRC2:USER_SGPR: 15
; COMPUTE_PGM_RSRC2:TRAP_HANDLER: 0
; COMPUTE_PGM_RSRC2:TGID_X_EN: 1
; COMPUTE_PGM_RSRC2:TGID_Y_EN: 0
; COMPUTE_PGM_RSRC2:TGID_Z_EN: 0
; COMPUTE_PGM_RSRC2:TIDIG_COMP_CNT: 0
	.section	.text._ZN9rocsparseL19gebsrmvn_2xn_kernelILj128ELj14ELj4EfEEvi20rocsparse_direction_NS_24const_host_device_scalarIT2_EEPKiS6_PKS3_S8_S4_PS3_21rocsparse_index_base_b,"axG",@progbits,_ZN9rocsparseL19gebsrmvn_2xn_kernelILj128ELj14ELj4EfEEvi20rocsparse_direction_NS_24const_host_device_scalarIT2_EEPKiS6_PKS3_S8_S4_PS3_21rocsparse_index_base_b,comdat
	.globl	_ZN9rocsparseL19gebsrmvn_2xn_kernelILj128ELj14ELj4EfEEvi20rocsparse_direction_NS_24const_host_device_scalarIT2_EEPKiS6_PKS3_S8_S4_PS3_21rocsparse_index_base_b ; -- Begin function _ZN9rocsparseL19gebsrmvn_2xn_kernelILj128ELj14ELj4EfEEvi20rocsparse_direction_NS_24const_host_device_scalarIT2_EEPKiS6_PKS3_S8_S4_PS3_21rocsparse_index_base_b
	.p2align	8
	.type	_ZN9rocsparseL19gebsrmvn_2xn_kernelILj128ELj14ELj4EfEEvi20rocsparse_direction_NS_24const_host_device_scalarIT2_EEPKiS6_PKS3_S8_S4_PS3_21rocsparse_index_base_b,@function
_ZN9rocsparseL19gebsrmvn_2xn_kernelILj128ELj14ELj4EfEEvi20rocsparse_direction_NS_24const_host_device_scalarIT2_EEPKiS6_PKS3_S8_S4_PS3_21rocsparse_index_base_b: ; @_ZN9rocsparseL19gebsrmvn_2xn_kernelILj128ELj14ELj4EfEEvi20rocsparse_direction_NS_24const_host_device_scalarIT2_EEPKiS6_PKS3_S8_S4_PS3_21rocsparse_index_base_b
; %bb.0:
	s_clause 0x2
	s_load_b64 s[18:19], s[0:1], 0x40
	s_load_b64 s[16:17], s[0:1], 0x8
	;; [unrolled: 1-line block ×3, first 2 shown]
	s_waitcnt lgkmcnt(0)
	s_bitcmp1_b32 s19, 0
	s_cselect_b32 s2, -1, 0
	s_delay_alu instid0(SALU_CYCLE_1)
	s_and_b32 vcc_lo, exec_lo, s2
	s_xor_b32 s2, s2, -1
	s_cbranch_vccnz .LBB60_2
; %bb.1:
	s_load_b32 s16, s[16:17], 0x0
.LBB60_2:
	s_and_not1_b32 vcc_lo, exec_lo, s2
	s_cbranch_vccnz .LBB60_4
; %bb.3:
	s_load_b32 s12, s[12:13], 0x0
.LBB60_4:
	s_waitcnt lgkmcnt(0)
	v_cmp_eq_f32_e64 s2, s16, 0
	v_cmp_eq_f32_e64 s3, s12, 1.0
	s_delay_alu instid0(VALU_DEP_1) | instskip(NEXT) | instid1(SALU_CYCLE_1)
	s_and_b32 s2, s2, s3
	s_and_b32 vcc_lo, exec_lo, s2
	s_cbranch_vccnz .LBB60_23
; %bb.5:
	s_load_b64 s[2:3], s[0:1], 0x0
	v_lshrrev_b32_e32 v1, 2, v0
	s_delay_alu instid0(VALU_DEP_1) | instskip(SKIP_1) | instid1(VALU_DEP_1)
	v_lshl_or_b32 v1, s15, 5, v1
	s_waitcnt lgkmcnt(0)
	v_cmp_gt_i32_e32 vcc_lo, s2, v1
	s_and_saveexec_b32 s2, vcc_lo
	s_cbranch_execz .LBB60_23
; %bb.6:
	s_load_b256 s[4:11], s[0:1], 0x10
	v_ashrrev_i32_e32 v2, 31, v1
	v_and_b32_e32 v0, 3, v0
	s_cmp_lg_u32 s3, 0
	s_delay_alu instid0(VALU_DEP_2) | instskip(SKIP_1) | instid1(VALU_DEP_1)
	v_lshlrev_b64 v[2:3], 2, v[1:2]
	s_waitcnt lgkmcnt(0)
	v_add_co_u32 v2, vcc_lo, s4, v2
	s_delay_alu instid0(VALU_DEP_2) | instskip(SKIP_4) | instid1(VALU_DEP_2)
	v_add_co_ci_u32_e32 v3, vcc_lo, s5, v3, vcc_lo
	global_load_b64 v[2:3], v[2:3], off
	s_waitcnt vmcnt(0)
	v_subrev_nc_u32_e32 v2, s18, v2
	v_subrev_nc_u32_e32 v10, s18, v3
	v_add_nc_u32_e32 v2, v2, v0
	s_delay_alu instid0(VALU_DEP_1)
	v_cmp_lt_i32_e64 s2, v2, v10
	s_cbranch_scc0 .LBB60_12
; %bb.7:
	v_mov_b32_e32 v9, 0
	v_mov_b32_e32 v11, 0
	s_mov_b32 s4, 0
	s_and_saveexec_b32 s5, s2
	s_cbranch_execz .LBB60_11
; %bb.8:
	v_mad_u64_u32 v[3:4], null, v2, 28, 26
	v_dual_mov_b32 v6, 0 :: v_dual_mov_b32 v7, v2
	v_mov_b32_e32 v9, 0
	v_mov_b32_e32 v11, 0
	s_mov_b32 s13, 0
.LBB60_9:                               ; =>This Inner Loop Header: Depth=1
	s_delay_alu instid0(VALU_DEP_3) | instskip(SKIP_1) | instid1(VALU_DEP_2)
	v_ashrrev_i32_e32 v8, 31, v7
	v_mov_b32_e32 v17, v6
	v_lshlrev_b64 v[4:5], 2, v[7:8]
	v_add_nc_u32_e32 v7, 4, v7
	s_delay_alu instid0(VALU_DEP_2) | instskip(NEXT) | instid1(VALU_DEP_3)
	v_add_co_u32 v4, vcc_lo, s6, v4
	v_add_co_ci_u32_e32 v5, vcc_lo, s7, v5, vcc_lo
	global_load_b32 v8, v[4:5], off
	v_subrev_nc_u32_e32 v5, 26, v3
	v_mov_b32_e32 v4, v6
	s_delay_alu instid0(VALU_DEP_2) | instskip(SKIP_1) | instid1(VALU_DEP_3)
	v_lshlrev_b64 v[12:13], 2, v[5:6]
	v_subrev_nc_u32_e32 v5, 22, v3
	v_lshlrev_b64 v[18:19], 2, v[3:4]
	s_delay_alu instid0(VALU_DEP_2) | instskip(NEXT) | instid1(VALU_DEP_4)
	v_lshlrev_b64 v[4:5], 2, v[5:6]
	v_add_co_u32 v12, vcc_lo, s8, v12
	v_add_co_ci_u32_e32 v13, vcc_lo, s9, v13, vcc_lo
	s_delay_alu instid0(VALU_DEP_4) | instskip(NEXT) | instid1(VALU_DEP_4)
	v_add_co_u32 v18, vcc_lo, s8, v18
	v_add_co_u32 v4, s3, s8, v4
	s_delay_alu instid0(VALU_DEP_1)
	v_add_co_ci_u32_e64 v5, s3, s9, v5, s3
	s_clause 0x1
	global_load_b128 v[12:15], v[12:13], off
	global_load_b64 v[20:21], v[4:5], off
	v_add_co_ci_u32_e32 v19, vcc_lo, s9, v19, vcc_lo
	v_cmp_ge_i32_e32 vcc_lo, v7, v10
	s_or_b32 s13, vcc_lo, s13
	s_waitcnt vmcnt(2)
	v_subrev_nc_u32_e32 v4, s18, v8
	s_delay_alu instid0(VALU_DEP_1) | instskip(NEXT) | instid1(VALU_DEP_1)
	v_mul_lo_u32 v16, v4, 14
	v_add_nc_u32_e32 v5, 2, v16
	v_lshlrev_b64 v[22:23], 2, v[16:17]
	s_delay_alu instid0(VALU_DEP_2) | instskip(SKIP_1) | instid1(VALU_DEP_3)
	v_lshlrev_b64 v[24:25], 2, v[5:6]
	v_subrev_nc_u32_e32 v5, 20, v3
	v_add_co_u32 v22, s3, s10, v22
	s_delay_alu instid0(VALU_DEP_1) | instskip(NEXT) | instid1(VALU_DEP_3)
	v_add_co_ci_u32_e64 v23, s3, s11, v23, s3
	v_lshlrev_b64 v[26:27], 2, v[5:6]
	v_subrev_nc_u32_e32 v5, 18, v3
	v_add_co_u32 v24, s3, s10, v24
	global_load_b64 v[22:23], v[22:23], off
	v_add_co_ci_u32_e64 v25, s3, s11, v25, s3
	v_lshlrev_b64 v[28:29], 2, v[5:6]
	v_add_nc_u32_e32 v5, 4, v16
	v_add_co_u32 v26, s3, s8, v26
	global_load_b64 v[24:25], v[24:25], off
	v_add_co_ci_u32_e64 v27, s3, s9, v27, s3
	v_lshlrev_b64 v[30:31], 2, v[5:6]
	v_add_nc_u32_e32 v5, -16, v3
	v_add_co_u32 v28, s3, s8, v28
	s_delay_alu instid0(VALU_DEP_1) | instskip(NEXT) | instid1(VALU_DEP_3)
	v_add_co_ci_u32_e64 v29, s3, s9, v29, s3
	v_lshlrev_b64 v[32:33], 2, v[5:6]
	v_add_nc_u32_e32 v5, -14, v3
	v_add_co_u32 v30, s3, s10, v30
	s_clause 0x1
	global_load_b64 v[26:27], v[26:27], off
	global_load_b64 v[28:29], v[28:29], off
	v_lshlrev_b64 v[34:35], 2, v[5:6]
	v_add_nc_u32_e32 v5, 6, v16
	v_add_co_ci_u32_e64 v31, s3, s11, v31, s3
	v_add_co_u32 v32, s3, s8, v32
	s_delay_alu instid0(VALU_DEP_3)
	v_lshlrev_b64 v[36:37], 2, v[5:6]
	v_add_nc_u32_e32 v5, -12, v3
	v_add_co_ci_u32_e64 v33, s3, s9, v33, s3
	global_load_b64 v[30:31], v[30:31], off
	v_add_co_u32 v34, s3, s8, v34
	v_lshlrev_b64 v[38:39], 2, v[5:6]
	v_add_nc_u32_e32 v5, -10, v3
	v_add_co_ci_u32_e64 v35, s3, s9, v35, s3
	v_add_co_u32 v36, s3, s10, v36
	s_delay_alu instid0(VALU_DEP_3)
	v_lshlrev_b64 v[40:41], 2, v[5:6]
	v_add_nc_u32_e32 v5, 8, v16
	s_clause 0x1
	global_load_b64 v[32:33], v[32:33], off
	global_load_b64 v[34:35], v[34:35], off
	v_add_co_ci_u32_e64 v37, s3, s11, v37, s3
	v_lshlrev_b64 v[42:43], 2, v[5:6]
	v_add_nc_u32_e32 v5, -8, v3
	v_add_co_u32 v38, s3, s8, v38
	s_delay_alu instid0(VALU_DEP_1) | instskip(NEXT) | instid1(VALU_DEP_3)
	v_add_co_ci_u32_e64 v39, s3, s9, v39, s3
	v_lshlrev_b64 v[44:45], 2, v[5:6]
	v_add_nc_u32_e32 v5, -6, v3
	global_load_b64 v[36:37], v[36:37], off
	v_add_co_u32 v40, s3, s8, v40
	s_delay_alu instid0(VALU_DEP_1)
	v_add_co_ci_u32_e64 v41, s3, s9, v41, s3
	v_lshlrev_b64 v[46:47], 2, v[5:6]
	v_add_nc_u32_e32 v5, 10, v16
	v_add_co_u32 v42, s3, s10, v42
	s_clause 0x1
	global_load_b64 v[38:39], v[38:39], off
	global_load_b64 v[40:41], v[40:41], off
	v_lshlrev_b64 v[48:49], 2, v[5:6]
	v_add_nc_u32_e32 v5, -4, v3
	v_add_co_ci_u32_e64 v43, s3, s11, v43, s3
	v_add_co_u32 v44, s3, s8, v44
	s_delay_alu instid0(VALU_DEP_1) | instskip(NEXT) | instid1(VALU_DEP_4)
	v_add_co_ci_u32_e64 v45, s3, s9, v45, s3
	v_lshlrev_b64 v[50:51], 2, v[5:6]
	v_add_nc_u32_e32 v5, -2, v3
	global_load_b64 v[42:43], v[42:43], off
	v_add_co_u32 v46, s3, s8, v46
	s_delay_alu instid0(VALU_DEP_1)
	v_add_co_ci_u32_e64 v47, s3, s9, v47, s3
	v_add_co_u32 v48, s3, s10, v48
	v_lshlrev_b64 v[52:53], 2, v[5:6]
	v_add_nc_u32_e32 v5, 12, v16
	s_clause 0x1
	global_load_b64 v[44:45], v[44:45], off
	global_load_b64 v[46:47], v[46:47], off
	v_add_co_ci_u32_e64 v49, s3, s11, v49, s3
	v_add_co_u32 v16, s3, s8, v50
	v_lshlrev_b64 v[4:5], 2, v[5:6]
	v_add_co_ci_u32_e64 v17, s3, s9, v51, s3
	global_load_b64 v[48:49], v[48:49], off
	v_add_co_u32 v50, s3, s8, v52
	s_delay_alu instid0(VALU_DEP_1) | instskip(SKIP_2) | instid1(VALU_DEP_1)
	v_add_co_ci_u32_e64 v51, s3, s9, v53, s3
	global_load_b64 v[16:17], v[16:17], off
	v_add_co_u32 v4, s3, s10, v4
	v_add_co_ci_u32_e64 v5, s3, s11, v5, s3
	global_load_b64 v[50:51], v[50:51], off
	global_load_b64 v[4:5], v[4:5], off
	global_load_b64 v[18:19], v[18:19], off
	v_add_nc_u32_e32 v3, 0x70, v3
	s_waitcnt vmcnt(17)
	v_fmac_f32_e32 v9, v12, v22
	v_fmac_f32_e32 v11, v13, v22
	s_delay_alu instid0(VALU_DEP_2) | instskip(NEXT) | instid1(VALU_DEP_2)
	v_fmac_f32_e32 v9, v14, v23
	v_fmac_f32_e32 v11, v15, v23
	s_waitcnt vmcnt(16)
	s_delay_alu instid0(VALU_DEP_2) | instskip(NEXT) | instid1(VALU_DEP_2)
	v_fmac_f32_e32 v9, v20, v24
	v_fmac_f32_e32 v11, v21, v24
	s_waitcnt vmcnt(15)
	;; [unrolled: 4-line block ×12, first 2 shown]
	s_delay_alu instid0(VALU_DEP_2) | instskip(NEXT) | instid1(VALU_DEP_2)
	v_fmac_f32_e32 v9, v18, v5
	v_fmac_f32_e32 v11, v19, v5
	s_and_not1_b32 exec_lo, exec_lo, s13
	s_cbranch_execnz .LBB60_9
; %bb.10:
	s_or_b32 exec_lo, exec_lo, s13
.LBB60_11:
	s_delay_alu instid0(SALU_CYCLE_1) | instskip(NEXT) | instid1(SALU_CYCLE_1)
	s_or_b32 exec_lo, exec_lo, s5
	s_and_not1_b32 vcc_lo, exec_lo, s4
	s_cbranch_vccz .LBB60_13
	s_branch .LBB60_18
.LBB60_12:
                                        ; implicit-def: $vgpr9
                                        ; implicit-def: $vgpr11
.LBB60_13:
	v_mov_b32_e32 v9, 0
	v_mov_b32_e32 v11, 0
	s_delay_alu instid0(VALU_DEP_3)
	s_and_saveexec_b32 s3, s2
	s_cbranch_execz .LBB60_17
; %bb.14:
	v_mad_u64_u32 v[4:5], null, v2, 28, 27
	v_mov_b32_e32 v7, 0
	v_mov_b32_e32 v9, 0
	;; [unrolled: 1-line block ×3, first 2 shown]
	s_mov_b32 s2, 0
.LBB60_15:                              ; =>This Inner Loop Header: Depth=1
	v_ashrrev_i32_e32 v3, 31, v2
	v_dual_mov_b32 v17, v7 :: v_dual_add_nc_u32 v12, -13, v4
	v_mov_b32_e32 v13, v7
	s_delay_alu instid0(VALU_DEP_3) | instskip(SKIP_1) | instid1(VALU_DEP_2)
	v_lshlrev_b64 v[5:6], 2, v[2:3]
	v_add_nc_u32_e32 v2, 4, v2
	v_add_co_u32 v5, vcc_lo, s6, v5
	s_delay_alu instid0(VALU_DEP_3) | instskip(SKIP_2) | instid1(VALU_DEP_1)
	v_add_co_ci_u32_e32 v6, vcc_lo, s7, v6, vcc_lo
	global_load_b32 v3, v[5:6], off
	v_subrev_nc_u32_e32 v6, 27, v4
	v_lshlrev_b64 v[14:15], 2, v[6:7]
	v_add_nc_u32_e32 v6, -12, v4
	v_lshlrev_b64 v[12:13], 2, v[12:13]
	s_delay_alu instid0(VALU_DEP_3) | instskip(NEXT) | instid1(VALU_DEP_4)
	v_add_co_u32 v14, vcc_lo, s8, v14
	v_add_co_ci_u32_e32 v15, vcc_lo, s9, v15, vcc_lo
	s_delay_alu instid0(VALU_DEP_3) | instskip(NEXT) | instid1(VALU_DEP_4)
	v_add_co_u32 v20, vcc_lo, s8, v12
	v_add_co_ci_u32_e32 v21, vcc_lo, s9, v13, vcc_lo
	s_waitcnt vmcnt(0)
	v_subrev_nc_u32_e32 v3, s18, v3
	s_delay_alu instid0(VALU_DEP_1) | instskip(SKIP_1) | instid1(VALU_DEP_1)
	v_mul_lo_u32 v16, v3, 14
	v_mov_b32_e32 v5, v7
	v_lshlrev_b64 v[18:19], 2, v[4:5]
	v_lshlrev_b64 v[5:6], 2, v[6:7]
	s_delay_alu instid0(VALU_DEP_2) | instskip(NEXT) | instid1(VALU_DEP_3)
	v_add_co_u32 v18, vcc_lo, s8, v18
	v_add_co_ci_u32_e32 v19, vcc_lo, s9, v19, vcc_lo
	s_delay_alu instid0(VALU_DEP_3) | instskip(NEXT) | instid1(VALU_DEP_4)
	v_add_co_u32 v5, vcc_lo, s8, v5
	v_add_co_ci_u32_e32 v6, vcc_lo, s9, v6, vcc_lo
	s_clause 0x2
	global_load_b128 v[12:15], v[14:15], off
	global_load_b32 v8, v[20:21], off
	global_load_b32 v38, v[5:6], off
	v_add_nc_u32_e32 v6, 2, v16
	v_lshlrev_b64 v[20:21], 2, v[16:17]
	s_delay_alu instid0(VALU_DEP_2) | instskip(NEXT) | instid1(VALU_DEP_2)
	v_lshlrev_b64 v[22:23], 2, v[6:7]
	v_add_co_u32 v20, vcc_lo, s10, v20
	s_delay_alu instid0(VALU_DEP_3) | instskip(NEXT) | instid1(VALU_DEP_3)
	v_add_co_ci_u32_e32 v21, vcc_lo, s11, v21, vcc_lo
	v_add_co_u32 v22, vcc_lo, s10, v22
	s_delay_alu instid0(VALU_DEP_4)
	v_add_co_ci_u32_e32 v23, vcc_lo, s11, v23, vcc_lo
	s_clause 0x1
	global_load_b64 v[20:21], v[20:21], off
	global_load_b64 v[22:23], v[22:23], off
	s_waitcnt vmcnt(1)
	v_fmac_f32_e32 v9, v12, v20
	v_add_nc_u32_e32 v6, -11, v4
	v_fmac_f32_e32 v11, v8, v20
	s_delay_alu instid0(VALU_DEP_3) | instskip(NEXT) | instid1(VALU_DEP_3)
	v_fmac_f32_e32 v9, v13, v21
	v_lshlrev_b64 v[24:25], 2, v[6:7]
	s_delay_alu instid0(VALU_DEP_3) | instskip(SKIP_1) | instid1(VALU_DEP_3)
	v_dual_fmac_f32 v11, v38, v21 :: v_dual_add_nc_u32 v6, -10, v4
	s_waitcnt vmcnt(0)
	v_fmac_f32_e32 v9, v14, v22
	s_delay_alu instid0(VALU_DEP_3) | instskip(NEXT) | instid1(VALU_DEP_4)
	v_add_co_u32 v24, vcc_lo, s8, v24
	v_add_co_ci_u32_e32 v25, vcc_lo, s9, v25, vcc_lo
	v_lshlrev_b64 v[26:27], 2, v[6:7]
	v_subrev_nc_u32_e32 v6, 23, v4
	v_fmac_f32_e32 v9, v15, v23
	global_load_b32 v3, v[24:25], off
	v_add_co_u32 v26, vcc_lo, s8, v26
	v_lshlrev_b64 v[28:29], 2, v[6:7]
	v_add_nc_u32_e32 v6, 4, v16
	v_add_co_ci_u32_e32 v27, vcc_lo, s9, v27, vcc_lo
	global_load_b32 v39, v[26:27], off
	v_lshlrev_b64 v[24:25], 2, v[6:7]
	v_add_nc_u32_e32 v6, -9, v4
	v_add_co_u32 v26, vcc_lo, s8, v28
	v_add_co_ci_u32_e32 v27, vcc_lo, s9, v29, vcc_lo
	s_delay_alu instid0(VALU_DEP_4)
	v_add_co_u32 v24, vcc_lo, s10, v24
	v_add_co_ci_u32_e32 v25, vcc_lo, s11, v25, vcc_lo
	global_load_b32 v40, v[26:27], off
	global_load_b64 v[24:25], v[24:25], off
	s_waitcnt vmcnt(3)
	v_fmac_f32_e32 v11, v3, v22
	v_lshlrev_b64 v[28:29], 2, v[6:7]
	v_subrev_nc_u32_e32 v6, 22, v4
	s_delay_alu instid0(VALU_DEP_2) | instskip(NEXT) | instid1(VALU_DEP_3)
	v_add_co_u32 v28, vcc_lo, s8, v28
	v_add_co_ci_u32_e32 v29, vcc_lo, s9, v29, vcc_lo
	s_waitcnt vmcnt(2)
	v_fmac_f32_e32 v11, v39, v23
	global_load_b32 v41, v[28:29], off
	v_lshlrev_b64 v[26:27], 2, v[6:7]
	v_add_nc_u32_e32 v6, -8, v4
	s_delay_alu instid0(VALU_DEP_2) | instskip(NEXT) | instid1(VALU_DEP_3)
	v_add_co_u32 v26, vcc_lo, s8, v26
	v_add_co_ci_u32_e32 v27, vcc_lo, s9, v27, vcc_lo
	s_delay_alu instid0(VALU_DEP_3)
	v_lshlrev_b64 v[30:31], 2, v[6:7]
	v_subrev_nc_u32_e32 v6, 21, v4
	s_waitcnt vmcnt(1)
	v_fmac_f32_e32 v9, v40, v24
	global_load_b32 v42, v[26:27], off
	v_add_co_u32 v26, vcc_lo, s8, v30
	v_add_co_ci_u32_e32 v27, vcc_lo, s9, v31, vcc_lo
	v_lshlrev_b64 v[28:29], 2, v[6:7]
	v_add_nc_u32_e32 v6, 6, v16
	global_load_b32 v43, v[26:27], off
	v_add_co_u32 v28, vcc_lo, s8, v28
	v_lshlrev_b64 v[30:31], 2, v[6:7]
	v_add_nc_u32_e32 v6, -7, v4
	v_add_co_ci_u32_e32 v29, vcc_lo, s9, v29, vcc_lo
	global_load_b32 v44, v[28:29], off
	v_add_co_u32 v28, vcc_lo, s10, v30
	v_add_co_ci_u32_e32 v29, vcc_lo, s11, v31, vcc_lo
	global_load_b64 v[28:29], v[28:29], off
	s_waitcnt vmcnt(4)
	v_fmac_f32_e32 v11, v41, v24
	s_waitcnt vmcnt(3)
	v_fmac_f32_e32 v9, v42, v25
	v_lshlrev_b64 v[26:27], 2, v[6:7]
	v_subrev_nc_u32_e32 v6, 20, v4
	s_delay_alu instid0(VALU_DEP_2) | instskip(NEXT) | instid1(VALU_DEP_2)
	v_add_co_u32 v26, vcc_lo, s8, v26
	v_lshlrev_b64 v[30:31], 2, v[6:7]
	s_waitcnt vmcnt(2)
	v_dual_fmac_f32 v11, v43, v25 :: v_dual_add_nc_u32 v6, -6, v4
	v_add_co_ci_u32_e32 v27, vcc_lo, s9, v27, vcc_lo
	s_delay_alu instid0(VALU_DEP_2)
	v_lshlrev_b64 v[32:33], 2, v[6:7]
	v_subrev_nc_u32_e32 v6, 19, v4
	global_load_b32 v45, v[26:27], off
	v_add_co_u32 v26, vcc_lo, s8, v30
	v_add_co_ci_u32_e32 v27, vcc_lo, s9, v31, vcc_lo
	v_add_co_u32 v32, vcc_lo, s8, v32
	v_lshlrev_b64 v[30:31], 2, v[6:7]
	v_add_co_ci_u32_e32 v33, vcc_lo, s9, v33, vcc_lo
	global_load_b32 v46, v[26:27], off
	v_add_nc_u32_e32 v6, 8, v16
	global_load_b32 v47, v[32:33], off
	v_add_co_u32 v30, vcc_lo, s8, v30
	v_lshlrev_b64 v[26:27], 2, v[6:7]
	v_add_co_ci_u32_e32 v31, vcc_lo, s9, v31, vcc_lo
	global_load_b32 v48, v[30:31], off
	v_add_co_u32 v26, vcc_lo, s10, v26
	v_add_co_ci_u32_e32 v27, vcc_lo, s11, v27, vcc_lo
	global_load_b64 v[26:27], v[26:27], off
	s_waitcnt vmcnt(5)
	v_fmac_f32_e32 v9, v44, v28
	s_waitcnt vmcnt(4)
	v_fmac_f32_e32 v11, v45, v28
	s_waitcnt vmcnt(3)
	s_delay_alu instid0(VALU_DEP_2) | instskip(SKIP_1) | instid1(VALU_DEP_2)
	v_dual_fmac_f32 v9, v46, v29 :: v_dual_add_nc_u32 v6, -5, v4
	s_waitcnt vmcnt(2)
	v_fmac_f32_e32 v11, v47, v29
	s_delay_alu instid0(VALU_DEP_2) | instskip(SKIP_1) | instid1(VALU_DEP_1)
	v_lshlrev_b64 v[32:33], 2, v[6:7]
	v_subrev_nc_u32_e32 v6, 18, v4
	v_lshlrev_b64 v[30:31], 2, v[6:7]
	s_delay_alu instid0(VALU_DEP_3) | instskip(SKIP_2) | instid1(VALU_DEP_4)
	v_add_co_u32 v32, vcc_lo, s8, v32
	v_add_nc_u32_e32 v6, -4, v4
	v_add_co_ci_u32_e32 v33, vcc_lo, s9, v33, vcc_lo
	v_add_co_u32 v30, vcc_lo, s8, v30
	v_add_co_ci_u32_e32 v31, vcc_lo, s9, v31, vcc_lo
	s_waitcnt vmcnt(0)
	v_fmac_f32_e32 v9, v48, v26
	v_lshlrev_b64 v[34:35], 2, v[6:7]
	s_clause 0x1
	global_load_b32 v49, v[32:33], off
	global_load_b32 v50, v[30:31], off
	v_subrev_nc_u32_e32 v6, 17, v4
	v_add_co_u32 v30, vcc_lo, s8, v34
	v_add_co_ci_u32_e32 v31, vcc_lo, s9, v35, vcc_lo
	s_delay_alu instid0(VALU_DEP_3)
	v_lshlrev_b64 v[32:33], 2, v[6:7]
	v_add_nc_u32_e32 v6, 10, v16
	global_load_b32 v51, v[30:31], off
	v_add_co_u32 v32, vcc_lo, s8, v32
	v_add_co_ci_u32_e32 v33, vcc_lo, s9, v33, vcc_lo
	global_load_b32 v52, v[32:33], off
	s_waitcnt vmcnt(3)
	v_fmac_f32_e32 v11, v49, v26
	v_lshlrev_b64 v[34:35], 2, v[6:7]
	s_waitcnt vmcnt(2)
	v_dual_fmac_f32 v9, v50, v27 :: v_dual_add_nc_u32 v6, -3, v4
	s_delay_alu instid0(VALU_DEP_2) | instskip(NEXT) | instid1(VALU_DEP_2)
	v_add_co_u32 v32, vcc_lo, s10, v34
	v_lshlrev_b64 v[30:31], 2, v[6:7]
	v_add_nc_u32_e32 v6, -16, v4
	v_add_co_ci_u32_e32 v33, vcc_lo, s11, v35, vcc_lo
	s_waitcnt vmcnt(1)
	v_fmac_f32_e32 v11, v51, v27
	s_delay_alu instid0(VALU_DEP_3) | instskip(SKIP_4) | instid1(VALU_DEP_3)
	v_lshlrev_b64 v[34:35], 2, v[6:7]
	global_load_b64 v[32:33], v[32:33], off
	v_add_nc_u32_e32 v6, -2, v4
	v_add_co_u32 v30, vcc_lo, s8, v30
	v_add_co_ci_u32_e32 v31, vcc_lo, s9, v31, vcc_lo
	v_lshlrev_b64 v[36:37], 2, v[6:7]
	v_add_nc_u32_e32 v6, -15, v4
	global_load_b32 v53, v[30:31], off
	v_add_co_u32 v30, vcc_lo, s8, v34
	v_add_co_ci_u32_e32 v31, vcc_lo, s9, v35, vcc_lo
	v_lshlrev_b64 v[34:35], 2, v[6:7]
	v_add_nc_u32_e32 v6, 12, v16
	v_add_co_u32 v16, vcc_lo, s8, v36
	v_add_co_ci_u32_e32 v17, vcc_lo, s9, v37, vcc_lo
	global_load_b32 v36, v[30:31], off
	v_lshlrev_b64 v[30:31], 2, v[6:7]
	v_add_nc_u32_e32 v6, -1, v4
	global_load_b32 v37, v[16:17], off
	v_add_co_u32 v16, vcc_lo, s8, v34
	v_add_co_ci_u32_e32 v17, vcc_lo, s9, v35, vcc_lo
	v_lshlrev_b64 v[34:35], 2, v[6:7]
	v_add_nc_u32_e32 v6, -14, v4
	v_add_co_u32 v30, vcc_lo, s10, v30
	v_add_co_ci_u32_e32 v31, vcc_lo, s11, v31, vcc_lo
	s_delay_alu instid0(VALU_DEP_3)
	v_lshlrev_b64 v[5:6], 2, v[6:7]
	global_load_b32 v54, v[16:17], off
	global_load_b64 v[16:17], v[30:31], off
	v_add_co_u32 v30, vcc_lo, s8, v34
	v_add_co_ci_u32_e32 v31, vcc_lo, s9, v35, vcc_lo
	v_add_co_u32 v5, vcc_lo, s8, v5
	v_add_co_ci_u32_e32 v6, vcc_lo, s9, v6, vcc_lo
	s_clause 0x2
	global_load_b32 v30, v[30:31], off
	global_load_b32 v5, v[5:6], off
	;; [unrolled: 1-line block ×3, first 2 shown]
	v_cmp_ge_i32_e32 vcc_lo, v2, v10
	s_or_b32 s2, vcc_lo, s2
	s_waitcnt vmcnt(8)
	v_fmac_f32_e32 v9, v52, v32
	s_waitcnt vmcnt(7)
	v_fmac_f32_e32 v11, v53, v32
	s_waitcnt vmcnt(6)
	s_delay_alu instid0(VALU_DEP_2) | instskip(SKIP_1) | instid1(VALU_DEP_2)
	v_fmac_f32_e32 v9, v36, v33
	s_waitcnt vmcnt(5)
	v_fmac_f32_e32 v11, v37, v33
	s_waitcnt vmcnt(3)
	s_delay_alu instid0(VALU_DEP_2) | instskip(SKIP_1) | instid1(VALU_DEP_2)
	;; [unrolled: 5-line block ×3, first 2 shown]
	v_dual_fmac_f32 v9, v5, v17 :: v_dual_add_nc_u32 v4, 0x70, v4
	s_waitcnt vmcnt(0)
	v_fmac_f32_e32 v11, v6, v17
	s_and_not1_b32 exec_lo, exec_lo, s2
	s_cbranch_execnz .LBB60_15
; %bb.16:
	s_or_b32 exec_lo, exec_lo, s2
.LBB60_17:
	s_delay_alu instid0(SALU_CYCLE_1)
	s_or_b32 exec_lo, exec_lo, s3
.LBB60_18:
	v_mbcnt_lo_u32_b32 v2, -1, 0
	s_mov_b32 s2, -1
	s_delay_alu instid0(VALU_DEP_1) | instskip(SKIP_1) | instid1(VALU_DEP_2)
	v_xor_b32_e32 v3, 2, v2
	v_xor_b32_e32 v5, 1, v2
	v_cmp_gt_i32_e32 vcc_lo, 32, v3
	v_cndmask_b32_e32 v3, v2, v3, vcc_lo
	s_delay_alu instid0(VALU_DEP_3) | instskip(NEXT) | instid1(VALU_DEP_2)
	v_cmp_gt_i32_e32 vcc_lo, 32, v5
	v_dual_cndmask_b32 v2, v2, v5 :: v_dual_lshlrev_b32 v3, 2, v3
	v_cmp_eq_u32_e32 vcc_lo, 3, v0
	ds_bpermute_b32 v4, v3, v9
	ds_bpermute_b32 v3, v3, v11
	s_waitcnt lgkmcnt(1)
	v_dual_add_f32 v2, v9, v4 :: v_dual_lshlrev_b32 v5, 2, v2
	s_waitcnt lgkmcnt(0)
	v_add_f32_e32 v3, v11, v3
	ds_bpermute_b32 v4, v5, v2
	ds_bpermute_b32 v5, v5, v3
	s_and_b32 exec_lo, exec_lo, vcc_lo
	s_cbranch_execz .LBB60_23
; %bb.19:
	s_load_b64 s[0:1], s[0:1], 0x38
	s_waitcnt lgkmcnt(0)
	v_dual_add_f32 v0, v2, v4 :: v_dual_add_f32 v3, v3, v5
	v_cmp_eq_f32_e64 s3, s12, 0
	s_delay_alu instid0(VALU_DEP_2) | instskip(SKIP_1) | instid1(VALU_DEP_3)
	v_dual_mul_f32 v2, s16, v0 :: v_dual_mul_f32 v3, s16, v3
	v_lshlrev_b32_e32 v0, 1, v1
	s_and_b32 vcc_lo, exec_lo, s3
	s_cbranch_vccz .LBB60_21
; %bb.20:
	s_delay_alu instid0(VALU_DEP_1) | instskip(SKIP_1) | instid1(VALU_DEP_1)
	v_ashrrev_i32_e32 v1, 31, v0
	s_mov_b32 s2, 0
	v_lshlrev_b64 v[4:5], 2, v[0:1]
	s_delay_alu instid0(VALU_DEP_1) | instskip(NEXT) | instid1(VALU_DEP_2)
	v_add_co_u32 v4, vcc_lo, s0, v4
	v_add_co_ci_u32_e32 v5, vcc_lo, s1, v5, vcc_lo
	global_store_b64 v[4:5], v[2:3], off
.LBB60_21:
	s_and_not1_b32 vcc_lo, exec_lo, s2
	s_cbranch_vccnz .LBB60_23
; %bb.22:
	v_ashrrev_i32_e32 v1, 31, v0
	s_delay_alu instid0(VALU_DEP_1) | instskip(NEXT) | instid1(VALU_DEP_1)
	v_lshlrev_b64 v[0:1], 2, v[0:1]
	v_add_co_u32 v0, vcc_lo, s0, v0
	s_delay_alu instid0(VALU_DEP_2)
	v_add_co_ci_u32_e32 v1, vcc_lo, s1, v1, vcc_lo
	global_load_b64 v[4:5], v[0:1], off
	s_waitcnt vmcnt(0)
	v_dual_fmac_f32 v2, s12, v4 :: v_dual_fmac_f32 v3, s12, v5
	global_store_b64 v[0:1], v[2:3], off
.LBB60_23:
	s_nop 0
	s_sendmsg sendmsg(MSG_DEALLOC_VGPRS)
	s_endpgm
	.section	.rodata,"a",@progbits
	.p2align	6, 0x0
	.amdhsa_kernel _ZN9rocsparseL19gebsrmvn_2xn_kernelILj128ELj14ELj4EfEEvi20rocsparse_direction_NS_24const_host_device_scalarIT2_EEPKiS6_PKS3_S8_S4_PS3_21rocsparse_index_base_b
		.amdhsa_group_segment_fixed_size 0
		.amdhsa_private_segment_fixed_size 0
		.amdhsa_kernarg_size 72
		.amdhsa_user_sgpr_count 15
		.amdhsa_user_sgpr_dispatch_ptr 0
		.amdhsa_user_sgpr_queue_ptr 0
		.amdhsa_user_sgpr_kernarg_segment_ptr 1
		.amdhsa_user_sgpr_dispatch_id 0
		.amdhsa_user_sgpr_private_segment_size 0
		.amdhsa_wavefront_size32 1
		.amdhsa_uses_dynamic_stack 0
		.amdhsa_enable_private_segment 0
		.amdhsa_system_sgpr_workgroup_id_x 1
		.amdhsa_system_sgpr_workgroup_id_y 0
		.amdhsa_system_sgpr_workgroup_id_z 0
		.amdhsa_system_sgpr_workgroup_info 0
		.amdhsa_system_vgpr_workitem_id 0
		.amdhsa_next_free_vgpr 55
		.amdhsa_next_free_sgpr 20
		.amdhsa_reserve_vcc 1
		.amdhsa_float_round_mode_32 0
		.amdhsa_float_round_mode_16_64 0
		.amdhsa_float_denorm_mode_32 3
		.amdhsa_float_denorm_mode_16_64 3
		.amdhsa_dx10_clamp 1
		.amdhsa_ieee_mode 1
		.amdhsa_fp16_overflow 0
		.amdhsa_workgroup_processor_mode 1
		.amdhsa_memory_ordered 1
		.amdhsa_forward_progress 0
		.amdhsa_shared_vgpr_count 0
		.amdhsa_exception_fp_ieee_invalid_op 0
		.amdhsa_exception_fp_denorm_src 0
		.amdhsa_exception_fp_ieee_div_zero 0
		.amdhsa_exception_fp_ieee_overflow 0
		.amdhsa_exception_fp_ieee_underflow 0
		.amdhsa_exception_fp_ieee_inexact 0
		.amdhsa_exception_int_div_zero 0
	.end_amdhsa_kernel
	.section	.text._ZN9rocsparseL19gebsrmvn_2xn_kernelILj128ELj14ELj4EfEEvi20rocsparse_direction_NS_24const_host_device_scalarIT2_EEPKiS6_PKS3_S8_S4_PS3_21rocsparse_index_base_b,"axG",@progbits,_ZN9rocsparseL19gebsrmvn_2xn_kernelILj128ELj14ELj4EfEEvi20rocsparse_direction_NS_24const_host_device_scalarIT2_EEPKiS6_PKS3_S8_S4_PS3_21rocsparse_index_base_b,comdat
.Lfunc_end60:
	.size	_ZN9rocsparseL19gebsrmvn_2xn_kernelILj128ELj14ELj4EfEEvi20rocsparse_direction_NS_24const_host_device_scalarIT2_EEPKiS6_PKS3_S8_S4_PS3_21rocsparse_index_base_b, .Lfunc_end60-_ZN9rocsparseL19gebsrmvn_2xn_kernelILj128ELj14ELj4EfEEvi20rocsparse_direction_NS_24const_host_device_scalarIT2_EEPKiS6_PKS3_S8_S4_PS3_21rocsparse_index_base_b
                                        ; -- End function
	.section	.AMDGPU.csdata,"",@progbits
; Kernel info:
; codeLenInByte = 3200
; NumSgprs: 22
; NumVgprs: 55
; ScratchSize: 0
; MemoryBound: 0
; FloatMode: 240
; IeeeMode: 1
; LDSByteSize: 0 bytes/workgroup (compile time only)
; SGPRBlocks: 2
; VGPRBlocks: 6
; NumSGPRsForWavesPerEU: 22
; NumVGPRsForWavesPerEU: 55
; Occupancy: 16
; WaveLimiterHint : 1
; COMPUTE_PGM_RSRC2:SCRATCH_EN: 0
; COMPUTE_PGM_RSRC2:USER_SGPR: 15
; COMPUTE_PGM_RSRC2:TRAP_HANDLER: 0
; COMPUTE_PGM_RSRC2:TGID_X_EN: 1
; COMPUTE_PGM_RSRC2:TGID_Y_EN: 0
; COMPUTE_PGM_RSRC2:TGID_Z_EN: 0
; COMPUTE_PGM_RSRC2:TIDIG_COMP_CNT: 0
	.section	.text._ZN9rocsparseL19gebsrmvn_2xn_kernelILj128ELj14ELj8EfEEvi20rocsparse_direction_NS_24const_host_device_scalarIT2_EEPKiS6_PKS3_S8_S4_PS3_21rocsparse_index_base_b,"axG",@progbits,_ZN9rocsparseL19gebsrmvn_2xn_kernelILj128ELj14ELj8EfEEvi20rocsparse_direction_NS_24const_host_device_scalarIT2_EEPKiS6_PKS3_S8_S4_PS3_21rocsparse_index_base_b,comdat
	.globl	_ZN9rocsparseL19gebsrmvn_2xn_kernelILj128ELj14ELj8EfEEvi20rocsparse_direction_NS_24const_host_device_scalarIT2_EEPKiS6_PKS3_S8_S4_PS3_21rocsparse_index_base_b ; -- Begin function _ZN9rocsparseL19gebsrmvn_2xn_kernelILj128ELj14ELj8EfEEvi20rocsparse_direction_NS_24const_host_device_scalarIT2_EEPKiS6_PKS3_S8_S4_PS3_21rocsparse_index_base_b
	.p2align	8
	.type	_ZN9rocsparseL19gebsrmvn_2xn_kernelILj128ELj14ELj8EfEEvi20rocsparse_direction_NS_24const_host_device_scalarIT2_EEPKiS6_PKS3_S8_S4_PS3_21rocsparse_index_base_b,@function
_ZN9rocsparseL19gebsrmvn_2xn_kernelILj128ELj14ELj8EfEEvi20rocsparse_direction_NS_24const_host_device_scalarIT2_EEPKiS6_PKS3_S8_S4_PS3_21rocsparse_index_base_b: ; @_ZN9rocsparseL19gebsrmvn_2xn_kernelILj128ELj14ELj8EfEEvi20rocsparse_direction_NS_24const_host_device_scalarIT2_EEPKiS6_PKS3_S8_S4_PS3_21rocsparse_index_base_b
; %bb.0:
	s_clause 0x2
	s_load_b64 s[18:19], s[0:1], 0x40
	s_load_b64 s[16:17], s[0:1], 0x8
	;; [unrolled: 1-line block ×3, first 2 shown]
	s_waitcnt lgkmcnt(0)
	s_bitcmp1_b32 s19, 0
	s_cselect_b32 s2, -1, 0
	s_delay_alu instid0(SALU_CYCLE_1)
	s_and_b32 vcc_lo, exec_lo, s2
	s_xor_b32 s2, s2, -1
	s_cbranch_vccnz .LBB61_2
; %bb.1:
	s_load_b32 s16, s[16:17], 0x0
.LBB61_2:
	s_and_not1_b32 vcc_lo, exec_lo, s2
	s_cbranch_vccnz .LBB61_4
; %bb.3:
	s_load_b32 s12, s[12:13], 0x0
.LBB61_4:
	s_waitcnt lgkmcnt(0)
	v_cmp_eq_f32_e64 s2, s16, 0
	v_cmp_eq_f32_e64 s3, s12, 1.0
	s_delay_alu instid0(VALU_DEP_1) | instskip(NEXT) | instid1(SALU_CYCLE_1)
	s_and_b32 s2, s2, s3
	s_and_b32 vcc_lo, exec_lo, s2
	s_cbranch_vccnz .LBB61_23
; %bb.5:
	s_load_b64 s[2:3], s[0:1], 0x0
	v_lshrrev_b32_e32 v1, 3, v0
	s_delay_alu instid0(VALU_DEP_1) | instskip(SKIP_1) | instid1(VALU_DEP_1)
	v_lshl_or_b32 v1, s15, 4, v1
	s_waitcnt lgkmcnt(0)
	v_cmp_gt_i32_e32 vcc_lo, s2, v1
	s_and_saveexec_b32 s2, vcc_lo
	s_cbranch_execz .LBB61_23
; %bb.6:
	s_load_b256 s[4:11], s[0:1], 0x10
	v_ashrrev_i32_e32 v2, 31, v1
	v_and_b32_e32 v0, 7, v0
	s_cmp_lg_u32 s3, 0
	s_delay_alu instid0(VALU_DEP_2) | instskip(SKIP_1) | instid1(VALU_DEP_1)
	v_lshlrev_b64 v[2:3], 2, v[1:2]
	s_waitcnt lgkmcnt(0)
	v_add_co_u32 v2, vcc_lo, s4, v2
	s_delay_alu instid0(VALU_DEP_2) | instskip(SKIP_4) | instid1(VALU_DEP_2)
	v_add_co_ci_u32_e32 v3, vcc_lo, s5, v3, vcc_lo
	global_load_b64 v[2:3], v[2:3], off
	s_waitcnt vmcnt(0)
	v_subrev_nc_u32_e32 v2, s18, v2
	v_subrev_nc_u32_e32 v11, s18, v3
	v_add_nc_u32_e32 v2, v2, v0
	s_delay_alu instid0(VALU_DEP_1)
	v_cmp_lt_i32_e64 s2, v2, v11
	s_cbranch_scc0 .LBB61_12
; %bb.7:
	v_dual_mov_b32 v9, 0 :: v_dual_mov_b32 v10, 0
	s_mov_b32 s4, 0
	s_delay_alu instid0(VALU_DEP_2)
	s_and_saveexec_b32 s5, s2
	s_cbranch_execz .LBB61_11
; %bb.8:
	v_mad_u64_u32 v[3:4], null, v2, 28, 26
	v_dual_mov_b32 v6, 0 :: v_dual_mov_b32 v7, v2
	v_dual_mov_b32 v9, 0 :: v_dual_mov_b32 v10, 0
	s_mov_b32 s13, 0
.LBB61_9:                               ; =>This Inner Loop Header: Depth=1
	s_delay_alu instid0(VALU_DEP_2) | instskip(NEXT) | instid1(VALU_DEP_1)
	v_ashrrev_i32_e32 v8, 31, v7
	v_lshlrev_b64 v[4:5], 2, v[7:8]
	v_add_nc_u32_e32 v7, 8, v7
	s_delay_alu instid0(VALU_DEP_2) | instskip(NEXT) | instid1(VALU_DEP_3)
	v_add_co_u32 v4, vcc_lo, s6, v4
	v_add_co_ci_u32_e32 v5, vcc_lo, s7, v5, vcc_lo
	global_load_b32 v8, v[4:5], off
	v_subrev_nc_u32_e32 v5, 26, v3
	v_mov_b32_e32 v4, v6
	s_delay_alu instid0(VALU_DEP_2) | instskip(SKIP_1) | instid1(VALU_DEP_3)
	v_lshlrev_b64 v[12:13], 2, v[5:6]
	v_subrev_nc_u32_e32 v5, 22, v3
	v_lshlrev_b64 v[18:19], 2, v[3:4]
	s_delay_alu instid0(VALU_DEP_2) | instskip(NEXT) | instid1(VALU_DEP_4)
	v_lshlrev_b64 v[4:5], 2, v[5:6]
	v_add_co_u32 v12, vcc_lo, s8, v12
	v_add_co_ci_u32_e32 v13, vcc_lo, s9, v13, vcc_lo
	s_delay_alu instid0(VALU_DEP_4) | instskip(NEXT) | instid1(VALU_DEP_4)
	v_add_co_u32 v18, vcc_lo, s8, v18
	v_add_co_u32 v4, s3, s8, v4
	s_delay_alu instid0(VALU_DEP_1)
	v_add_co_ci_u32_e64 v5, s3, s9, v5, s3
	s_clause 0x1
	global_load_b128 v[12:15], v[12:13], off
	global_load_b64 v[20:21], v[4:5], off
	v_mov_b32_e32 v17, v6
	v_add_co_ci_u32_e32 v19, vcc_lo, s9, v19, vcc_lo
	v_cmp_ge_i32_e32 vcc_lo, v7, v11
	s_or_b32 s13, vcc_lo, s13
	s_waitcnt vmcnt(2)
	v_subrev_nc_u32_e32 v4, s18, v8
	s_delay_alu instid0(VALU_DEP_1) | instskip(NEXT) | instid1(VALU_DEP_1)
	v_mul_lo_u32 v16, v4, 14
	v_lshlrev_b64 v[22:23], 2, v[16:17]
	v_add_nc_u32_e32 v5, 2, v16
	s_delay_alu instid0(VALU_DEP_1) | instskip(NEXT) | instid1(VALU_DEP_3)
	v_lshlrev_b64 v[24:25], 2, v[5:6]
	v_add_co_u32 v22, s3, s10, v22
	s_delay_alu instid0(VALU_DEP_1) | instskip(SKIP_1) | instid1(VALU_DEP_4)
	v_add_co_ci_u32_e64 v23, s3, s11, v23, s3
	v_subrev_nc_u32_e32 v5, 20, v3
	v_add_co_u32 v24, s3, s10, v24
	global_load_b64 v[22:23], v[22:23], off
	v_add_co_ci_u32_e64 v25, s3, s11, v25, s3
	v_lshlrev_b64 v[26:27], 2, v[5:6]
	v_subrev_nc_u32_e32 v5, 18, v3
	global_load_b64 v[24:25], v[24:25], off
	v_lshlrev_b64 v[28:29], 2, v[5:6]
	v_add_co_u32 v26, s3, s8, v26
	s_delay_alu instid0(VALU_DEP_1) | instskip(NEXT) | instid1(VALU_DEP_3)
	v_add_co_ci_u32_e64 v27, s3, s9, v27, s3
	v_add_co_u32 v28, s3, s8, v28
	s_delay_alu instid0(VALU_DEP_1)
	v_add_co_ci_u32_e64 v29, s3, s9, v29, s3
	s_clause 0x1
	global_load_b64 v[26:27], v[26:27], off
	global_load_b64 v[28:29], v[28:29], off
	s_waitcnt vmcnt(3)
	v_dual_fmac_f32 v10, v13, v22 :: v_dual_add_nc_u32 v5, 4, v16
	s_delay_alu instid0(VALU_DEP_1) | instskip(NEXT) | instid1(VALU_DEP_2)
	v_fmac_f32_e32 v10, v15, v23
	v_lshlrev_b64 v[30:31], 2, v[5:6]
	s_waitcnt vmcnt(2)
	s_delay_alu instid0(VALU_DEP_2) | instskip(NEXT) | instid1(VALU_DEP_2)
	v_dual_fmac_f32 v10, v21, v24 :: v_dual_add_nc_u32 v5, -16, v3
	v_add_co_u32 v30, s3, s10, v30
	s_delay_alu instid0(VALU_DEP_1) | instskip(NEXT) | instid1(VALU_DEP_3)
	v_add_co_ci_u32_e64 v31, s3, s11, v31, s3
	v_lshlrev_b64 v[32:33], 2, v[5:6]
	s_waitcnt vmcnt(1)
	v_dual_fmac_f32 v10, v27, v25 :: v_dual_add_nc_u32 v5, -14, v3
	global_load_b64 v[30:31], v[30:31], off
	v_lshlrev_b64 v[34:35], 2, v[5:6]
	v_add_nc_u32_e32 v5, 6, v16
	v_add_co_u32 v32, s3, s8, v32
	s_delay_alu instid0(VALU_DEP_1) | instskip(NEXT) | instid1(VALU_DEP_4)
	v_add_co_ci_u32_e64 v33, s3, s9, v33, s3
	v_add_co_u32 v34, s3, s8, v34
	s_delay_alu instid0(VALU_DEP_1)
	v_add_co_ci_u32_e64 v35, s3, s9, v35, s3
	s_clause 0x1
	global_load_b64 v[32:33], v[32:33], off
	global_load_b64 v[34:35], v[34:35], off
	s_waitcnt vmcnt(2)
	v_fmac_f32_e32 v10, v29, v30
	v_lshlrev_b64 v[36:37], 2, v[5:6]
	v_fmac_f32_e32 v9, v12, v22
	s_delay_alu instid0(VALU_DEP_2) | instskip(NEXT) | instid1(VALU_DEP_1)
	v_add_co_u32 v36, s3, s10, v36
	v_add_co_ci_u32_e64 v37, s3, s11, v37, s3
	s_waitcnt vmcnt(1)
	v_fmac_f32_e32 v10, v33, v31
	global_load_b64 v[36:37], v[36:37], off
	s_waitcnt vmcnt(0)
	v_dual_fmac_f32 v10, v35, v36 :: v_dual_add_nc_u32 v5, -12, v3
	s_delay_alu instid0(VALU_DEP_1) | instskip(NEXT) | instid1(VALU_DEP_1)
	v_lshlrev_b64 v[38:39], 2, v[5:6]
	v_add_co_u32 v38, s3, s8, v38
	s_delay_alu instid0(VALU_DEP_1) | instskip(SKIP_2) | instid1(VALU_DEP_1)
	v_add_co_ci_u32_e64 v39, s3, s9, v39, s3
	global_load_b64 v[38:39], v[38:39], off
	v_add_nc_u32_e32 v5, -10, v3
	v_lshlrev_b64 v[40:41], 2, v[5:6]
	s_delay_alu instid0(VALU_DEP_1) | instskip(NEXT) | instid1(VALU_DEP_1)
	v_add_co_u32 v40, s3, s8, v40
	v_add_co_ci_u32_e64 v41, s3, s9, v41, s3
	global_load_b64 v[40:41], v[40:41], off
	s_waitcnt vmcnt(1)
	v_dual_fmac_f32 v10, v39, v37 :: v_dual_add_nc_u32 v5, 8, v16
	s_delay_alu instid0(VALU_DEP_1) | instskip(SKIP_1) | instid1(VALU_DEP_1)
	v_lshlrev_b64 v[42:43], 2, v[5:6]
	v_add_nc_u32_e32 v5, -8, v3
	v_lshlrev_b64 v[44:45], 2, v[5:6]
	s_delay_alu instid0(VALU_DEP_3) | instskip(NEXT) | instid1(VALU_DEP_1)
	v_add_co_u32 v42, s3, s10, v42
	v_add_co_ci_u32_e64 v43, s3, s11, v43, s3
	v_add_nc_u32_e32 v5, -6, v3
	s_delay_alu instid0(VALU_DEP_4)
	v_add_co_u32 v44, s3, s8, v44
	global_load_b64 v[42:43], v[42:43], off
	v_add_co_ci_u32_e64 v45, s3, s9, v45, s3
	v_lshlrev_b64 v[46:47], 2, v[5:6]
	global_load_b64 v[44:45], v[44:45], off
	v_add_co_u32 v46, s3, s8, v46
	s_delay_alu instid0(VALU_DEP_1) | instskip(SKIP_4) | instid1(VALU_DEP_1)
	v_add_co_ci_u32_e64 v47, s3, s9, v47, s3
	global_load_b64 v[46:47], v[46:47], off
	s_waitcnt vmcnt(2)
	v_dual_fmac_f32 v10, v41, v42 :: v_dual_add_nc_u32 v5, 10, v16
	s_waitcnt vmcnt(1)
	v_fmac_f32_e32 v10, v45, v43
	s_delay_alu instid0(VALU_DEP_2) | instskip(SKIP_1) | instid1(VALU_DEP_1)
	v_lshlrev_b64 v[48:49], 2, v[5:6]
	v_add_nc_u32_e32 v5, -4, v3
	v_lshlrev_b64 v[50:51], 2, v[5:6]
	v_add_nc_u32_e32 v5, -2, v3
	s_delay_alu instid0(VALU_DEP_4) | instskip(NEXT) | instid1(VALU_DEP_1)
	v_add_co_u32 v48, s3, s10, v48
	v_add_co_ci_u32_e64 v49, s3, s11, v49, s3
	s_delay_alu instid0(VALU_DEP_3) | instskip(SKIP_2) | instid1(VALU_DEP_1)
	v_lshlrev_b64 v[52:53], 2, v[5:6]
	v_add_nc_u32_e32 v5, 12, v16
	v_add_co_u32 v16, s3, s8, v50
	v_add_co_ci_u32_e64 v17, s3, s9, v51, s3
	s_delay_alu instid0(VALU_DEP_3) | instskip(SKIP_2) | instid1(VALU_DEP_1)
	v_lshlrev_b64 v[4:5], 2, v[5:6]
	global_load_b64 v[48:49], v[48:49], off
	v_add_co_u32 v50, s3, s8, v52
	v_add_co_ci_u32_e64 v51, s3, s9, v53, s3
	global_load_b64 v[16:17], v[16:17], off
	v_add_co_u32 v4, s3, s10, v4
	s_delay_alu instid0(VALU_DEP_1)
	v_add_co_ci_u32_e64 v5, s3, s11, v5, s3
	global_load_b64 v[50:51], v[50:51], off
	global_load_b64 v[4:5], v[4:5], off
	;; [unrolled: 1-line block ×3, first 2 shown]
	s_waitcnt vmcnt(4)
	v_dual_fmac_f32 v10, v47, v48 :: v_dual_add_nc_u32 v3, 0xe0, v3
	s_waitcnt vmcnt(3)
	s_delay_alu instid0(VALU_DEP_1) | instskip(SKIP_1) | instid1(VALU_DEP_1)
	v_fmac_f32_e32 v10, v17, v49
	s_waitcnt vmcnt(1)
	v_dual_fmac_f32 v10, v51, v4 :: v_dual_fmac_f32 v9, v14, v23
	s_waitcnt vmcnt(0)
	s_delay_alu instid0(VALU_DEP_1) | instskip(NEXT) | instid1(VALU_DEP_1)
	v_dual_fmac_f32 v10, v19, v5 :: v_dual_fmac_f32 v9, v20, v24
	v_fmac_f32_e32 v9, v26, v25
	s_delay_alu instid0(VALU_DEP_1) | instskip(NEXT) | instid1(VALU_DEP_1)
	v_fmac_f32_e32 v9, v28, v30
	v_fmac_f32_e32 v9, v32, v31
	s_delay_alu instid0(VALU_DEP_1) | instskip(NEXT) | instid1(VALU_DEP_1)
	v_fmac_f32_e32 v9, v34, v36
	v_fmac_f32_e32 v9, v38, v37
	s_delay_alu instid0(VALU_DEP_1) | instskip(NEXT) | instid1(VALU_DEP_1)
	v_fmac_f32_e32 v9, v40, v42
	v_fmac_f32_e32 v9, v44, v43
	s_delay_alu instid0(VALU_DEP_1) | instskip(NEXT) | instid1(VALU_DEP_1)
	v_fmac_f32_e32 v9, v46, v48
	v_fmac_f32_e32 v9, v16, v49
	s_delay_alu instid0(VALU_DEP_1) | instskip(NEXT) | instid1(VALU_DEP_1)
	v_fmac_f32_e32 v9, v50, v4
	v_fmac_f32_e32 v9, v18, v5
	s_and_not1_b32 exec_lo, exec_lo, s13
	s_cbranch_execnz .LBB61_9
; %bb.10:
	s_or_b32 exec_lo, exec_lo, s13
.LBB61_11:
	s_delay_alu instid0(SALU_CYCLE_1) | instskip(NEXT) | instid1(SALU_CYCLE_1)
	s_or_b32 exec_lo, exec_lo, s5
	s_and_not1_b32 vcc_lo, exec_lo, s4
	s_cbranch_vccz .LBB61_13
	s_branch .LBB61_18
.LBB61_12:
                                        ; implicit-def: $vgpr9
                                        ; implicit-def: $vgpr10
.LBB61_13:
	v_dual_mov_b32 v9, 0 :: v_dual_mov_b32 v10, 0
	s_delay_alu instid0(VALU_DEP_2)
	s_and_saveexec_b32 s3, s2
	s_cbranch_execz .LBB61_17
; %bb.14:
	v_mad_u64_u32 v[4:5], null, v2, 28, 27
	v_dual_mov_b32 v7, 0 :: v_dual_mov_b32 v10, 0
	v_mov_b32_e32 v9, 0
	s_mov_b32 s2, 0
.LBB61_15:                              ; =>This Inner Loop Header: Depth=1
	v_ashrrev_i32_e32 v3, 31, v2
	s_delay_alu instid0(VALU_DEP_3) | instskip(SKIP_1) | instid1(VALU_DEP_3)
	v_dual_mov_b32 v17, v7 :: v_dual_add_nc_u32 v12, -13, v4
	v_mov_b32_e32 v13, v7
	v_lshlrev_b64 v[5:6], 2, v[2:3]
	v_add_nc_u32_e32 v2, 8, v2
	s_delay_alu instid0(VALU_DEP_2) | instskip(NEXT) | instid1(VALU_DEP_3)
	v_add_co_u32 v5, vcc_lo, s6, v5
	v_add_co_ci_u32_e32 v6, vcc_lo, s7, v6, vcc_lo
	global_load_b32 v3, v[5:6], off
	v_subrev_nc_u32_e32 v6, 27, v4
	s_delay_alu instid0(VALU_DEP_1) | instskip(SKIP_2) | instid1(VALU_DEP_3)
	v_lshlrev_b64 v[14:15], 2, v[6:7]
	v_add_nc_u32_e32 v6, -12, v4
	v_lshlrev_b64 v[12:13], 2, v[12:13]
	v_add_co_u32 v14, vcc_lo, s8, v14
	s_delay_alu instid0(VALU_DEP_4) | instskip(NEXT) | instid1(VALU_DEP_3)
	v_add_co_ci_u32_e32 v15, vcc_lo, s9, v15, vcc_lo
	v_add_co_u32 v20, vcc_lo, s8, v12
	s_delay_alu instid0(VALU_DEP_4) | instskip(SKIP_2) | instid1(VALU_DEP_1)
	v_add_co_ci_u32_e32 v21, vcc_lo, s9, v13, vcc_lo
	s_waitcnt vmcnt(0)
	v_subrev_nc_u32_e32 v3, s18, v3
	v_mul_lo_u32 v16, v3, 14
	v_mov_b32_e32 v5, v7
	s_delay_alu instid0(VALU_DEP_1) | instskip(SKIP_1) | instid1(VALU_DEP_2)
	v_lshlrev_b64 v[18:19], 2, v[4:5]
	v_lshlrev_b64 v[5:6], 2, v[6:7]
	v_add_co_u32 v18, vcc_lo, s8, v18
	s_delay_alu instid0(VALU_DEP_3) | instskip(NEXT) | instid1(VALU_DEP_3)
	v_add_co_ci_u32_e32 v19, vcc_lo, s9, v19, vcc_lo
	v_add_co_u32 v5, vcc_lo, s8, v5
	s_delay_alu instid0(VALU_DEP_4)
	v_add_co_ci_u32_e32 v6, vcc_lo, s9, v6, vcc_lo
	s_clause 0x2
	global_load_b128 v[12:15], v[14:15], off
	global_load_b32 v8, v[20:21], off
	global_load_b32 v38, v[5:6], off
	v_add_nc_u32_e32 v6, 2, v16
	v_lshlrev_b64 v[20:21], 2, v[16:17]
	s_delay_alu instid0(VALU_DEP_2) | instskip(NEXT) | instid1(VALU_DEP_2)
	v_lshlrev_b64 v[22:23], 2, v[6:7]
	v_add_co_u32 v20, vcc_lo, s10, v20
	s_delay_alu instid0(VALU_DEP_3) | instskip(NEXT) | instid1(VALU_DEP_3)
	v_add_co_ci_u32_e32 v21, vcc_lo, s11, v21, vcc_lo
	v_add_co_u32 v22, vcc_lo, s10, v22
	s_delay_alu instid0(VALU_DEP_4)
	v_add_co_ci_u32_e32 v23, vcc_lo, s11, v23, vcc_lo
	s_clause 0x1
	global_load_b64 v[20:21], v[20:21], off
	global_load_b64 v[22:23], v[22:23], off
	s_waitcnt vmcnt(1)
	v_fmac_f32_e32 v10, v8, v20
	s_delay_alu instid0(VALU_DEP_1) | instskip(NEXT) | instid1(VALU_DEP_1)
	v_dual_fmac_f32 v9, v12, v20 :: v_dual_fmac_f32 v10, v38, v21
	v_dual_fmac_f32 v9, v13, v21 :: v_dual_add_nc_u32 v6, -11, v4
	s_delay_alu instid0(VALU_DEP_1) | instskip(SKIP_1) | instid1(VALU_DEP_2)
	v_lshlrev_b64 v[24:25], 2, v[6:7]
	s_waitcnt vmcnt(0)
	v_dual_fmac_f32 v9, v14, v22 :: v_dual_add_nc_u32 v6, -10, v4
	s_delay_alu instid0(VALU_DEP_1) | instskip(SKIP_1) | instid1(VALU_DEP_4)
	v_lshlrev_b64 v[26:27], 2, v[6:7]
	v_subrev_nc_u32_e32 v6, 23, v4
	v_add_co_u32 v24, vcc_lo, s8, v24
	v_add_co_ci_u32_e32 v25, vcc_lo, s9, v25, vcc_lo
	s_delay_alu instid0(VALU_DEP_4) | instskip(NEXT) | instid1(VALU_DEP_4)
	v_add_co_u32 v26, vcc_lo, s8, v26
	v_lshlrev_b64 v[28:29], 2, v[6:7]
	v_dual_fmac_f32 v9, v15, v23 :: v_dual_add_nc_u32 v6, 4, v16
	v_add_co_ci_u32_e32 v27, vcc_lo, s9, v27, vcc_lo
	s_clause 0x1
	global_load_b32 v3, v[24:25], off
	global_load_b32 v39, v[26:27], off
	v_lshlrev_b64 v[24:25], 2, v[6:7]
	v_add_co_u32 v26, vcc_lo, s8, v28
	v_add_co_ci_u32_e32 v27, vcc_lo, s9, v29, vcc_lo
	s_delay_alu instid0(VALU_DEP_3) | instskip(NEXT) | instid1(VALU_DEP_4)
	v_add_co_u32 v24, vcc_lo, s10, v24
	v_add_co_ci_u32_e32 v25, vcc_lo, s11, v25, vcc_lo
	global_load_b32 v40, v[26:27], off
	global_load_b64 v[24:25], v[24:25], off
	v_add_nc_u32_e32 v6, -9, v4
	s_delay_alu instid0(VALU_DEP_1) | instskip(SKIP_1) | instid1(VALU_DEP_2)
	v_lshlrev_b64 v[28:29], 2, v[6:7]
	v_subrev_nc_u32_e32 v6, 22, v4
	v_add_co_u32 v28, vcc_lo, s8, v28
	s_delay_alu instid0(VALU_DEP_3) | instskip(SKIP_3) | instid1(VALU_DEP_1)
	v_add_co_ci_u32_e32 v29, vcc_lo, s9, v29, vcc_lo
	global_load_b32 v41, v[28:29], off
	v_lshlrev_b64 v[26:27], 2, v[6:7]
	v_add_nc_u32_e32 v6, -8, v4
	v_lshlrev_b64 v[30:31], 2, v[6:7]
	v_subrev_nc_u32_e32 v6, 21, v4
	s_delay_alu instid0(VALU_DEP_4) | instskip(SKIP_1) | instid1(VALU_DEP_3)
	v_add_co_u32 v26, vcc_lo, s8, v26
	v_add_co_ci_u32_e32 v27, vcc_lo, s9, v27, vcc_lo
	v_lshlrev_b64 v[28:29], 2, v[6:7]
	v_add_nc_u32_e32 v6, 6, v16
	global_load_b32 v42, v[26:27], off
	v_add_co_u32 v26, vcc_lo, s8, v30
	v_add_co_ci_u32_e32 v27, vcc_lo, s9, v31, vcc_lo
	v_add_co_u32 v28, vcc_lo, s8, v28
	v_lshlrev_b64 v[30:31], 2, v[6:7]
	v_add_nc_u32_e32 v6, -7, v4
	v_add_co_ci_u32_e32 v29, vcc_lo, s9, v29, vcc_lo
	s_clause 0x1
	global_load_b32 v43, v[26:27], off
	global_load_b32 v44, v[28:29], off
	v_lshlrev_b64 v[26:27], 2, v[6:7]
	v_subrev_nc_u32_e32 v6, 20, v4
	v_add_co_u32 v28, vcc_lo, s10, v30
	v_add_co_ci_u32_e32 v29, vcc_lo, s11, v31, vcc_lo
	s_delay_alu instid0(VALU_DEP_3) | instskip(SKIP_3) | instid1(VALU_DEP_3)
	v_lshlrev_b64 v[30:31], 2, v[6:7]
	v_add_nc_u32_e32 v6, -6, v4
	v_add_co_u32 v26, vcc_lo, s8, v26
	v_add_co_ci_u32_e32 v27, vcc_lo, s9, v27, vcc_lo
	v_lshlrev_b64 v[32:33], 2, v[6:7]
	v_subrev_nc_u32_e32 v6, 19, v4
	global_load_b64 v[28:29], v[28:29], off
	global_load_b32 v45, v[26:27], off
	v_add_co_u32 v26, vcc_lo, s8, v30
	v_add_co_ci_u32_e32 v27, vcc_lo, s9, v31, vcc_lo
	v_lshlrev_b64 v[30:31], 2, v[6:7]
	v_add_nc_u32_e32 v6, 8, v16
	v_add_co_u32 v32, vcc_lo, s8, v32
	v_add_co_ci_u32_e32 v33, vcc_lo, s9, v33, vcc_lo
	s_delay_alu instid0(VALU_DEP_4)
	v_add_co_u32 v30, vcc_lo, s8, v30
	global_load_b32 v46, v[26:27], off
	v_lshlrev_b64 v[26:27], 2, v[6:7]
	v_add_nc_u32_e32 v6, -5, v4
	v_add_co_ci_u32_e32 v31, vcc_lo, s9, v31, vcc_lo
	global_load_b32 v47, v[32:33], off
	v_add_co_u32 v26, vcc_lo, s10, v26
	global_load_b32 v48, v[30:31], off
	v_lshlrev_b64 v[32:33], 2, v[6:7]
	v_subrev_nc_u32_e32 v6, 18, v4
	v_add_co_ci_u32_e32 v27, vcc_lo, s11, v27, vcc_lo
	s_delay_alu instid0(VALU_DEP_2) | instskip(SKIP_3) | instid1(VALU_DEP_4)
	v_lshlrev_b64 v[30:31], 2, v[6:7]
	v_add_nc_u32_e32 v6, -4, v4
	v_add_co_u32 v32, vcc_lo, s8, v32
	v_add_co_ci_u32_e32 v33, vcc_lo, s9, v33, vcc_lo
	v_add_co_u32 v30, vcc_lo, s8, v30
	s_delay_alu instid0(VALU_DEP_4)
	v_lshlrev_b64 v[34:35], 2, v[6:7]
	v_subrev_nc_u32_e32 v6, 17, v4
	v_add_co_ci_u32_e32 v31, vcc_lo, s9, v31, vcc_lo
	global_load_b32 v49, v[32:33], off
	global_load_b64 v[26:27], v[26:27], off
	global_load_b32 v50, v[30:31], off
	v_lshlrev_b64 v[32:33], 2, v[6:7]
	v_add_nc_u32_e32 v6, 10, v16
	v_add_co_u32 v30, vcc_lo, s8, v34
	v_add_co_ci_u32_e32 v31, vcc_lo, s9, v35, vcc_lo
	s_delay_alu instid0(VALU_DEP_4) | instskip(NEXT) | instid1(VALU_DEP_4)
	v_add_co_u32 v32, vcc_lo, s8, v32
	v_lshlrev_b64 v[34:35], 2, v[6:7]
	v_add_nc_u32_e32 v6, -3, v4
	v_add_co_ci_u32_e32 v33, vcc_lo, s9, v33, vcc_lo
	s_clause 0x1
	global_load_b32 v51, v[30:31], off
	global_load_b32 v52, v[32:33], off
	v_lshlrev_b64 v[30:31], 2, v[6:7]
	v_add_nc_u32_e32 v6, -16, v4
	v_add_co_u32 v32, vcc_lo, s10, v34
	v_add_co_ci_u32_e32 v33, vcc_lo, s11, v35, vcc_lo
	s_delay_alu instid0(VALU_DEP_3) | instskip(SKIP_3) | instid1(VALU_DEP_3)
	v_lshlrev_b64 v[34:35], 2, v[6:7]
	v_add_nc_u32_e32 v6, -2, v4
	v_add_co_u32 v30, vcc_lo, s8, v30
	v_add_co_ci_u32_e32 v31, vcc_lo, s9, v31, vcc_lo
	v_lshlrev_b64 v[36:37], 2, v[6:7]
	v_add_nc_u32_e32 v6, -15, v4
	global_load_b64 v[32:33], v[32:33], off
	global_load_b32 v53, v[30:31], off
	v_add_co_u32 v30, vcc_lo, s8, v34
	v_add_co_ci_u32_e32 v31, vcc_lo, s9, v35, vcc_lo
	v_lshlrev_b64 v[34:35], 2, v[6:7]
	v_add_nc_u32_e32 v6, 12, v16
	v_add_co_u32 v16, vcc_lo, s8, v36
	v_add_co_ci_u32_e32 v17, vcc_lo, s9, v37, vcc_lo
	global_load_b32 v36, v[30:31], off
	v_lshlrev_b64 v[30:31], 2, v[6:7]
	v_add_nc_u32_e32 v6, -1, v4
	global_load_b32 v37, v[16:17], off
	v_add_co_u32 v16, vcc_lo, s8, v34
	v_add_co_ci_u32_e32 v17, vcc_lo, s9, v35, vcc_lo
	v_add_co_u32 v30, vcc_lo, s10, v30
	v_add_co_ci_u32_e32 v31, vcc_lo, s11, v31, vcc_lo
	global_load_b32 v54, v[16:17], off
	v_lshlrev_b64 v[34:35], 2, v[6:7]
	v_add_nc_u32_e32 v6, -14, v4
	global_load_b64 v[16:17], v[30:31], off
	v_add_nc_u32_e32 v4, 0xe0, v4
	v_lshlrev_b64 v[5:6], 2, v[6:7]
	v_add_co_u32 v30, vcc_lo, s8, v34
	v_add_co_ci_u32_e32 v31, vcc_lo, s9, v35, vcc_lo
	s_delay_alu instid0(VALU_DEP_3) | instskip(NEXT) | instid1(VALU_DEP_4)
	v_add_co_u32 v5, vcc_lo, s8, v5
	v_add_co_ci_u32_e32 v6, vcc_lo, s9, v6, vcc_lo
	s_clause 0x2
	global_load_b32 v30, v[30:31], off
	global_load_b32 v5, v[5:6], off
	;; [unrolled: 1-line block ×3, first 2 shown]
	v_cmp_ge_i32_e32 vcc_lo, v2, v11
	s_or_b32 s2, vcc_lo, s2
	s_waitcnt vmcnt(23)
	v_dual_fmac_f32 v10, v3, v22 :: v_dual_fmac_f32 v9, v40, v24
	s_waitcnt vmcnt(21)
	s_delay_alu instid0(VALU_DEP_1) | instskip(SKIP_1) | instid1(VALU_DEP_1)
	v_dual_fmac_f32 v9, v42, v25 :: v_dual_fmac_f32 v10, v39, v23
	s_waitcnt vmcnt(18)
	v_fmac_f32_e32 v9, v44, v28
	s_waitcnt vmcnt(16)
	s_delay_alu instid0(VALU_DEP_1) | instskip(SKIP_1) | instid1(VALU_DEP_1)
	v_dual_fmac_f32 v10, v41, v24 :: v_dual_fmac_f32 v9, v46, v29
	s_waitcnt vmcnt(12)
	v_fmac_f32_e32 v9, v48, v26
	;; [unrolled: 5-line block ×3, first 2 shown]
	s_waitcnt vmcnt(6)
	s_delay_alu instid0(VALU_DEP_1) | instskip(SKIP_1) | instid1(VALU_DEP_1)
	v_dual_fmac_f32 v10, v45, v28 :: v_dual_fmac_f32 v9, v36, v33
	s_waitcnt vmcnt(3)
	v_dual_fmac_f32 v10, v47, v29 :: v_dual_fmac_f32 v9, v54, v16
	s_delay_alu instid0(VALU_DEP_1) | instskip(NEXT) | instid1(VALU_DEP_1)
	v_fmac_f32_e32 v10, v49, v26
	v_fmac_f32_e32 v10, v51, v27
	s_delay_alu instid0(VALU_DEP_1) | instskip(SKIP_2) | instid1(VALU_DEP_2)
	v_fmac_f32_e32 v10, v53, v32
	s_waitcnt vmcnt(1)
	v_fmac_f32_e32 v9, v5, v17
	v_fmac_f32_e32 v10, v37, v33
	s_delay_alu instid0(VALU_DEP_1) | instskip(SKIP_1) | instid1(VALU_DEP_1)
	v_fmac_f32_e32 v10, v30, v16
	s_waitcnt vmcnt(0)
	v_fmac_f32_e32 v10, v6, v17
	s_and_not1_b32 exec_lo, exec_lo, s2
	s_cbranch_execnz .LBB61_15
; %bb.16:
	s_or_b32 exec_lo, exec_lo, s2
.LBB61_17:
	s_delay_alu instid0(SALU_CYCLE_1)
	s_or_b32 exec_lo, exec_lo, s3
.LBB61_18:
	v_mbcnt_lo_u32_b32 v2, -1, 0
	s_mov_b32 s2, -1
	s_delay_alu instid0(VALU_DEP_1) | instskip(SKIP_2) | instid1(VALU_DEP_3)
	v_xor_b32_e32 v3, 4, v2
	v_xor_b32_e32 v5, 2, v2
	;; [unrolled: 1-line block ×3, first 2 shown]
	v_cmp_gt_i32_e32 vcc_lo, 32, v3
	v_cndmask_b32_e32 v3, v2, v3, vcc_lo
	s_delay_alu instid0(VALU_DEP_4) | instskip(NEXT) | instid1(VALU_DEP_2)
	v_cmp_gt_i32_e32 vcc_lo, 32, v5
	v_lshlrev_b32_e32 v3, 2, v3
	v_cndmask_b32_e32 v5, v2, v5, vcc_lo
	v_cmp_gt_i32_e32 vcc_lo, 32, v7
	ds_bpermute_b32 v4, v3, v9
	v_dual_cndmask_b32 v2, v2, v7 :: v_dual_lshlrev_b32 v5, 2, v5
	v_cmp_eq_u32_e32 vcc_lo, 7, v0
	s_waitcnt lgkmcnt(0)
	s_delay_alu instid0(VALU_DEP_2)
	v_dual_add_f32 v4, v9, v4 :: v_dual_lshlrev_b32 v7, 2, v2
	ds_bpermute_b32 v6, v5, v4
	s_waitcnt lgkmcnt(0)
	v_add_f32_e32 v2, v4, v6
	ds_bpermute_b32 v3, v3, v10
	ds_bpermute_b32 v4, v7, v2
	s_waitcnt lgkmcnt(1)
	v_add_f32_e32 v3, v10, v3
	ds_bpermute_b32 v5, v5, v3
	s_waitcnt lgkmcnt(0)
	v_add_f32_e32 v3, v3, v5
	ds_bpermute_b32 v5, v7, v3
	s_and_b32 exec_lo, exec_lo, vcc_lo
	s_cbranch_execz .LBB61_23
; %bb.19:
	s_load_b64 s[0:1], s[0:1], 0x38
	s_waitcnt lgkmcnt(0)
	v_dual_add_f32 v0, v2, v4 :: v_dual_add_f32 v3, v3, v5
	v_cmp_eq_f32_e64 s3, s12, 0
	s_delay_alu instid0(VALU_DEP_2) | instskip(SKIP_1) | instid1(VALU_DEP_3)
	v_dual_mul_f32 v2, s16, v0 :: v_dual_mul_f32 v3, s16, v3
	v_lshlrev_b32_e32 v0, 1, v1
	s_and_b32 vcc_lo, exec_lo, s3
	s_cbranch_vccz .LBB61_21
; %bb.20:
	s_delay_alu instid0(VALU_DEP_1) | instskip(SKIP_1) | instid1(VALU_DEP_1)
	v_ashrrev_i32_e32 v1, 31, v0
	s_mov_b32 s2, 0
	v_lshlrev_b64 v[4:5], 2, v[0:1]
	s_delay_alu instid0(VALU_DEP_1) | instskip(NEXT) | instid1(VALU_DEP_2)
	v_add_co_u32 v4, vcc_lo, s0, v4
	v_add_co_ci_u32_e32 v5, vcc_lo, s1, v5, vcc_lo
	global_store_b64 v[4:5], v[2:3], off
.LBB61_21:
	s_and_not1_b32 vcc_lo, exec_lo, s2
	s_cbranch_vccnz .LBB61_23
; %bb.22:
	v_ashrrev_i32_e32 v1, 31, v0
	s_delay_alu instid0(VALU_DEP_1) | instskip(NEXT) | instid1(VALU_DEP_1)
	v_lshlrev_b64 v[0:1], 2, v[0:1]
	v_add_co_u32 v0, vcc_lo, s0, v0
	s_delay_alu instid0(VALU_DEP_2)
	v_add_co_ci_u32_e32 v1, vcc_lo, s1, v1, vcc_lo
	global_load_b64 v[4:5], v[0:1], off
	s_waitcnt vmcnt(0)
	v_dual_fmac_f32 v2, s12, v4 :: v_dual_fmac_f32 v3, s12, v5
	global_store_b64 v[0:1], v[2:3], off
.LBB61_23:
	s_nop 0
	s_sendmsg sendmsg(MSG_DEALLOC_VGPRS)
	s_endpgm
	.section	.rodata,"a",@progbits
	.p2align	6, 0x0
	.amdhsa_kernel _ZN9rocsparseL19gebsrmvn_2xn_kernelILj128ELj14ELj8EfEEvi20rocsparse_direction_NS_24const_host_device_scalarIT2_EEPKiS6_PKS3_S8_S4_PS3_21rocsparse_index_base_b
		.amdhsa_group_segment_fixed_size 0
		.amdhsa_private_segment_fixed_size 0
		.amdhsa_kernarg_size 72
		.amdhsa_user_sgpr_count 15
		.amdhsa_user_sgpr_dispatch_ptr 0
		.amdhsa_user_sgpr_queue_ptr 0
		.amdhsa_user_sgpr_kernarg_segment_ptr 1
		.amdhsa_user_sgpr_dispatch_id 0
		.amdhsa_user_sgpr_private_segment_size 0
		.amdhsa_wavefront_size32 1
		.amdhsa_uses_dynamic_stack 0
		.amdhsa_enable_private_segment 0
		.amdhsa_system_sgpr_workgroup_id_x 1
		.amdhsa_system_sgpr_workgroup_id_y 0
		.amdhsa_system_sgpr_workgroup_id_z 0
		.amdhsa_system_sgpr_workgroup_info 0
		.amdhsa_system_vgpr_workitem_id 0
		.amdhsa_next_free_vgpr 55
		.amdhsa_next_free_sgpr 20
		.amdhsa_reserve_vcc 1
		.amdhsa_float_round_mode_32 0
		.amdhsa_float_round_mode_16_64 0
		.amdhsa_float_denorm_mode_32 3
		.amdhsa_float_denorm_mode_16_64 3
		.amdhsa_dx10_clamp 1
		.amdhsa_ieee_mode 1
		.amdhsa_fp16_overflow 0
		.amdhsa_workgroup_processor_mode 1
		.amdhsa_memory_ordered 1
		.amdhsa_forward_progress 0
		.amdhsa_shared_vgpr_count 0
		.amdhsa_exception_fp_ieee_invalid_op 0
		.amdhsa_exception_fp_denorm_src 0
		.amdhsa_exception_fp_ieee_div_zero 0
		.amdhsa_exception_fp_ieee_overflow 0
		.amdhsa_exception_fp_ieee_underflow 0
		.amdhsa_exception_fp_ieee_inexact 0
		.amdhsa_exception_int_div_zero 0
	.end_amdhsa_kernel
	.section	.text._ZN9rocsparseL19gebsrmvn_2xn_kernelILj128ELj14ELj8EfEEvi20rocsparse_direction_NS_24const_host_device_scalarIT2_EEPKiS6_PKS3_S8_S4_PS3_21rocsparse_index_base_b,"axG",@progbits,_ZN9rocsparseL19gebsrmvn_2xn_kernelILj128ELj14ELj8EfEEvi20rocsparse_direction_NS_24const_host_device_scalarIT2_EEPKiS6_PKS3_S8_S4_PS3_21rocsparse_index_base_b,comdat
.Lfunc_end61:
	.size	_ZN9rocsparseL19gebsrmvn_2xn_kernelILj128ELj14ELj8EfEEvi20rocsparse_direction_NS_24const_host_device_scalarIT2_EEPKiS6_PKS3_S8_S4_PS3_21rocsparse_index_base_b, .Lfunc_end61-_ZN9rocsparseL19gebsrmvn_2xn_kernelILj128ELj14ELj8EfEEvi20rocsparse_direction_NS_24const_host_device_scalarIT2_EEPKiS6_PKS3_S8_S4_PS3_21rocsparse_index_base_b
                                        ; -- End function
	.section	.AMDGPU.csdata,"",@progbits
; Kernel info:
; codeLenInByte = 3252
; NumSgprs: 22
; NumVgprs: 55
; ScratchSize: 0
; MemoryBound: 0
; FloatMode: 240
; IeeeMode: 1
; LDSByteSize: 0 bytes/workgroup (compile time only)
; SGPRBlocks: 2
; VGPRBlocks: 6
; NumSGPRsForWavesPerEU: 22
; NumVGPRsForWavesPerEU: 55
; Occupancy: 16
; WaveLimiterHint : 1
; COMPUTE_PGM_RSRC2:SCRATCH_EN: 0
; COMPUTE_PGM_RSRC2:USER_SGPR: 15
; COMPUTE_PGM_RSRC2:TRAP_HANDLER: 0
; COMPUTE_PGM_RSRC2:TGID_X_EN: 1
; COMPUTE_PGM_RSRC2:TGID_Y_EN: 0
; COMPUTE_PGM_RSRC2:TGID_Z_EN: 0
; COMPUTE_PGM_RSRC2:TIDIG_COMP_CNT: 0
	.section	.text._ZN9rocsparseL19gebsrmvn_2xn_kernelILj128ELj14ELj16EfEEvi20rocsparse_direction_NS_24const_host_device_scalarIT2_EEPKiS6_PKS3_S8_S4_PS3_21rocsparse_index_base_b,"axG",@progbits,_ZN9rocsparseL19gebsrmvn_2xn_kernelILj128ELj14ELj16EfEEvi20rocsparse_direction_NS_24const_host_device_scalarIT2_EEPKiS6_PKS3_S8_S4_PS3_21rocsparse_index_base_b,comdat
	.globl	_ZN9rocsparseL19gebsrmvn_2xn_kernelILj128ELj14ELj16EfEEvi20rocsparse_direction_NS_24const_host_device_scalarIT2_EEPKiS6_PKS3_S8_S4_PS3_21rocsparse_index_base_b ; -- Begin function _ZN9rocsparseL19gebsrmvn_2xn_kernelILj128ELj14ELj16EfEEvi20rocsparse_direction_NS_24const_host_device_scalarIT2_EEPKiS6_PKS3_S8_S4_PS3_21rocsparse_index_base_b
	.p2align	8
	.type	_ZN9rocsparseL19gebsrmvn_2xn_kernelILj128ELj14ELj16EfEEvi20rocsparse_direction_NS_24const_host_device_scalarIT2_EEPKiS6_PKS3_S8_S4_PS3_21rocsparse_index_base_b,@function
_ZN9rocsparseL19gebsrmvn_2xn_kernelILj128ELj14ELj16EfEEvi20rocsparse_direction_NS_24const_host_device_scalarIT2_EEPKiS6_PKS3_S8_S4_PS3_21rocsparse_index_base_b: ; @_ZN9rocsparseL19gebsrmvn_2xn_kernelILj128ELj14ELj16EfEEvi20rocsparse_direction_NS_24const_host_device_scalarIT2_EEPKiS6_PKS3_S8_S4_PS3_21rocsparse_index_base_b
; %bb.0:
	s_clause 0x2
	s_load_b64 s[18:19], s[0:1], 0x40
	s_load_b64 s[16:17], s[0:1], 0x8
	;; [unrolled: 1-line block ×3, first 2 shown]
	s_waitcnt lgkmcnt(0)
	s_bitcmp1_b32 s19, 0
	s_cselect_b32 s2, -1, 0
	s_delay_alu instid0(SALU_CYCLE_1)
	s_and_b32 vcc_lo, exec_lo, s2
	s_xor_b32 s2, s2, -1
	s_cbranch_vccnz .LBB62_2
; %bb.1:
	s_load_b32 s16, s[16:17], 0x0
.LBB62_2:
	s_and_not1_b32 vcc_lo, exec_lo, s2
	s_cbranch_vccnz .LBB62_4
; %bb.3:
	s_load_b32 s12, s[12:13], 0x0
.LBB62_4:
	s_waitcnt lgkmcnt(0)
	v_cmp_eq_f32_e64 s2, s16, 0
	v_cmp_eq_f32_e64 s3, s12, 1.0
	s_delay_alu instid0(VALU_DEP_1) | instskip(NEXT) | instid1(SALU_CYCLE_1)
	s_and_b32 s2, s2, s3
	s_and_b32 vcc_lo, exec_lo, s2
	s_cbranch_vccnz .LBB62_23
; %bb.5:
	s_load_b64 s[2:3], s[0:1], 0x0
	v_lshrrev_b32_e32 v1, 4, v0
	s_delay_alu instid0(VALU_DEP_1) | instskip(SKIP_1) | instid1(VALU_DEP_1)
	v_lshl_or_b32 v1, s15, 3, v1
	s_waitcnt lgkmcnt(0)
	v_cmp_gt_i32_e32 vcc_lo, s2, v1
	s_and_saveexec_b32 s2, vcc_lo
	s_cbranch_execz .LBB62_23
; %bb.6:
	s_load_b256 s[4:11], s[0:1], 0x10
	v_ashrrev_i32_e32 v2, 31, v1
	v_and_b32_e32 v0, 15, v0
	s_cmp_lg_u32 s3, 0
	s_delay_alu instid0(VALU_DEP_2) | instskip(SKIP_1) | instid1(VALU_DEP_1)
	v_lshlrev_b64 v[2:3], 2, v[1:2]
	s_waitcnt lgkmcnt(0)
	v_add_co_u32 v2, vcc_lo, s4, v2
	s_delay_alu instid0(VALU_DEP_2) | instskip(SKIP_4) | instid1(VALU_DEP_2)
	v_add_co_ci_u32_e32 v3, vcc_lo, s5, v3, vcc_lo
	global_load_b64 v[2:3], v[2:3], off
	s_waitcnt vmcnt(0)
	v_subrev_nc_u32_e32 v2, s18, v2
	v_subrev_nc_u32_e32 v11, s18, v3
	v_add_nc_u32_e32 v2, v2, v0
	s_delay_alu instid0(VALU_DEP_1)
	v_cmp_lt_i32_e64 s2, v2, v11
	s_cbranch_scc0 .LBB62_12
; %bb.7:
	v_dual_mov_b32 v9, 0 :: v_dual_mov_b32 v10, 0
	s_mov_b32 s4, 0
	s_delay_alu instid0(VALU_DEP_2)
	s_and_saveexec_b32 s5, s2
	s_cbranch_execz .LBB62_11
; %bb.8:
	v_mad_u64_u32 v[3:4], null, v2, 28, 26
	v_dual_mov_b32 v6, 0 :: v_dual_mov_b32 v7, v2
	v_dual_mov_b32 v9, 0 :: v_dual_mov_b32 v10, 0
	s_mov_b32 s13, 0
.LBB62_9:                               ; =>This Inner Loop Header: Depth=1
	s_delay_alu instid0(VALU_DEP_2) | instskip(NEXT) | instid1(VALU_DEP_1)
	v_ashrrev_i32_e32 v8, 31, v7
	v_lshlrev_b64 v[4:5], 2, v[7:8]
	v_add_nc_u32_e32 v7, 16, v7
	s_delay_alu instid0(VALU_DEP_2) | instskip(NEXT) | instid1(VALU_DEP_3)
	v_add_co_u32 v4, vcc_lo, s6, v4
	v_add_co_ci_u32_e32 v5, vcc_lo, s7, v5, vcc_lo
	global_load_b32 v8, v[4:5], off
	v_subrev_nc_u32_e32 v5, 26, v3
	v_mov_b32_e32 v4, v6
	s_delay_alu instid0(VALU_DEP_2) | instskip(SKIP_1) | instid1(VALU_DEP_3)
	v_lshlrev_b64 v[12:13], 2, v[5:6]
	v_subrev_nc_u32_e32 v5, 22, v3
	v_lshlrev_b64 v[18:19], 2, v[3:4]
	s_delay_alu instid0(VALU_DEP_2) | instskip(NEXT) | instid1(VALU_DEP_4)
	v_lshlrev_b64 v[4:5], 2, v[5:6]
	v_add_co_u32 v12, vcc_lo, s8, v12
	v_add_co_ci_u32_e32 v13, vcc_lo, s9, v13, vcc_lo
	s_delay_alu instid0(VALU_DEP_4) | instskip(NEXT) | instid1(VALU_DEP_4)
	v_add_co_u32 v18, vcc_lo, s8, v18
	v_add_co_u32 v4, s3, s8, v4
	s_delay_alu instid0(VALU_DEP_1)
	v_add_co_ci_u32_e64 v5, s3, s9, v5, s3
	s_clause 0x1
	global_load_b128 v[12:15], v[12:13], off
	global_load_b64 v[20:21], v[4:5], off
	v_mov_b32_e32 v17, v6
	v_add_co_ci_u32_e32 v19, vcc_lo, s9, v19, vcc_lo
	v_cmp_ge_i32_e32 vcc_lo, v7, v11
	s_or_b32 s13, vcc_lo, s13
	s_waitcnt vmcnt(2)
	v_subrev_nc_u32_e32 v4, s18, v8
	s_delay_alu instid0(VALU_DEP_1) | instskip(NEXT) | instid1(VALU_DEP_1)
	v_mul_lo_u32 v16, v4, 14
	v_lshlrev_b64 v[22:23], 2, v[16:17]
	v_add_nc_u32_e32 v5, 2, v16
	s_delay_alu instid0(VALU_DEP_1) | instskip(NEXT) | instid1(VALU_DEP_3)
	v_lshlrev_b64 v[24:25], 2, v[5:6]
	v_add_co_u32 v22, s3, s10, v22
	s_delay_alu instid0(VALU_DEP_1) | instskip(SKIP_1) | instid1(VALU_DEP_4)
	v_add_co_ci_u32_e64 v23, s3, s11, v23, s3
	v_subrev_nc_u32_e32 v5, 20, v3
	v_add_co_u32 v24, s3, s10, v24
	global_load_b64 v[22:23], v[22:23], off
	v_add_co_ci_u32_e64 v25, s3, s11, v25, s3
	v_lshlrev_b64 v[26:27], 2, v[5:6]
	v_subrev_nc_u32_e32 v5, 18, v3
	global_load_b64 v[24:25], v[24:25], off
	v_lshlrev_b64 v[28:29], 2, v[5:6]
	v_add_co_u32 v26, s3, s8, v26
	s_delay_alu instid0(VALU_DEP_1) | instskip(NEXT) | instid1(VALU_DEP_3)
	v_add_co_ci_u32_e64 v27, s3, s9, v27, s3
	v_add_co_u32 v28, s3, s8, v28
	s_delay_alu instid0(VALU_DEP_1)
	v_add_co_ci_u32_e64 v29, s3, s9, v29, s3
	s_clause 0x1
	global_load_b64 v[26:27], v[26:27], off
	global_load_b64 v[28:29], v[28:29], off
	s_waitcnt vmcnt(3)
	v_dual_fmac_f32 v10, v13, v22 :: v_dual_add_nc_u32 v5, 4, v16
	s_delay_alu instid0(VALU_DEP_1) | instskip(NEXT) | instid1(VALU_DEP_2)
	v_fmac_f32_e32 v10, v15, v23
	v_lshlrev_b64 v[30:31], 2, v[5:6]
	s_waitcnt vmcnt(2)
	s_delay_alu instid0(VALU_DEP_2) | instskip(NEXT) | instid1(VALU_DEP_2)
	v_dual_fmac_f32 v10, v21, v24 :: v_dual_add_nc_u32 v5, -16, v3
	v_add_co_u32 v30, s3, s10, v30
	s_delay_alu instid0(VALU_DEP_1) | instskip(NEXT) | instid1(VALU_DEP_3)
	v_add_co_ci_u32_e64 v31, s3, s11, v31, s3
	v_lshlrev_b64 v[32:33], 2, v[5:6]
	s_waitcnt vmcnt(1)
	v_dual_fmac_f32 v10, v27, v25 :: v_dual_add_nc_u32 v5, -14, v3
	global_load_b64 v[30:31], v[30:31], off
	v_lshlrev_b64 v[34:35], 2, v[5:6]
	v_add_nc_u32_e32 v5, 6, v16
	v_add_co_u32 v32, s3, s8, v32
	s_delay_alu instid0(VALU_DEP_1) | instskip(NEXT) | instid1(VALU_DEP_4)
	v_add_co_ci_u32_e64 v33, s3, s9, v33, s3
	v_add_co_u32 v34, s3, s8, v34
	s_delay_alu instid0(VALU_DEP_1)
	v_add_co_ci_u32_e64 v35, s3, s9, v35, s3
	s_clause 0x1
	global_load_b64 v[32:33], v[32:33], off
	global_load_b64 v[34:35], v[34:35], off
	s_waitcnt vmcnt(2)
	v_fmac_f32_e32 v10, v29, v30
	v_lshlrev_b64 v[36:37], 2, v[5:6]
	v_fmac_f32_e32 v9, v12, v22
	s_delay_alu instid0(VALU_DEP_2) | instskip(NEXT) | instid1(VALU_DEP_1)
	v_add_co_u32 v36, s3, s10, v36
	v_add_co_ci_u32_e64 v37, s3, s11, v37, s3
	s_waitcnt vmcnt(1)
	v_fmac_f32_e32 v10, v33, v31
	global_load_b64 v[36:37], v[36:37], off
	s_waitcnt vmcnt(0)
	v_dual_fmac_f32 v10, v35, v36 :: v_dual_add_nc_u32 v5, -12, v3
	s_delay_alu instid0(VALU_DEP_1) | instskip(NEXT) | instid1(VALU_DEP_1)
	v_lshlrev_b64 v[38:39], 2, v[5:6]
	v_add_co_u32 v38, s3, s8, v38
	s_delay_alu instid0(VALU_DEP_1) | instskip(SKIP_2) | instid1(VALU_DEP_1)
	v_add_co_ci_u32_e64 v39, s3, s9, v39, s3
	global_load_b64 v[38:39], v[38:39], off
	v_add_nc_u32_e32 v5, -10, v3
	v_lshlrev_b64 v[40:41], 2, v[5:6]
	s_delay_alu instid0(VALU_DEP_1) | instskip(NEXT) | instid1(VALU_DEP_1)
	v_add_co_u32 v40, s3, s8, v40
	v_add_co_ci_u32_e64 v41, s3, s9, v41, s3
	global_load_b64 v[40:41], v[40:41], off
	s_waitcnt vmcnt(1)
	v_dual_fmac_f32 v10, v39, v37 :: v_dual_add_nc_u32 v5, 8, v16
	s_delay_alu instid0(VALU_DEP_1) | instskip(SKIP_1) | instid1(VALU_DEP_1)
	v_lshlrev_b64 v[42:43], 2, v[5:6]
	v_add_nc_u32_e32 v5, -8, v3
	v_lshlrev_b64 v[44:45], 2, v[5:6]
	s_delay_alu instid0(VALU_DEP_3) | instskip(NEXT) | instid1(VALU_DEP_1)
	v_add_co_u32 v42, s3, s10, v42
	v_add_co_ci_u32_e64 v43, s3, s11, v43, s3
	v_add_nc_u32_e32 v5, -6, v3
	s_delay_alu instid0(VALU_DEP_4)
	v_add_co_u32 v44, s3, s8, v44
	global_load_b64 v[42:43], v[42:43], off
	v_add_co_ci_u32_e64 v45, s3, s9, v45, s3
	v_lshlrev_b64 v[46:47], 2, v[5:6]
	global_load_b64 v[44:45], v[44:45], off
	v_add_co_u32 v46, s3, s8, v46
	s_delay_alu instid0(VALU_DEP_1) | instskip(SKIP_4) | instid1(VALU_DEP_1)
	v_add_co_ci_u32_e64 v47, s3, s9, v47, s3
	global_load_b64 v[46:47], v[46:47], off
	s_waitcnt vmcnt(2)
	v_dual_fmac_f32 v10, v41, v42 :: v_dual_add_nc_u32 v5, 10, v16
	s_waitcnt vmcnt(1)
	v_fmac_f32_e32 v10, v45, v43
	s_delay_alu instid0(VALU_DEP_2) | instskip(SKIP_1) | instid1(VALU_DEP_1)
	v_lshlrev_b64 v[48:49], 2, v[5:6]
	v_add_nc_u32_e32 v5, -4, v3
	v_lshlrev_b64 v[50:51], 2, v[5:6]
	v_add_nc_u32_e32 v5, -2, v3
	s_delay_alu instid0(VALU_DEP_4) | instskip(NEXT) | instid1(VALU_DEP_1)
	v_add_co_u32 v48, s3, s10, v48
	v_add_co_ci_u32_e64 v49, s3, s11, v49, s3
	s_delay_alu instid0(VALU_DEP_3) | instskip(SKIP_2) | instid1(VALU_DEP_1)
	v_lshlrev_b64 v[52:53], 2, v[5:6]
	v_add_nc_u32_e32 v5, 12, v16
	v_add_co_u32 v16, s3, s8, v50
	v_add_co_ci_u32_e64 v17, s3, s9, v51, s3
	s_delay_alu instid0(VALU_DEP_3) | instskip(SKIP_2) | instid1(VALU_DEP_1)
	v_lshlrev_b64 v[4:5], 2, v[5:6]
	global_load_b64 v[48:49], v[48:49], off
	v_add_co_u32 v50, s3, s8, v52
	v_add_co_ci_u32_e64 v51, s3, s9, v53, s3
	global_load_b64 v[16:17], v[16:17], off
	v_add_co_u32 v4, s3, s10, v4
	s_delay_alu instid0(VALU_DEP_1)
	v_add_co_ci_u32_e64 v5, s3, s11, v5, s3
	global_load_b64 v[50:51], v[50:51], off
	global_load_b64 v[4:5], v[4:5], off
	;; [unrolled: 1-line block ×3, first 2 shown]
	s_waitcnt vmcnt(4)
	v_dual_fmac_f32 v10, v47, v48 :: v_dual_add_nc_u32 v3, 0x1c0, v3
	s_waitcnt vmcnt(3)
	s_delay_alu instid0(VALU_DEP_1) | instskip(SKIP_1) | instid1(VALU_DEP_1)
	v_fmac_f32_e32 v10, v17, v49
	s_waitcnt vmcnt(1)
	v_dual_fmac_f32 v10, v51, v4 :: v_dual_fmac_f32 v9, v14, v23
	s_waitcnt vmcnt(0)
	s_delay_alu instid0(VALU_DEP_1) | instskip(NEXT) | instid1(VALU_DEP_1)
	v_dual_fmac_f32 v10, v19, v5 :: v_dual_fmac_f32 v9, v20, v24
	v_fmac_f32_e32 v9, v26, v25
	s_delay_alu instid0(VALU_DEP_1) | instskip(NEXT) | instid1(VALU_DEP_1)
	v_fmac_f32_e32 v9, v28, v30
	v_fmac_f32_e32 v9, v32, v31
	s_delay_alu instid0(VALU_DEP_1) | instskip(NEXT) | instid1(VALU_DEP_1)
	v_fmac_f32_e32 v9, v34, v36
	;; [unrolled: 3-line block ×5, first 2 shown]
	v_fmac_f32_e32 v9, v18, v5
	s_and_not1_b32 exec_lo, exec_lo, s13
	s_cbranch_execnz .LBB62_9
; %bb.10:
	s_or_b32 exec_lo, exec_lo, s13
.LBB62_11:
	s_delay_alu instid0(SALU_CYCLE_1) | instskip(NEXT) | instid1(SALU_CYCLE_1)
	s_or_b32 exec_lo, exec_lo, s5
	s_and_not1_b32 vcc_lo, exec_lo, s4
	s_cbranch_vccz .LBB62_13
	s_branch .LBB62_18
.LBB62_12:
                                        ; implicit-def: $vgpr9
                                        ; implicit-def: $vgpr10
.LBB62_13:
	v_dual_mov_b32 v9, 0 :: v_dual_mov_b32 v10, 0
	s_delay_alu instid0(VALU_DEP_2)
	s_and_saveexec_b32 s3, s2
	s_cbranch_execz .LBB62_17
; %bb.14:
	v_mad_u64_u32 v[4:5], null, v2, 28, 27
	v_dual_mov_b32 v7, 0 :: v_dual_mov_b32 v10, 0
	v_mov_b32_e32 v9, 0
	s_mov_b32 s2, 0
.LBB62_15:                              ; =>This Inner Loop Header: Depth=1
	v_ashrrev_i32_e32 v3, 31, v2
	s_delay_alu instid0(VALU_DEP_3) | instskip(SKIP_1) | instid1(VALU_DEP_3)
	v_dual_mov_b32 v17, v7 :: v_dual_add_nc_u32 v12, -13, v4
	v_mov_b32_e32 v13, v7
	v_lshlrev_b64 v[5:6], 2, v[2:3]
	v_add_nc_u32_e32 v2, 16, v2
	s_delay_alu instid0(VALU_DEP_2) | instskip(NEXT) | instid1(VALU_DEP_3)
	v_add_co_u32 v5, vcc_lo, s6, v5
	v_add_co_ci_u32_e32 v6, vcc_lo, s7, v6, vcc_lo
	global_load_b32 v3, v[5:6], off
	v_subrev_nc_u32_e32 v6, 27, v4
	s_delay_alu instid0(VALU_DEP_1) | instskip(SKIP_2) | instid1(VALU_DEP_3)
	v_lshlrev_b64 v[14:15], 2, v[6:7]
	v_add_nc_u32_e32 v6, -12, v4
	v_lshlrev_b64 v[12:13], 2, v[12:13]
	v_add_co_u32 v14, vcc_lo, s8, v14
	s_delay_alu instid0(VALU_DEP_4) | instskip(NEXT) | instid1(VALU_DEP_3)
	v_add_co_ci_u32_e32 v15, vcc_lo, s9, v15, vcc_lo
	v_add_co_u32 v20, vcc_lo, s8, v12
	s_delay_alu instid0(VALU_DEP_4) | instskip(SKIP_2) | instid1(VALU_DEP_1)
	v_add_co_ci_u32_e32 v21, vcc_lo, s9, v13, vcc_lo
	s_waitcnt vmcnt(0)
	v_subrev_nc_u32_e32 v3, s18, v3
	v_mul_lo_u32 v16, v3, 14
	v_mov_b32_e32 v5, v7
	s_delay_alu instid0(VALU_DEP_1) | instskip(SKIP_1) | instid1(VALU_DEP_2)
	v_lshlrev_b64 v[18:19], 2, v[4:5]
	v_lshlrev_b64 v[5:6], 2, v[6:7]
	v_add_co_u32 v18, vcc_lo, s8, v18
	s_delay_alu instid0(VALU_DEP_3) | instskip(NEXT) | instid1(VALU_DEP_3)
	v_add_co_ci_u32_e32 v19, vcc_lo, s9, v19, vcc_lo
	v_add_co_u32 v5, vcc_lo, s8, v5
	s_delay_alu instid0(VALU_DEP_4)
	v_add_co_ci_u32_e32 v6, vcc_lo, s9, v6, vcc_lo
	s_clause 0x2
	global_load_b128 v[12:15], v[14:15], off
	global_load_b32 v8, v[20:21], off
	global_load_b32 v38, v[5:6], off
	v_add_nc_u32_e32 v6, 2, v16
	v_lshlrev_b64 v[20:21], 2, v[16:17]
	s_delay_alu instid0(VALU_DEP_2) | instskip(NEXT) | instid1(VALU_DEP_2)
	v_lshlrev_b64 v[22:23], 2, v[6:7]
	v_add_co_u32 v20, vcc_lo, s10, v20
	s_delay_alu instid0(VALU_DEP_3) | instskip(NEXT) | instid1(VALU_DEP_3)
	v_add_co_ci_u32_e32 v21, vcc_lo, s11, v21, vcc_lo
	v_add_co_u32 v22, vcc_lo, s10, v22
	s_delay_alu instid0(VALU_DEP_4)
	v_add_co_ci_u32_e32 v23, vcc_lo, s11, v23, vcc_lo
	s_clause 0x1
	global_load_b64 v[20:21], v[20:21], off
	global_load_b64 v[22:23], v[22:23], off
	s_waitcnt vmcnt(1)
	v_fmac_f32_e32 v10, v8, v20
	s_delay_alu instid0(VALU_DEP_1) | instskip(NEXT) | instid1(VALU_DEP_1)
	v_dual_fmac_f32 v9, v12, v20 :: v_dual_fmac_f32 v10, v38, v21
	v_dual_fmac_f32 v9, v13, v21 :: v_dual_add_nc_u32 v6, -11, v4
	s_delay_alu instid0(VALU_DEP_1) | instskip(SKIP_1) | instid1(VALU_DEP_2)
	v_lshlrev_b64 v[24:25], 2, v[6:7]
	s_waitcnt vmcnt(0)
	v_dual_fmac_f32 v9, v14, v22 :: v_dual_add_nc_u32 v6, -10, v4
	s_delay_alu instid0(VALU_DEP_1) | instskip(SKIP_1) | instid1(VALU_DEP_4)
	v_lshlrev_b64 v[26:27], 2, v[6:7]
	v_subrev_nc_u32_e32 v6, 23, v4
	v_add_co_u32 v24, vcc_lo, s8, v24
	v_add_co_ci_u32_e32 v25, vcc_lo, s9, v25, vcc_lo
	s_delay_alu instid0(VALU_DEP_4) | instskip(NEXT) | instid1(VALU_DEP_4)
	v_add_co_u32 v26, vcc_lo, s8, v26
	v_lshlrev_b64 v[28:29], 2, v[6:7]
	v_dual_fmac_f32 v9, v15, v23 :: v_dual_add_nc_u32 v6, 4, v16
	v_add_co_ci_u32_e32 v27, vcc_lo, s9, v27, vcc_lo
	s_clause 0x1
	global_load_b32 v3, v[24:25], off
	global_load_b32 v39, v[26:27], off
	v_lshlrev_b64 v[24:25], 2, v[6:7]
	v_add_co_u32 v26, vcc_lo, s8, v28
	v_add_co_ci_u32_e32 v27, vcc_lo, s9, v29, vcc_lo
	s_delay_alu instid0(VALU_DEP_3) | instskip(NEXT) | instid1(VALU_DEP_4)
	v_add_co_u32 v24, vcc_lo, s10, v24
	v_add_co_ci_u32_e32 v25, vcc_lo, s11, v25, vcc_lo
	global_load_b32 v40, v[26:27], off
	global_load_b64 v[24:25], v[24:25], off
	v_add_nc_u32_e32 v6, -9, v4
	s_delay_alu instid0(VALU_DEP_1) | instskip(SKIP_1) | instid1(VALU_DEP_2)
	v_lshlrev_b64 v[28:29], 2, v[6:7]
	v_subrev_nc_u32_e32 v6, 22, v4
	v_add_co_u32 v28, vcc_lo, s8, v28
	s_delay_alu instid0(VALU_DEP_3) | instskip(SKIP_3) | instid1(VALU_DEP_1)
	v_add_co_ci_u32_e32 v29, vcc_lo, s9, v29, vcc_lo
	global_load_b32 v41, v[28:29], off
	v_lshlrev_b64 v[26:27], 2, v[6:7]
	v_add_nc_u32_e32 v6, -8, v4
	v_lshlrev_b64 v[30:31], 2, v[6:7]
	v_subrev_nc_u32_e32 v6, 21, v4
	s_delay_alu instid0(VALU_DEP_4) | instskip(SKIP_1) | instid1(VALU_DEP_3)
	v_add_co_u32 v26, vcc_lo, s8, v26
	v_add_co_ci_u32_e32 v27, vcc_lo, s9, v27, vcc_lo
	v_lshlrev_b64 v[28:29], 2, v[6:7]
	v_add_nc_u32_e32 v6, 6, v16
	global_load_b32 v42, v[26:27], off
	v_add_co_u32 v26, vcc_lo, s8, v30
	v_add_co_ci_u32_e32 v27, vcc_lo, s9, v31, vcc_lo
	v_add_co_u32 v28, vcc_lo, s8, v28
	v_lshlrev_b64 v[30:31], 2, v[6:7]
	v_add_nc_u32_e32 v6, -7, v4
	v_add_co_ci_u32_e32 v29, vcc_lo, s9, v29, vcc_lo
	s_clause 0x1
	global_load_b32 v43, v[26:27], off
	global_load_b32 v44, v[28:29], off
	v_lshlrev_b64 v[26:27], 2, v[6:7]
	v_subrev_nc_u32_e32 v6, 20, v4
	v_add_co_u32 v28, vcc_lo, s10, v30
	v_add_co_ci_u32_e32 v29, vcc_lo, s11, v31, vcc_lo
	s_delay_alu instid0(VALU_DEP_3) | instskip(SKIP_3) | instid1(VALU_DEP_3)
	v_lshlrev_b64 v[30:31], 2, v[6:7]
	v_add_nc_u32_e32 v6, -6, v4
	v_add_co_u32 v26, vcc_lo, s8, v26
	v_add_co_ci_u32_e32 v27, vcc_lo, s9, v27, vcc_lo
	v_lshlrev_b64 v[32:33], 2, v[6:7]
	v_subrev_nc_u32_e32 v6, 19, v4
	global_load_b64 v[28:29], v[28:29], off
	global_load_b32 v45, v[26:27], off
	v_add_co_u32 v26, vcc_lo, s8, v30
	v_add_co_ci_u32_e32 v27, vcc_lo, s9, v31, vcc_lo
	v_lshlrev_b64 v[30:31], 2, v[6:7]
	v_add_nc_u32_e32 v6, 8, v16
	v_add_co_u32 v32, vcc_lo, s8, v32
	v_add_co_ci_u32_e32 v33, vcc_lo, s9, v33, vcc_lo
	s_delay_alu instid0(VALU_DEP_4)
	v_add_co_u32 v30, vcc_lo, s8, v30
	global_load_b32 v46, v[26:27], off
	v_lshlrev_b64 v[26:27], 2, v[6:7]
	v_add_nc_u32_e32 v6, -5, v4
	v_add_co_ci_u32_e32 v31, vcc_lo, s9, v31, vcc_lo
	global_load_b32 v47, v[32:33], off
	v_add_co_u32 v26, vcc_lo, s10, v26
	global_load_b32 v48, v[30:31], off
	v_lshlrev_b64 v[32:33], 2, v[6:7]
	v_subrev_nc_u32_e32 v6, 18, v4
	v_add_co_ci_u32_e32 v27, vcc_lo, s11, v27, vcc_lo
	s_delay_alu instid0(VALU_DEP_2) | instskip(SKIP_3) | instid1(VALU_DEP_4)
	v_lshlrev_b64 v[30:31], 2, v[6:7]
	v_add_nc_u32_e32 v6, -4, v4
	v_add_co_u32 v32, vcc_lo, s8, v32
	v_add_co_ci_u32_e32 v33, vcc_lo, s9, v33, vcc_lo
	v_add_co_u32 v30, vcc_lo, s8, v30
	s_delay_alu instid0(VALU_DEP_4)
	v_lshlrev_b64 v[34:35], 2, v[6:7]
	v_subrev_nc_u32_e32 v6, 17, v4
	v_add_co_ci_u32_e32 v31, vcc_lo, s9, v31, vcc_lo
	global_load_b32 v49, v[32:33], off
	global_load_b64 v[26:27], v[26:27], off
	global_load_b32 v50, v[30:31], off
	v_lshlrev_b64 v[32:33], 2, v[6:7]
	v_add_nc_u32_e32 v6, 10, v16
	v_add_co_u32 v30, vcc_lo, s8, v34
	v_add_co_ci_u32_e32 v31, vcc_lo, s9, v35, vcc_lo
	s_delay_alu instid0(VALU_DEP_4) | instskip(NEXT) | instid1(VALU_DEP_4)
	v_add_co_u32 v32, vcc_lo, s8, v32
	v_lshlrev_b64 v[34:35], 2, v[6:7]
	v_add_nc_u32_e32 v6, -3, v4
	v_add_co_ci_u32_e32 v33, vcc_lo, s9, v33, vcc_lo
	s_clause 0x1
	global_load_b32 v51, v[30:31], off
	global_load_b32 v52, v[32:33], off
	v_lshlrev_b64 v[30:31], 2, v[6:7]
	v_add_nc_u32_e32 v6, -16, v4
	v_add_co_u32 v32, vcc_lo, s10, v34
	v_add_co_ci_u32_e32 v33, vcc_lo, s11, v35, vcc_lo
	s_delay_alu instid0(VALU_DEP_3) | instskip(SKIP_3) | instid1(VALU_DEP_3)
	v_lshlrev_b64 v[34:35], 2, v[6:7]
	v_add_nc_u32_e32 v6, -2, v4
	v_add_co_u32 v30, vcc_lo, s8, v30
	v_add_co_ci_u32_e32 v31, vcc_lo, s9, v31, vcc_lo
	v_lshlrev_b64 v[36:37], 2, v[6:7]
	v_add_nc_u32_e32 v6, -15, v4
	global_load_b64 v[32:33], v[32:33], off
	global_load_b32 v53, v[30:31], off
	v_add_co_u32 v30, vcc_lo, s8, v34
	v_add_co_ci_u32_e32 v31, vcc_lo, s9, v35, vcc_lo
	v_lshlrev_b64 v[34:35], 2, v[6:7]
	v_add_nc_u32_e32 v6, 12, v16
	v_add_co_u32 v16, vcc_lo, s8, v36
	v_add_co_ci_u32_e32 v17, vcc_lo, s9, v37, vcc_lo
	global_load_b32 v36, v[30:31], off
	v_lshlrev_b64 v[30:31], 2, v[6:7]
	v_add_nc_u32_e32 v6, -1, v4
	global_load_b32 v37, v[16:17], off
	v_add_co_u32 v16, vcc_lo, s8, v34
	v_add_co_ci_u32_e32 v17, vcc_lo, s9, v35, vcc_lo
	v_add_co_u32 v30, vcc_lo, s10, v30
	v_add_co_ci_u32_e32 v31, vcc_lo, s11, v31, vcc_lo
	global_load_b32 v54, v[16:17], off
	v_lshlrev_b64 v[34:35], 2, v[6:7]
	v_add_nc_u32_e32 v6, -14, v4
	global_load_b64 v[16:17], v[30:31], off
	v_add_nc_u32_e32 v4, 0x1c0, v4
	v_lshlrev_b64 v[5:6], 2, v[6:7]
	v_add_co_u32 v30, vcc_lo, s8, v34
	v_add_co_ci_u32_e32 v31, vcc_lo, s9, v35, vcc_lo
	s_delay_alu instid0(VALU_DEP_3) | instskip(NEXT) | instid1(VALU_DEP_4)
	v_add_co_u32 v5, vcc_lo, s8, v5
	v_add_co_ci_u32_e32 v6, vcc_lo, s9, v6, vcc_lo
	s_clause 0x2
	global_load_b32 v30, v[30:31], off
	global_load_b32 v5, v[5:6], off
	;; [unrolled: 1-line block ×3, first 2 shown]
	v_cmp_ge_i32_e32 vcc_lo, v2, v11
	s_or_b32 s2, vcc_lo, s2
	s_waitcnt vmcnt(23)
	v_dual_fmac_f32 v10, v3, v22 :: v_dual_fmac_f32 v9, v40, v24
	s_waitcnt vmcnt(21)
	s_delay_alu instid0(VALU_DEP_1) | instskip(SKIP_1) | instid1(VALU_DEP_1)
	v_dual_fmac_f32 v9, v42, v25 :: v_dual_fmac_f32 v10, v39, v23
	s_waitcnt vmcnt(18)
	v_fmac_f32_e32 v9, v44, v28
	s_waitcnt vmcnt(16)
	s_delay_alu instid0(VALU_DEP_1) | instskip(SKIP_1) | instid1(VALU_DEP_1)
	v_dual_fmac_f32 v10, v41, v24 :: v_dual_fmac_f32 v9, v46, v29
	s_waitcnt vmcnt(12)
	v_fmac_f32_e32 v9, v48, v26
	;; [unrolled: 5-line block ×3, first 2 shown]
	s_waitcnt vmcnt(6)
	s_delay_alu instid0(VALU_DEP_1) | instskip(SKIP_1) | instid1(VALU_DEP_1)
	v_dual_fmac_f32 v10, v45, v28 :: v_dual_fmac_f32 v9, v36, v33
	s_waitcnt vmcnt(3)
	v_dual_fmac_f32 v10, v47, v29 :: v_dual_fmac_f32 v9, v54, v16
	s_delay_alu instid0(VALU_DEP_1) | instskip(NEXT) | instid1(VALU_DEP_1)
	v_fmac_f32_e32 v10, v49, v26
	v_fmac_f32_e32 v10, v51, v27
	s_delay_alu instid0(VALU_DEP_1) | instskip(SKIP_2) | instid1(VALU_DEP_2)
	v_fmac_f32_e32 v10, v53, v32
	s_waitcnt vmcnt(1)
	v_fmac_f32_e32 v9, v5, v17
	v_fmac_f32_e32 v10, v37, v33
	s_delay_alu instid0(VALU_DEP_1) | instskip(SKIP_1) | instid1(VALU_DEP_1)
	v_fmac_f32_e32 v10, v30, v16
	s_waitcnt vmcnt(0)
	v_fmac_f32_e32 v10, v6, v17
	s_and_not1_b32 exec_lo, exec_lo, s2
	s_cbranch_execnz .LBB62_15
; %bb.16:
	s_or_b32 exec_lo, exec_lo, s2
.LBB62_17:
	s_delay_alu instid0(SALU_CYCLE_1)
	s_or_b32 exec_lo, exec_lo, s3
.LBB62_18:
	v_mbcnt_lo_u32_b32 v2, -1, 0
	s_mov_b32 s2, -1
	s_delay_alu instid0(VALU_DEP_1) | instskip(SKIP_2) | instid1(VALU_DEP_3)
	v_xor_b32_e32 v3, 8, v2
	v_xor_b32_e32 v5, 4, v2
	;; [unrolled: 1-line block ×3, first 2 shown]
	v_cmp_gt_i32_e32 vcc_lo, 32, v3
	v_cndmask_b32_e32 v3, v2, v3, vcc_lo
	s_delay_alu instid0(VALU_DEP_4) | instskip(NEXT) | instid1(VALU_DEP_2)
	v_cmp_gt_i32_e32 vcc_lo, 32, v5
	v_lshlrev_b32_e32 v3, 2, v3
	v_cndmask_b32_e32 v5, v2, v5, vcc_lo
	v_cmp_gt_i32_e32 vcc_lo, 32, v7
	ds_bpermute_b32 v4, v3, v9
	v_lshlrev_b32_e32 v5, 2, v5
	v_cndmask_b32_e32 v7, v2, v7, vcc_lo
	s_waitcnt lgkmcnt(0)
	s_delay_alu instid0(VALU_DEP_1)
	v_dual_add_f32 v4, v9, v4 :: v_dual_lshlrev_b32 v7, 2, v7
	ds_bpermute_b32 v6, v5, v4
	s_waitcnt lgkmcnt(0)
	v_add_f32_e32 v4, v4, v6
	ds_bpermute_b32 v3, v3, v10
	s_waitcnt lgkmcnt(0)
	v_add_f32_e32 v3, v10, v3
	;; [unrolled: 3-line block ×3, first 2 shown]
	ds_bpermute_b32 v5, v7, v4
	ds_bpermute_b32 v6, v7, v3
	v_xor_b32_e32 v7, 1, v2
	s_delay_alu instid0(VALU_DEP_1) | instskip(SKIP_3) | instid1(VALU_DEP_2)
	v_cmp_gt_i32_e32 vcc_lo, 32, v7
	v_cndmask_b32_e32 v2, v2, v7, vcc_lo
	v_cmp_eq_u32_e32 vcc_lo, 15, v0
	s_waitcnt lgkmcnt(1)
	v_dual_add_f32 v2, v4, v5 :: v_dual_lshlrev_b32 v7, 2, v2
	s_waitcnt lgkmcnt(0)
	v_add_f32_e32 v3, v3, v6
	ds_bpermute_b32 v4, v7, v2
	ds_bpermute_b32 v5, v7, v3
	s_and_b32 exec_lo, exec_lo, vcc_lo
	s_cbranch_execz .LBB62_23
; %bb.19:
	s_load_b64 s[0:1], s[0:1], 0x38
	s_waitcnt lgkmcnt(0)
	v_dual_add_f32 v0, v2, v4 :: v_dual_add_f32 v3, v3, v5
	v_cmp_eq_f32_e64 s3, s12, 0
	s_delay_alu instid0(VALU_DEP_2) | instskip(SKIP_1) | instid1(VALU_DEP_3)
	v_dual_mul_f32 v2, s16, v0 :: v_dual_mul_f32 v3, s16, v3
	v_lshlrev_b32_e32 v0, 1, v1
	s_and_b32 vcc_lo, exec_lo, s3
	s_cbranch_vccz .LBB62_21
; %bb.20:
	s_delay_alu instid0(VALU_DEP_1) | instskip(SKIP_1) | instid1(VALU_DEP_1)
	v_ashrrev_i32_e32 v1, 31, v0
	s_mov_b32 s2, 0
	v_lshlrev_b64 v[4:5], 2, v[0:1]
	s_delay_alu instid0(VALU_DEP_1) | instskip(NEXT) | instid1(VALU_DEP_2)
	v_add_co_u32 v4, vcc_lo, s0, v4
	v_add_co_ci_u32_e32 v5, vcc_lo, s1, v5, vcc_lo
	global_store_b64 v[4:5], v[2:3], off
.LBB62_21:
	s_and_not1_b32 vcc_lo, exec_lo, s2
	s_cbranch_vccnz .LBB62_23
; %bb.22:
	v_ashrrev_i32_e32 v1, 31, v0
	s_delay_alu instid0(VALU_DEP_1) | instskip(NEXT) | instid1(VALU_DEP_1)
	v_lshlrev_b64 v[0:1], 2, v[0:1]
	v_add_co_u32 v0, vcc_lo, s0, v0
	s_delay_alu instid0(VALU_DEP_2)
	v_add_co_ci_u32_e32 v1, vcc_lo, s1, v1, vcc_lo
	global_load_b64 v[4:5], v[0:1], off
	s_waitcnt vmcnt(0)
	v_dual_fmac_f32 v2, s12, v4 :: v_dual_fmac_f32 v3, s12, v5
	global_store_b64 v[0:1], v[2:3], off
.LBB62_23:
	s_nop 0
	s_sendmsg sendmsg(MSG_DEALLOC_VGPRS)
	s_endpgm
	.section	.rodata,"a",@progbits
	.p2align	6, 0x0
	.amdhsa_kernel _ZN9rocsparseL19gebsrmvn_2xn_kernelILj128ELj14ELj16EfEEvi20rocsparse_direction_NS_24const_host_device_scalarIT2_EEPKiS6_PKS3_S8_S4_PS3_21rocsparse_index_base_b
		.amdhsa_group_segment_fixed_size 0
		.amdhsa_private_segment_fixed_size 0
		.amdhsa_kernarg_size 72
		.amdhsa_user_sgpr_count 15
		.amdhsa_user_sgpr_dispatch_ptr 0
		.amdhsa_user_sgpr_queue_ptr 0
		.amdhsa_user_sgpr_kernarg_segment_ptr 1
		.amdhsa_user_sgpr_dispatch_id 0
		.amdhsa_user_sgpr_private_segment_size 0
		.amdhsa_wavefront_size32 1
		.amdhsa_uses_dynamic_stack 0
		.amdhsa_enable_private_segment 0
		.amdhsa_system_sgpr_workgroup_id_x 1
		.amdhsa_system_sgpr_workgroup_id_y 0
		.amdhsa_system_sgpr_workgroup_id_z 0
		.amdhsa_system_sgpr_workgroup_info 0
		.amdhsa_system_vgpr_workitem_id 0
		.amdhsa_next_free_vgpr 55
		.amdhsa_next_free_sgpr 20
		.amdhsa_reserve_vcc 1
		.amdhsa_float_round_mode_32 0
		.amdhsa_float_round_mode_16_64 0
		.amdhsa_float_denorm_mode_32 3
		.amdhsa_float_denorm_mode_16_64 3
		.amdhsa_dx10_clamp 1
		.amdhsa_ieee_mode 1
		.amdhsa_fp16_overflow 0
		.amdhsa_workgroup_processor_mode 1
		.amdhsa_memory_ordered 1
		.amdhsa_forward_progress 0
		.amdhsa_shared_vgpr_count 0
		.amdhsa_exception_fp_ieee_invalid_op 0
		.amdhsa_exception_fp_denorm_src 0
		.amdhsa_exception_fp_ieee_div_zero 0
		.amdhsa_exception_fp_ieee_overflow 0
		.amdhsa_exception_fp_ieee_underflow 0
		.amdhsa_exception_fp_ieee_inexact 0
		.amdhsa_exception_int_div_zero 0
	.end_amdhsa_kernel
	.section	.text._ZN9rocsparseL19gebsrmvn_2xn_kernelILj128ELj14ELj16EfEEvi20rocsparse_direction_NS_24const_host_device_scalarIT2_EEPKiS6_PKS3_S8_S4_PS3_21rocsparse_index_base_b,"axG",@progbits,_ZN9rocsparseL19gebsrmvn_2xn_kernelILj128ELj14ELj16EfEEvi20rocsparse_direction_NS_24const_host_device_scalarIT2_EEPKiS6_PKS3_S8_S4_PS3_21rocsparse_index_base_b,comdat
.Lfunc_end62:
	.size	_ZN9rocsparseL19gebsrmvn_2xn_kernelILj128ELj14ELj16EfEEvi20rocsparse_direction_NS_24const_host_device_scalarIT2_EEPKiS6_PKS3_S8_S4_PS3_21rocsparse_index_base_b, .Lfunc_end62-_ZN9rocsparseL19gebsrmvn_2xn_kernelILj128ELj14ELj16EfEEvi20rocsparse_direction_NS_24const_host_device_scalarIT2_EEPKiS6_PKS3_S8_S4_PS3_21rocsparse_index_base_b
                                        ; -- End function
	.section	.AMDGPU.csdata,"",@progbits
; Kernel info:
; codeLenInByte = 3304
; NumSgprs: 22
; NumVgprs: 55
; ScratchSize: 0
; MemoryBound: 0
; FloatMode: 240
; IeeeMode: 1
; LDSByteSize: 0 bytes/workgroup (compile time only)
; SGPRBlocks: 2
; VGPRBlocks: 6
; NumSGPRsForWavesPerEU: 22
; NumVGPRsForWavesPerEU: 55
; Occupancy: 16
; WaveLimiterHint : 1
; COMPUTE_PGM_RSRC2:SCRATCH_EN: 0
; COMPUTE_PGM_RSRC2:USER_SGPR: 15
; COMPUTE_PGM_RSRC2:TRAP_HANDLER: 0
; COMPUTE_PGM_RSRC2:TGID_X_EN: 1
; COMPUTE_PGM_RSRC2:TGID_Y_EN: 0
; COMPUTE_PGM_RSRC2:TGID_Z_EN: 0
; COMPUTE_PGM_RSRC2:TIDIG_COMP_CNT: 0
	.section	.text._ZN9rocsparseL19gebsrmvn_2xn_kernelILj128ELj14ELj32EfEEvi20rocsparse_direction_NS_24const_host_device_scalarIT2_EEPKiS6_PKS3_S8_S4_PS3_21rocsparse_index_base_b,"axG",@progbits,_ZN9rocsparseL19gebsrmvn_2xn_kernelILj128ELj14ELj32EfEEvi20rocsparse_direction_NS_24const_host_device_scalarIT2_EEPKiS6_PKS3_S8_S4_PS3_21rocsparse_index_base_b,comdat
	.globl	_ZN9rocsparseL19gebsrmvn_2xn_kernelILj128ELj14ELj32EfEEvi20rocsparse_direction_NS_24const_host_device_scalarIT2_EEPKiS6_PKS3_S8_S4_PS3_21rocsparse_index_base_b ; -- Begin function _ZN9rocsparseL19gebsrmvn_2xn_kernelILj128ELj14ELj32EfEEvi20rocsparse_direction_NS_24const_host_device_scalarIT2_EEPKiS6_PKS3_S8_S4_PS3_21rocsparse_index_base_b
	.p2align	8
	.type	_ZN9rocsparseL19gebsrmvn_2xn_kernelILj128ELj14ELj32EfEEvi20rocsparse_direction_NS_24const_host_device_scalarIT2_EEPKiS6_PKS3_S8_S4_PS3_21rocsparse_index_base_b,@function
_ZN9rocsparseL19gebsrmvn_2xn_kernelILj128ELj14ELj32EfEEvi20rocsparse_direction_NS_24const_host_device_scalarIT2_EEPKiS6_PKS3_S8_S4_PS3_21rocsparse_index_base_b: ; @_ZN9rocsparseL19gebsrmvn_2xn_kernelILj128ELj14ELj32EfEEvi20rocsparse_direction_NS_24const_host_device_scalarIT2_EEPKiS6_PKS3_S8_S4_PS3_21rocsparse_index_base_b
; %bb.0:
	s_clause 0x2
	s_load_b64 s[18:19], s[0:1], 0x40
	s_load_b64 s[16:17], s[0:1], 0x8
	;; [unrolled: 1-line block ×3, first 2 shown]
	s_waitcnt lgkmcnt(0)
	s_bitcmp1_b32 s19, 0
	s_cselect_b32 s2, -1, 0
	s_delay_alu instid0(SALU_CYCLE_1)
	s_and_b32 vcc_lo, exec_lo, s2
	s_xor_b32 s2, s2, -1
	s_cbranch_vccnz .LBB63_2
; %bb.1:
	s_load_b32 s16, s[16:17], 0x0
.LBB63_2:
	s_and_not1_b32 vcc_lo, exec_lo, s2
	s_cbranch_vccnz .LBB63_4
; %bb.3:
	s_load_b32 s12, s[12:13], 0x0
.LBB63_4:
	s_waitcnt lgkmcnt(0)
	v_cmp_eq_f32_e64 s2, s16, 0
	v_cmp_eq_f32_e64 s3, s12, 1.0
	s_delay_alu instid0(VALU_DEP_1) | instskip(NEXT) | instid1(SALU_CYCLE_1)
	s_and_b32 s2, s2, s3
	s_and_b32 vcc_lo, exec_lo, s2
	s_cbranch_vccnz .LBB63_23
; %bb.5:
	s_load_b64 s[2:3], s[0:1], 0x0
	v_lshrrev_b32_e32 v1, 5, v0
	s_delay_alu instid0(VALU_DEP_1) | instskip(SKIP_1) | instid1(VALU_DEP_1)
	v_lshl_or_b32 v1, s15, 2, v1
	s_waitcnt lgkmcnt(0)
	v_cmp_gt_i32_e32 vcc_lo, s2, v1
	s_and_saveexec_b32 s2, vcc_lo
	s_cbranch_execz .LBB63_23
; %bb.6:
	s_load_b256 s[4:11], s[0:1], 0x10
	v_ashrrev_i32_e32 v2, 31, v1
	v_and_b32_e32 v0, 31, v0
	s_cmp_lg_u32 s3, 0
	s_delay_alu instid0(VALU_DEP_2) | instskip(SKIP_1) | instid1(VALU_DEP_1)
	v_lshlrev_b64 v[2:3], 2, v[1:2]
	s_waitcnt lgkmcnt(0)
	v_add_co_u32 v2, vcc_lo, s4, v2
	s_delay_alu instid0(VALU_DEP_2) | instskip(SKIP_4) | instid1(VALU_DEP_2)
	v_add_co_ci_u32_e32 v3, vcc_lo, s5, v3, vcc_lo
	global_load_b64 v[2:3], v[2:3], off
	s_waitcnt vmcnt(0)
	v_subrev_nc_u32_e32 v2, s18, v2
	v_subrev_nc_u32_e32 v11, s18, v3
	v_add_nc_u32_e32 v2, v2, v0
	s_delay_alu instid0(VALU_DEP_1)
	v_cmp_lt_i32_e64 s2, v2, v11
	s_cbranch_scc0 .LBB63_12
; %bb.7:
	v_dual_mov_b32 v9, 0 :: v_dual_mov_b32 v10, 0
	s_mov_b32 s4, 0
	s_delay_alu instid0(VALU_DEP_2)
	s_and_saveexec_b32 s5, s2
	s_cbranch_execz .LBB63_11
; %bb.8:
	v_mad_u64_u32 v[3:4], null, v2, 28, 26
	v_dual_mov_b32 v6, 0 :: v_dual_mov_b32 v7, v2
	v_dual_mov_b32 v9, 0 :: v_dual_mov_b32 v10, 0
	s_mov_b32 s13, 0
.LBB63_9:                               ; =>This Inner Loop Header: Depth=1
	s_delay_alu instid0(VALU_DEP_2) | instskip(NEXT) | instid1(VALU_DEP_1)
	v_ashrrev_i32_e32 v8, 31, v7
	v_lshlrev_b64 v[4:5], 2, v[7:8]
	v_add_nc_u32_e32 v7, 32, v7
	s_delay_alu instid0(VALU_DEP_2) | instskip(NEXT) | instid1(VALU_DEP_3)
	v_add_co_u32 v4, vcc_lo, s6, v4
	v_add_co_ci_u32_e32 v5, vcc_lo, s7, v5, vcc_lo
	global_load_b32 v8, v[4:5], off
	v_subrev_nc_u32_e32 v5, 26, v3
	v_mov_b32_e32 v4, v6
	s_delay_alu instid0(VALU_DEP_2) | instskip(SKIP_1) | instid1(VALU_DEP_3)
	v_lshlrev_b64 v[12:13], 2, v[5:6]
	v_subrev_nc_u32_e32 v5, 22, v3
	v_lshlrev_b64 v[18:19], 2, v[3:4]
	s_delay_alu instid0(VALU_DEP_2) | instskip(NEXT) | instid1(VALU_DEP_4)
	v_lshlrev_b64 v[4:5], 2, v[5:6]
	v_add_co_u32 v12, vcc_lo, s8, v12
	v_add_co_ci_u32_e32 v13, vcc_lo, s9, v13, vcc_lo
	s_delay_alu instid0(VALU_DEP_4) | instskip(NEXT) | instid1(VALU_DEP_4)
	v_add_co_u32 v18, vcc_lo, s8, v18
	v_add_co_u32 v4, s3, s8, v4
	s_delay_alu instid0(VALU_DEP_1)
	v_add_co_ci_u32_e64 v5, s3, s9, v5, s3
	s_clause 0x1
	global_load_b128 v[12:15], v[12:13], off
	global_load_b64 v[20:21], v[4:5], off
	v_mov_b32_e32 v17, v6
	v_add_co_ci_u32_e32 v19, vcc_lo, s9, v19, vcc_lo
	v_cmp_ge_i32_e32 vcc_lo, v7, v11
	s_or_b32 s13, vcc_lo, s13
	s_waitcnt vmcnt(2)
	v_subrev_nc_u32_e32 v4, s18, v8
	s_delay_alu instid0(VALU_DEP_1) | instskip(NEXT) | instid1(VALU_DEP_1)
	v_mul_lo_u32 v16, v4, 14
	v_lshlrev_b64 v[22:23], 2, v[16:17]
	v_add_nc_u32_e32 v5, 2, v16
	s_delay_alu instid0(VALU_DEP_1) | instskip(NEXT) | instid1(VALU_DEP_3)
	v_lshlrev_b64 v[24:25], 2, v[5:6]
	v_add_co_u32 v22, s3, s10, v22
	s_delay_alu instid0(VALU_DEP_1) | instskip(SKIP_1) | instid1(VALU_DEP_4)
	v_add_co_ci_u32_e64 v23, s3, s11, v23, s3
	v_subrev_nc_u32_e32 v5, 20, v3
	v_add_co_u32 v24, s3, s10, v24
	global_load_b64 v[22:23], v[22:23], off
	v_add_co_ci_u32_e64 v25, s3, s11, v25, s3
	v_lshlrev_b64 v[26:27], 2, v[5:6]
	v_subrev_nc_u32_e32 v5, 18, v3
	global_load_b64 v[24:25], v[24:25], off
	v_lshlrev_b64 v[28:29], 2, v[5:6]
	v_add_co_u32 v26, s3, s8, v26
	s_delay_alu instid0(VALU_DEP_1) | instskip(NEXT) | instid1(VALU_DEP_3)
	v_add_co_ci_u32_e64 v27, s3, s9, v27, s3
	v_add_co_u32 v28, s3, s8, v28
	s_delay_alu instid0(VALU_DEP_1)
	v_add_co_ci_u32_e64 v29, s3, s9, v29, s3
	s_clause 0x1
	global_load_b64 v[26:27], v[26:27], off
	global_load_b64 v[28:29], v[28:29], off
	s_waitcnt vmcnt(3)
	v_dual_fmac_f32 v10, v13, v22 :: v_dual_add_nc_u32 v5, 4, v16
	s_delay_alu instid0(VALU_DEP_1) | instskip(NEXT) | instid1(VALU_DEP_2)
	v_fmac_f32_e32 v10, v15, v23
	v_lshlrev_b64 v[30:31], 2, v[5:6]
	s_waitcnt vmcnt(2)
	s_delay_alu instid0(VALU_DEP_2) | instskip(NEXT) | instid1(VALU_DEP_2)
	v_dual_fmac_f32 v10, v21, v24 :: v_dual_add_nc_u32 v5, -16, v3
	v_add_co_u32 v30, s3, s10, v30
	s_delay_alu instid0(VALU_DEP_1) | instskip(NEXT) | instid1(VALU_DEP_3)
	v_add_co_ci_u32_e64 v31, s3, s11, v31, s3
	v_lshlrev_b64 v[32:33], 2, v[5:6]
	s_waitcnt vmcnt(1)
	v_dual_fmac_f32 v10, v27, v25 :: v_dual_add_nc_u32 v5, -14, v3
	global_load_b64 v[30:31], v[30:31], off
	v_lshlrev_b64 v[34:35], 2, v[5:6]
	v_add_nc_u32_e32 v5, 6, v16
	v_add_co_u32 v32, s3, s8, v32
	s_delay_alu instid0(VALU_DEP_1) | instskip(NEXT) | instid1(VALU_DEP_4)
	v_add_co_ci_u32_e64 v33, s3, s9, v33, s3
	v_add_co_u32 v34, s3, s8, v34
	s_delay_alu instid0(VALU_DEP_1)
	v_add_co_ci_u32_e64 v35, s3, s9, v35, s3
	s_clause 0x1
	global_load_b64 v[32:33], v[32:33], off
	global_load_b64 v[34:35], v[34:35], off
	s_waitcnt vmcnt(2)
	v_fmac_f32_e32 v10, v29, v30
	v_lshlrev_b64 v[36:37], 2, v[5:6]
	v_fmac_f32_e32 v9, v12, v22
	s_delay_alu instid0(VALU_DEP_2) | instskip(NEXT) | instid1(VALU_DEP_1)
	v_add_co_u32 v36, s3, s10, v36
	v_add_co_ci_u32_e64 v37, s3, s11, v37, s3
	s_waitcnt vmcnt(1)
	v_fmac_f32_e32 v10, v33, v31
	global_load_b64 v[36:37], v[36:37], off
	s_waitcnt vmcnt(0)
	v_dual_fmac_f32 v10, v35, v36 :: v_dual_add_nc_u32 v5, -12, v3
	s_delay_alu instid0(VALU_DEP_1) | instskip(NEXT) | instid1(VALU_DEP_1)
	v_lshlrev_b64 v[38:39], 2, v[5:6]
	v_add_co_u32 v38, s3, s8, v38
	s_delay_alu instid0(VALU_DEP_1) | instskip(SKIP_2) | instid1(VALU_DEP_1)
	v_add_co_ci_u32_e64 v39, s3, s9, v39, s3
	global_load_b64 v[38:39], v[38:39], off
	v_add_nc_u32_e32 v5, -10, v3
	v_lshlrev_b64 v[40:41], 2, v[5:6]
	s_delay_alu instid0(VALU_DEP_1) | instskip(NEXT) | instid1(VALU_DEP_1)
	v_add_co_u32 v40, s3, s8, v40
	v_add_co_ci_u32_e64 v41, s3, s9, v41, s3
	global_load_b64 v[40:41], v[40:41], off
	s_waitcnt vmcnt(1)
	v_dual_fmac_f32 v10, v39, v37 :: v_dual_add_nc_u32 v5, 8, v16
	s_delay_alu instid0(VALU_DEP_1) | instskip(SKIP_1) | instid1(VALU_DEP_1)
	v_lshlrev_b64 v[42:43], 2, v[5:6]
	v_add_nc_u32_e32 v5, -8, v3
	v_lshlrev_b64 v[44:45], 2, v[5:6]
	s_delay_alu instid0(VALU_DEP_3) | instskip(NEXT) | instid1(VALU_DEP_1)
	v_add_co_u32 v42, s3, s10, v42
	v_add_co_ci_u32_e64 v43, s3, s11, v43, s3
	v_add_nc_u32_e32 v5, -6, v3
	s_delay_alu instid0(VALU_DEP_4)
	v_add_co_u32 v44, s3, s8, v44
	global_load_b64 v[42:43], v[42:43], off
	v_add_co_ci_u32_e64 v45, s3, s9, v45, s3
	v_lshlrev_b64 v[46:47], 2, v[5:6]
	global_load_b64 v[44:45], v[44:45], off
	v_add_co_u32 v46, s3, s8, v46
	s_delay_alu instid0(VALU_DEP_1) | instskip(SKIP_4) | instid1(VALU_DEP_1)
	v_add_co_ci_u32_e64 v47, s3, s9, v47, s3
	global_load_b64 v[46:47], v[46:47], off
	s_waitcnt vmcnt(2)
	v_dual_fmac_f32 v10, v41, v42 :: v_dual_add_nc_u32 v5, 10, v16
	s_waitcnt vmcnt(1)
	v_fmac_f32_e32 v10, v45, v43
	s_delay_alu instid0(VALU_DEP_2) | instskip(SKIP_1) | instid1(VALU_DEP_1)
	v_lshlrev_b64 v[48:49], 2, v[5:6]
	v_add_nc_u32_e32 v5, -4, v3
	v_lshlrev_b64 v[50:51], 2, v[5:6]
	v_add_nc_u32_e32 v5, -2, v3
	s_delay_alu instid0(VALU_DEP_4) | instskip(NEXT) | instid1(VALU_DEP_1)
	v_add_co_u32 v48, s3, s10, v48
	v_add_co_ci_u32_e64 v49, s3, s11, v49, s3
	s_delay_alu instid0(VALU_DEP_3) | instskip(SKIP_2) | instid1(VALU_DEP_1)
	v_lshlrev_b64 v[52:53], 2, v[5:6]
	v_add_nc_u32_e32 v5, 12, v16
	v_add_co_u32 v16, s3, s8, v50
	v_add_co_ci_u32_e64 v17, s3, s9, v51, s3
	s_delay_alu instid0(VALU_DEP_3) | instskip(SKIP_2) | instid1(VALU_DEP_1)
	v_lshlrev_b64 v[4:5], 2, v[5:6]
	global_load_b64 v[48:49], v[48:49], off
	v_add_co_u32 v50, s3, s8, v52
	v_add_co_ci_u32_e64 v51, s3, s9, v53, s3
	global_load_b64 v[16:17], v[16:17], off
	v_add_co_u32 v4, s3, s10, v4
	s_delay_alu instid0(VALU_DEP_1)
	v_add_co_ci_u32_e64 v5, s3, s11, v5, s3
	global_load_b64 v[50:51], v[50:51], off
	global_load_b64 v[4:5], v[4:5], off
	;; [unrolled: 1-line block ×3, first 2 shown]
	s_waitcnt vmcnt(4)
	v_dual_fmac_f32 v10, v47, v48 :: v_dual_add_nc_u32 v3, 0x380, v3
	s_waitcnt vmcnt(3)
	s_delay_alu instid0(VALU_DEP_1) | instskip(SKIP_1) | instid1(VALU_DEP_1)
	v_fmac_f32_e32 v10, v17, v49
	s_waitcnt vmcnt(1)
	v_dual_fmac_f32 v10, v51, v4 :: v_dual_fmac_f32 v9, v14, v23
	s_waitcnt vmcnt(0)
	s_delay_alu instid0(VALU_DEP_1) | instskip(NEXT) | instid1(VALU_DEP_1)
	v_dual_fmac_f32 v10, v19, v5 :: v_dual_fmac_f32 v9, v20, v24
	v_fmac_f32_e32 v9, v26, v25
	s_delay_alu instid0(VALU_DEP_1) | instskip(NEXT) | instid1(VALU_DEP_1)
	v_fmac_f32_e32 v9, v28, v30
	v_fmac_f32_e32 v9, v32, v31
	s_delay_alu instid0(VALU_DEP_1) | instskip(NEXT) | instid1(VALU_DEP_1)
	v_fmac_f32_e32 v9, v34, v36
	;; [unrolled: 3-line block ×5, first 2 shown]
	v_fmac_f32_e32 v9, v18, v5
	s_and_not1_b32 exec_lo, exec_lo, s13
	s_cbranch_execnz .LBB63_9
; %bb.10:
	s_or_b32 exec_lo, exec_lo, s13
.LBB63_11:
	s_delay_alu instid0(SALU_CYCLE_1) | instskip(NEXT) | instid1(SALU_CYCLE_1)
	s_or_b32 exec_lo, exec_lo, s5
	s_and_not1_b32 vcc_lo, exec_lo, s4
	s_cbranch_vccz .LBB63_13
	s_branch .LBB63_18
.LBB63_12:
                                        ; implicit-def: $vgpr9
                                        ; implicit-def: $vgpr10
.LBB63_13:
	v_dual_mov_b32 v9, 0 :: v_dual_mov_b32 v10, 0
	s_delay_alu instid0(VALU_DEP_2)
	s_and_saveexec_b32 s3, s2
	s_cbranch_execz .LBB63_17
; %bb.14:
	v_mad_u64_u32 v[4:5], null, v2, 28, 27
	v_dual_mov_b32 v7, 0 :: v_dual_mov_b32 v10, 0
	v_mov_b32_e32 v9, 0
	s_mov_b32 s2, 0
.LBB63_15:                              ; =>This Inner Loop Header: Depth=1
	v_ashrrev_i32_e32 v3, 31, v2
	s_delay_alu instid0(VALU_DEP_3) | instskip(SKIP_1) | instid1(VALU_DEP_3)
	v_dual_mov_b32 v17, v7 :: v_dual_add_nc_u32 v12, -13, v4
	v_mov_b32_e32 v13, v7
	v_lshlrev_b64 v[5:6], 2, v[2:3]
	v_add_nc_u32_e32 v2, 32, v2
	s_delay_alu instid0(VALU_DEP_2) | instskip(NEXT) | instid1(VALU_DEP_3)
	v_add_co_u32 v5, vcc_lo, s6, v5
	v_add_co_ci_u32_e32 v6, vcc_lo, s7, v6, vcc_lo
	global_load_b32 v3, v[5:6], off
	v_subrev_nc_u32_e32 v6, 27, v4
	s_delay_alu instid0(VALU_DEP_1) | instskip(SKIP_2) | instid1(VALU_DEP_3)
	v_lshlrev_b64 v[14:15], 2, v[6:7]
	v_add_nc_u32_e32 v6, -12, v4
	v_lshlrev_b64 v[12:13], 2, v[12:13]
	v_add_co_u32 v14, vcc_lo, s8, v14
	s_delay_alu instid0(VALU_DEP_4) | instskip(NEXT) | instid1(VALU_DEP_3)
	v_add_co_ci_u32_e32 v15, vcc_lo, s9, v15, vcc_lo
	v_add_co_u32 v20, vcc_lo, s8, v12
	s_delay_alu instid0(VALU_DEP_4) | instskip(SKIP_2) | instid1(VALU_DEP_1)
	v_add_co_ci_u32_e32 v21, vcc_lo, s9, v13, vcc_lo
	s_waitcnt vmcnt(0)
	v_subrev_nc_u32_e32 v3, s18, v3
	v_mul_lo_u32 v16, v3, 14
	v_mov_b32_e32 v5, v7
	s_delay_alu instid0(VALU_DEP_1) | instskip(SKIP_1) | instid1(VALU_DEP_2)
	v_lshlrev_b64 v[18:19], 2, v[4:5]
	v_lshlrev_b64 v[5:6], 2, v[6:7]
	v_add_co_u32 v18, vcc_lo, s8, v18
	s_delay_alu instid0(VALU_DEP_3) | instskip(NEXT) | instid1(VALU_DEP_3)
	v_add_co_ci_u32_e32 v19, vcc_lo, s9, v19, vcc_lo
	v_add_co_u32 v5, vcc_lo, s8, v5
	s_delay_alu instid0(VALU_DEP_4)
	v_add_co_ci_u32_e32 v6, vcc_lo, s9, v6, vcc_lo
	s_clause 0x2
	global_load_b128 v[12:15], v[14:15], off
	global_load_b32 v8, v[20:21], off
	global_load_b32 v38, v[5:6], off
	v_add_nc_u32_e32 v6, 2, v16
	v_lshlrev_b64 v[20:21], 2, v[16:17]
	s_delay_alu instid0(VALU_DEP_2) | instskip(NEXT) | instid1(VALU_DEP_2)
	v_lshlrev_b64 v[22:23], 2, v[6:7]
	v_add_co_u32 v20, vcc_lo, s10, v20
	s_delay_alu instid0(VALU_DEP_3) | instskip(NEXT) | instid1(VALU_DEP_3)
	v_add_co_ci_u32_e32 v21, vcc_lo, s11, v21, vcc_lo
	v_add_co_u32 v22, vcc_lo, s10, v22
	s_delay_alu instid0(VALU_DEP_4)
	v_add_co_ci_u32_e32 v23, vcc_lo, s11, v23, vcc_lo
	s_clause 0x1
	global_load_b64 v[20:21], v[20:21], off
	global_load_b64 v[22:23], v[22:23], off
	s_waitcnt vmcnt(1)
	v_fmac_f32_e32 v10, v8, v20
	s_delay_alu instid0(VALU_DEP_1) | instskip(NEXT) | instid1(VALU_DEP_1)
	v_dual_fmac_f32 v9, v12, v20 :: v_dual_fmac_f32 v10, v38, v21
	v_dual_fmac_f32 v9, v13, v21 :: v_dual_add_nc_u32 v6, -11, v4
	s_delay_alu instid0(VALU_DEP_1) | instskip(SKIP_1) | instid1(VALU_DEP_2)
	v_lshlrev_b64 v[24:25], 2, v[6:7]
	s_waitcnt vmcnt(0)
	v_dual_fmac_f32 v9, v14, v22 :: v_dual_add_nc_u32 v6, -10, v4
	s_delay_alu instid0(VALU_DEP_1) | instskip(SKIP_1) | instid1(VALU_DEP_4)
	v_lshlrev_b64 v[26:27], 2, v[6:7]
	v_subrev_nc_u32_e32 v6, 23, v4
	v_add_co_u32 v24, vcc_lo, s8, v24
	v_add_co_ci_u32_e32 v25, vcc_lo, s9, v25, vcc_lo
	s_delay_alu instid0(VALU_DEP_4) | instskip(NEXT) | instid1(VALU_DEP_4)
	v_add_co_u32 v26, vcc_lo, s8, v26
	v_lshlrev_b64 v[28:29], 2, v[6:7]
	v_dual_fmac_f32 v9, v15, v23 :: v_dual_add_nc_u32 v6, 4, v16
	v_add_co_ci_u32_e32 v27, vcc_lo, s9, v27, vcc_lo
	s_clause 0x1
	global_load_b32 v3, v[24:25], off
	global_load_b32 v39, v[26:27], off
	v_lshlrev_b64 v[24:25], 2, v[6:7]
	v_add_co_u32 v26, vcc_lo, s8, v28
	v_add_co_ci_u32_e32 v27, vcc_lo, s9, v29, vcc_lo
	s_delay_alu instid0(VALU_DEP_3) | instskip(NEXT) | instid1(VALU_DEP_4)
	v_add_co_u32 v24, vcc_lo, s10, v24
	v_add_co_ci_u32_e32 v25, vcc_lo, s11, v25, vcc_lo
	global_load_b32 v40, v[26:27], off
	global_load_b64 v[24:25], v[24:25], off
	v_add_nc_u32_e32 v6, -9, v4
	s_delay_alu instid0(VALU_DEP_1) | instskip(SKIP_1) | instid1(VALU_DEP_2)
	v_lshlrev_b64 v[28:29], 2, v[6:7]
	v_subrev_nc_u32_e32 v6, 22, v4
	v_add_co_u32 v28, vcc_lo, s8, v28
	s_delay_alu instid0(VALU_DEP_3) | instskip(SKIP_3) | instid1(VALU_DEP_1)
	v_add_co_ci_u32_e32 v29, vcc_lo, s9, v29, vcc_lo
	global_load_b32 v41, v[28:29], off
	v_lshlrev_b64 v[26:27], 2, v[6:7]
	v_add_nc_u32_e32 v6, -8, v4
	v_lshlrev_b64 v[30:31], 2, v[6:7]
	v_subrev_nc_u32_e32 v6, 21, v4
	s_delay_alu instid0(VALU_DEP_4) | instskip(SKIP_1) | instid1(VALU_DEP_3)
	v_add_co_u32 v26, vcc_lo, s8, v26
	v_add_co_ci_u32_e32 v27, vcc_lo, s9, v27, vcc_lo
	v_lshlrev_b64 v[28:29], 2, v[6:7]
	v_add_nc_u32_e32 v6, 6, v16
	global_load_b32 v42, v[26:27], off
	v_add_co_u32 v26, vcc_lo, s8, v30
	v_add_co_ci_u32_e32 v27, vcc_lo, s9, v31, vcc_lo
	v_add_co_u32 v28, vcc_lo, s8, v28
	v_lshlrev_b64 v[30:31], 2, v[6:7]
	v_add_nc_u32_e32 v6, -7, v4
	v_add_co_ci_u32_e32 v29, vcc_lo, s9, v29, vcc_lo
	s_clause 0x1
	global_load_b32 v43, v[26:27], off
	global_load_b32 v44, v[28:29], off
	v_lshlrev_b64 v[26:27], 2, v[6:7]
	v_subrev_nc_u32_e32 v6, 20, v4
	v_add_co_u32 v28, vcc_lo, s10, v30
	v_add_co_ci_u32_e32 v29, vcc_lo, s11, v31, vcc_lo
	s_delay_alu instid0(VALU_DEP_3) | instskip(SKIP_3) | instid1(VALU_DEP_3)
	v_lshlrev_b64 v[30:31], 2, v[6:7]
	v_add_nc_u32_e32 v6, -6, v4
	v_add_co_u32 v26, vcc_lo, s8, v26
	v_add_co_ci_u32_e32 v27, vcc_lo, s9, v27, vcc_lo
	v_lshlrev_b64 v[32:33], 2, v[6:7]
	v_subrev_nc_u32_e32 v6, 19, v4
	global_load_b64 v[28:29], v[28:29], off
	global_load_b32 v45, v[26:27], off
	v_add_co_u32 v26, vcc_lo, s8, v30
	v_add_co_ci_u32_e32 v27, vcc_lo, s9, v31, vcc_lo
	v_lshlrev_b64 v[30:31], 2, v[6:7]
	v_add_nc_u32_e32 v6, 8, v16
	v_add_co_u32 v32, vcc_lo, s8, v32
	v_add_co_ci_u32_e32 v33, vcc_lo, s9, v33, vcc_lo
	s_delay_alu instid0(VALU_DEP_4)
	v_add_co_u32 v30, vcc_lo, s8, v30
	global_load_b32 v46, v[26:27], off
	v_lshlrev_b64 v[26:27], 2, v[6:7]
	v_add_nc_u32_e32 v6, -5, v4
	v_add_co_ci_u32_e32 v31, vcc_lo, s9, v31, vcc_lo
	global_load_b32 v47, v[32:33], off
	v_add_co_u32 v26, vcc_lo, s10, v26
	global_load_b32 v48, v[30:31], off
	v_lshlrev_b64 v[32:33], 2, v[6:7]
	v_subrev_nc_u32_e32 v6, 18, v4
	v_add_co_ci_u32_e32 v27, vcc_lo, s11, v27, vcc_lo
	s_delay_alu instid0(VALU_DEP_2) | instskip(SKIP_3) | instid1(VALU_DEP_4)
	v_lshlrev_b64 v[30:31], 2, v[6:7]
	v_add_nc_u32_e32 v6, -4, v4
	v_add_co_u32 v32, vcc_lo, s8, v32
	v_add_co_ci_u32_e32 v33, vcc_lo, s9, v33, vcc_lo
	v_add_co_u32 v30, vcc_lo, s8, v30
	s_delay_alu instid0(VALU_DEP_4)
	v_lshlrev_b64 v[34:35], 2, v[6:7]
	v_subrev_nc_u32_e32 v6, 17, v4
	v_add_co_ci_u32_e32 v31, vcc_lo, s9, v31, vcc_lo
	global_load_b32 v49, v[32:33], off
	global_load_b64 v[26:27], v[26:27], off
	global_load_b32 v50, v[30:31], off
	v_lshlrev_b64 v[32:33], 2, v[6:7]
	v_add_nc_u32_e32 v6, 10, v16
	v_add_co_u32 v30, vcc_lo, s8, v34
	v_add_co_ci_u32_e32 v31, vcc_lo, s9, v35, vcc_lo
	s_delay_alu instid0(VALU_DEP_4) | instskip(NEXT) | instid1(VALU_DEP_4)
	v_add_co_u32 v32, vcc_lo, s8, v32
	v_lshlrev_b64 v[34:35], 2, v[6:7]
	v_add_nc_u32_e32 v6, -3, v4
	v_add_co_ci_u32_e32 v33, vcc_lo, s9, v33, vcc_lo
	s_clause 0x1
	global_load_b32 v51, v[30:31], off
	global_load_b32 v52, v[32:33], off
	v_lshlrev_b64 v[30:31], 2, v[6:7]
	v_add_nc_u32_e32 v6, -16, v4
	v_add_co_u32 v32, vcc_lo, s10, v34
	v_add_co_ci_u32_e32 v33, vcc_lo, s11, v35, vcc_lo
	s_delay_alu instid0(VALU_DEP_3) | instskip(SKIP_3) | instid1(VALU_DEP_3)
	v_lshlrev_b64 v[34:35], 2, v[6:7]
	v_add_nc_u32_e32 v6, -2, v4
	v_add_co_u32 v30, vcc_lo, s8, v30
	v_add_co_ci_u32_e32 v31, vcc_lo, s9, v31, vcc_lo
	v_lshlrev_b64 v[36:37], 2, v[6:7]
	v_add_nc_u32_e32 v6, -15, v4
	global_load_b64 v[32:33], v[32:33], off
	global_load_b32 v53, v[30:31], off
	v_add_co_u32 v30, vcc_lo, s8, v34
	v_add_co_ci_u32_e32 v31, vcc_lo, s9, v35, vcc_lo
	v_lshlrev_b64 v[34:35], 2, v[6:7]
	v_add_nc_u32_e32 v6, 12, v16
	v_add_co_u32 v16, vcc_lo, s8, v36
	v_add_co_ci_u32_e32 v17, vcc_lo, s9, v37, vcc_lo
	global_load_b32 v36, v[30:31], off
	v_lshlrev_b64 v[30:31], 2, v[6:7]
	v_add_nc_u32_e32 v6, -1, v4
	global_load_b32 v37, v[16:17], off
	v_add_co_u32 v16, vcc_lo, s8, v34
	v_add_co_ci_u32_e32 v17, vcc_lo, s9, v35, vcc_lo
	v_add_co_u32 v30, vcc_lo, s10, v30
	v_add_co_ci_u32_e32 v31, vcc_lo, s11, v31, vcc_lo
	global_load_b32 v54, v[16:17], off
	v_lshlrev_b64 v[34:35], 2, v[6:7]
	v_add_nc_u32_e32 v6, -14, v4
	global_load_b64 v[16:17], v[30:31], off
	v_add_nc_u32_e32 v4, 0x380, v4
	v_lshlrev_b64 v[5:6], 2, v[6:7]
	v_add_co_u32 v30, vcc_lo, s8, v34
	v_add_co_ci_u32_e32 v31, vcc_lo, s9, v35, vcc_lo
	s_delay_alu instid0(VALU_DEP_3) | instskip(NEXT) | instid1(VALU_DEP_4)
	v_add_co_u32 v5, vcc_lo, s8, v5
	v_add_co_ci_u32_e32 v6, vcc_lo, s9, v6, vcc_lo
	s_clause 0x2
	global_load_b32 v30, v[30:31], off
	global_load_b32 v5, v[5:6], off
	;; [unrolled: 1-line block ×3, first 2 shown]
	v_cmp_ge_i32_e32 vcc_lo, v2, v11
	s_or_b32 s2, vcc_lo, s2
	s_waitcnt vmcnt(23)
	v_dual_fmac_f32 v10, v3, v22 :: v_dual_fmac_f32 v9, v40, v24
	s_waitcnt vmcnt(21)
	s_delay_alu instid0(VALU_DEP_1) | instskip(SKIP_1) | instid1(VALU_DEP_1)
	v_dual_fmac_f32 v9, v42, v25 :: v_dual_fmac_f32 v10, v39, v23
	s_waitcnt vmcnt(18)
	v_fmac_f32_e32 v9, v44, v28
	s_waitcnt vmcnt(16)
	s_delay_alu instid0(VALU_DEP_1) | instskip(SKIP_1) | instid1(VALU_DEP_1)
	v_dual_fmac_f32 v10, v41, v24 :: v_dual_fmac_f32 v9, v46, v29
	s_waitcnt vmcnt(12)
	v_fmac_f32_e32 v9, v48, v26
	;; [unrolled: 5-line block ×3, first 2 shown]
	s_waitcnt vmcnt(6)
	s_delay_alu instid0(VALU_DEP_1) | instskip(SKIP_1) | instid1(VALU_DEP_1)
	v_dual_fmac_f32 v10, v45, v28 :: v_dual_fmac_f32 v9, v36, v33
	s_waitcnt vmcnt(3)
	v_dual_fmac_f32 v10, v47, v29 :: v_dual_fmac_f32 v9, v54, v16
	s_delay_alu instid0(VALU_DEP_1) | instskip(NEXT) | instid1(VALU_DEP_1)
	v_fmac_f32_e32 v10, v49, v26
	v_fmac_f32_e32 v10, v51, v27
	s_delay_alu instid0(VALU_DEP_1) | instskip(SKIP_2) | instid1(VALU_DEP_2)
	v_fmac_f32_e32 v10, v53, v32
	s_waitcnt vmcnt(1)
	v_fmac_f32_e32 v9, v5, v17
	v_fmac_f32_e32 v10, v37, v33
	s_delay_alu instid0(VALU_DEP_1) | instskip(SKIP_1) | instid1(VALU_DEP_1)
	v_fmac_f32_e32 v10, v30, v16
	s_waitcnt vmcnt(0)
	v_fmac_f32_e32 v10, v6, v17
	s_and_not1_b32 exec_lo, exec_lo, s2
	s_cbranch_execnz .LBB63_15
; %bb.16:
	s_or_b32 exec_lo, exec_lo, s2
.LBB63_17:
	s_delay_alu instid0(SALU_CYCLE_1)
	s_or_b32 exec_lo, exec_lo, s3
.LBB63_18:
	v_mbcnt_lo_u32_b32 v2, -1, 0
	s_mov_b32 s2, -1
	s_delay_alu instid0(VALU_DEP_1) | instskip(SKIP_2) | instid1(VALU_DEP_3)
	v_xor_b32_e32 v3, 16, v2
	v_xor_b32_e32 v5, 8, v2
	;; [unrolled: 1-line block ×3, first 2 shown]
	v_cmp_gt_i32_e32 vcc_lo, 32, v3
	v_cndmask_b32_e32 v3, v2, v3, vcc_lo
	s_delay_alu instid0(VALU_DEP_4) | instskip(NEXT) | instid1(VALU_DEP_2)
	v_cmp_gt_i32_e32 vcc_lo, 32, v5
	v_lshlrev_b32_e32 v3, 2, v3
	v_cndmask_b32_e32 v5, v2, v5, vcc_lo
	v_cmp_gt_i32_e32 vcc_lo, 32, v7
	ds_bpermute_b32 v4, v3, v9
	v_lshlrev_b32_e32 v5, 2, v5
	v_cndmask_b32_e32 v7, v2, v7, vcc_lo
	s_waitcnt lgkmcnt(0)
	s_delay_alu instid0(VALU_DEP_1)
	v_dual_add_f32 v4, v9, v4 :: v_dual_lshlrev_b32 v7, 2, v7
	ds_bpermute_b32 v6, v5, v4
	s_waitcnt lgkmcnt(0)
	v_add_f32_e32 v4, v4, v6
	ds_bpermute_b32 v3, v3, v10
	s_waitcnt lgkmcnt(0)
	v_add_f32_e32 v3, v10, v3
	;; [unrolled: 3-line block ×3, first 2 shown]
	ds_bpermute_b32 v5, v7, v4
	ds_bpermute_b32 v6, v7, v3
	v_xor_b32_e32 v7, 2, v2
	s_delay_alu instid0(VALU_DEP_1) | instskip(SKIP_2) | instid1(VALU_DEP_1)
	v_cmp_gt_i32_e32 vcc_lo, 32, v7
	s_waitcnt lgkmcnt(1)
	v_dual_cndmask_b32 v7, v2, v7 :: v_dual_add_f32 v4, v4, v5
	v_lshlrev_b32_e32 v7, 2, v7
	s_waitcnt lgkmcnt(0)
	v_add_f32_e32 v3, v3, v6
	ds_bpermute_b32 v5, v7, v4
	ds_bpermute_b32 v6, v7, v3
	v_xor_b32_e32 v7, 1, v2
	s_delay_alu instid0(VALU_DEP_1) | instskip(SKIP_3) | instid1(VALU_DEP_2)
	v_cmp_gt_i32_e32 vcc_lo, 32, v7
	v_cndmask_b32_e32 v2, v2, v7, vcc_lo
	v_cmp_eq_u32_e32 vcc_lo, 31, v0
	s_waitcnt lgkmcnt(1)
	v_dual_add_f32 v2, v4, v5 :: v_dual_lshlrev_b32 v7, 2, v2
	s_waitcnt lgkmcnt(0)
	v_add_f32_e32 v3, v3, v6
	ds_bpermute_b32 v4, v7, v2
	ds_bpermute_b32 v5, v7, v3
	s_and_b32 exec_lo, exec_lo, vcc_lo
	s_cbranch_execz .LBB63_23
; %bb.19:
	s_load_b64 s[0:1], s[0:1], 0x38
	s_waitcnt lgkmcnt(0)
	v_dual_add_f32 v0, v2, v4 :: v_dual_add_f32 v3, v3, v5
	v_cmp_eq_f32_e64 s3, s12, 0
	s_delay_alu instid0(VALU_DEP_2) | instskip(SKIP_1) | instid1(VALU_DEP_3)
	v_dual_mul_f32 v2, s16, v0 :: v_dual_mul_f32 v3, s16, v3
	v_lshlrev_b32_e32 v0, 1, v1
	s_and_b32 vcc_lo, exec_lo, s3
	s_cbranch_vccz .LBB63_21
; %bb.20:
	s_delay_alu instid0(VALU_DEP_1) | instskip(SKIP_1) | instid1(VALU_DEP_1)
	v_ashrrev_i32_e32 v1, 31, v0
	s_mov_b32 s2, 0
	v_lshlrev_b64 v[4:5], 2, v[0:1]
	s_delay_alu instid0(VALU_DEP_1) | instskip(NEXT) | instid1(VALU_DEP_2)
	v_add_co_u32 v4, vcc_lo, s0, v4
	v_add_co_ci_u32_e32 v5, vcc_lo, s1, v5, vcc_lo
	global_store_b64 v[4:5], v[2:3], off
.LBB63_21:
	s_and_not1_b32 vcc_lo, exec_lo, s2
	s_cbranch_vccnz .LBB63_23
; %bb.22:
	v_ashrrev_i32_e32 v1, 31, v0
	s_delay_alu instid0(VALU_DEP_1) | instskip(NEXT) | instid1(VALU_DEP_1)
	v_lshlrev_b64 v[0:1], 2, v[0:1]
	v_add_co_u32 v0, vcc_lo, s0, v0
	s_delay_alu instid0(VALU_DEP_2)
	v_add_co_ci_u32_e32 v1, vcc_lo, s1, v1, vcc_lo
	global_load_b64 v[4:5], v[0:1], off
	s_waitcnt vmcnt(0)
	v_dual_fmac_f32 v2, s12, v4 :: v_dual_fmac_f32 v3, s12, v5
	global_store_b64 v[0:1], v[2:3], off
.LBB63_23:
	s_nop 0
	s_sendmsg sendmsg(MSG_DEALLOC_VGPRS)
	s_endpgm
	.section	.rodata,"a",@progbits
	.p2align	6, 0x0
	.amdhsa_kernel _ZN9rocsparseL19gebsrmvn_2xn_kernelILj128ELj14ELj32EfEEvi20rocsparse_direction_NS_24const_host_device_scalarIT2_EEPKiS6_PKS3_S8_S4_PS3_21rocsparse_index_base_b
		.amdhsa_group_segment_fixed_size 0
		.amdhsa_private_segment_fixed_size 0
		.amdhsa_kernarg_size 72
		.amdhsa_user_sgpr_count 15
		.amdhsa_user_sgpr_dispatch_ptr 0
		.amdhsa_user_sgpr_queue_ptr 0
		.amdhsa_user_sgpr_kernarg_segment_ptr 1
		.amdhsa_user_sgpr_dispatch_id 0
		.amdhsa_user_sgpr_private_segment_size 0
		.amdhsa_wavefront_size32 1
		.amdhsa_uses_dynamic_stack 0
		.amdhsa_enable_private_segment 0
		.amdhsa_system_sgpr_workgroup_id_x 1
		.amdhsa_system_sgpr_workgroup_id_y 0
		.amdhsa_system_sgpr_workgroup_id_z 0
		.amdhsa_system_sgpr_workgroup_info 0
		.amdhsa_system_vgpr_workitem_id 0
		.amdhsa_next_free_vgpr 55
		.amdhsa_next_free_sgpr 20
		.amdhsa_reserve_vcc 1
		.amdhsa_float_round_mode_32 0
		.amdhsa_float_round_mode_16_64 0
		.amdhsa_float_denorm_mode_32 3
		.amdhsa_float_denorm_mode_16_64 3
		.amdhsa_dx10_clamp 1
		.amdhsa_ieee_mode 1
		.amdhsa_fp16_overflow 0
		.amdhsa_workgroup_processor_mode 1
		.amdhsa_memory_ordered 1
		.amdhsa_forward_progress 0
		.amdhsa_shared_vgpr_count 0
		.amdhsa_exception_fp_ieee_invalid_op 0
		.amdhsa_exception_fp_denorm_src 0
		.amdhsa_exception_fp_ieee_div_zero 0
		.amdhsa_exception_fp_ieee_overflow 0
		.amdhsa_exception_fp_ieee_underflow 0
		.amdhsa_exception_fp_ieee_inexact 0
		.amdhsa_exception_int_div_zero 0
	.end_amdhsa_kernel
	.section	.text._ZN9rocsparseL19gebsrmvn_2xn_kernelILj128ELj14ELj32EfEEvi20rocsparse_direction_NS_24const_host_device_scalarIT2_EEPKiS6_PKS3_S8_S4_PS3_21rocsparse_index_base_b,"axG",@progbits,_ZN9rocsparseL19gebsrmvn_2xn_kernelILj128ELj14ELj32EfEEvi20rocsparse_direction_NS_24const_host_device_scalarIT2_EEPKiS6_PKS3_S8_S4_PS3_21rocsparse_index_base_b,comdat
.Lfunc_end63:
	.size	_ZN9rocsparseL19gebsrmvn_2xn_kernelILj128ELj14ELj32EfEEvi20rocsparse_direction_NS_24const_host_device_scalarIT2_EEPKiS6_PKS3_S8_S4_PS3_21rocsparse_index_base_b, .Lfunc_end63-_ZN9rocsparseL19gebsrmvn_2xn_kernelILj128ELj14ELj32EfEEvi20rocsparse_direction_NS_24const_host_device_scalarIT2_EEPKiS6_PKS3_S8_S4_PS3_21rocsparse_index_base_b
                                        ; -- End function
	.section	.AMDGPU.csdata,"",@progbits
; Kernel info:
; codeLenInByte = 3356
; NumSgprs: 22
; NumVgprs: 55
; ScratchSize: 0
; MemoryBound: 0
; FloatMode: 240
; IeeeMode: 1
; LDSByteSize: 0 bytes/workgroup (compile time only)
; SGPRBlocks: 2
; VGPRBlocks: 6
; NumSGPRsForWavesPerEU: 22
; NumVGPRsForWavesPerEU: 55
; Occupancy: 16
; WaveLimiterHint : 1
; COMPUTE_PGM_RSRC2:SCRATCH_EN: 0
; COMPUTE_PGM_RSRC2:USER_SGPR: 15
; COMPUTE_PGM_RSRC2:TRAP_HANDLER: 0
; COMPUTE_PGM_RSRC2:TGID_X_EN: 1
; COMPUTE_PGM_RSRC2:TGID_Y_EN: 0
; COMPUTE_PGM_RSRC2:TGID_Z_EN: 0
; COMPUTE_PGM_RSRC2:TIDIG_COMP_CNT: 0
	.section	.text._ZN9rocsparseL19gebsrmvn_2xn_kernelILj128ELj14ELj64EfEEvi20rocsparse_direction_NS_24const_host_device_scalarIT2_EEPKiS6_PKS3_S8_S4_PS3_21rocsparse_index_base_b,"axG",@progbits,_ZN9rocsparseL19gebsrmvn_2xn_kernelILj128ELj14ELj64EfEEvi20rocsparse_direction_NS_24const_host_device_scalarIT2_EEPKiS6_PKS3_S8_S4_PS3_21rocsparse_index_base_b,comdat
	.globl	_ZN9rocsparseL19gebsrmvn_2xn_kernelILj128ELj14ELj64EfEEvi20rocsparse_direction_NS_24const_host_device_scalarIT2_EEPKiS6_PKS3_S8_S4_PS3_21rocsparse_index_base_b ; -- Begin function _ZN9rocsparseL19gebsrmvn_2xn_kernelILj128ELj14ELj64EfEEvi20rocsparse_direction_NS_24const_host_device_scalarIT2_EEPKiS6_PKS3_S8_S4_PS3_21rocsparse_index_base_b
	.p2align	8
	.type	_ZN9rocsparseL19gebsrmvn_2xn_kernelILj128ELj14ELj64EfEEvi20rocsparse_direction_NS_24const_host_device_scalarIT2_EEPKiS6_PKS3_S8_S4_PS3_21rocsparse_index_base_b,@function
_ZN9rocsparseL19gebsrmvn_2xn_kernelILj128ELj14ELj64EfEEvi20rocsparse_direction_NS_24const_host_device_scalarIT2_EEPKiS6_PKS3_S8_S4_PS3_21rocsparse_index_base_b: ; @_ZN9rocsparseL19gebsrmvn_2xn_kernelILj128ELj14ELj64EfEEvi20rocsparse_direction_NS_24const_host_device_scalarIT2_EEPKiS6_PKS3_S8_S4_PS3_21rocsparse_index_base_b
; %bb.0:
	s_clause 0x2
	s_load_b64 s[18:19], s[0:1], 0x40
	s_load_b64 s[16:17], s[0:1], 0x8
	;; [unrolled: 1-line block ×3, first 2 shown]
	s_waitcnt lgkmcnt(0)
	s_bitcmp1_b32 s19, 0
	s_cselect_b32 s2, -1, 0
	s_delay_alu instid0(SALU_CYCLE_1)
	s_and_b32 vcc_lo, exec_lo, s2
	s_xor_b32 s2, s2, -1
	s_cbranch_vccnz .LBB64_2
; %bb.1:
	s_load_b32 s16, s[16:17], 0x0
.LBB64_2:
	s_and_not1_b32 vcc_lo, exec_lo, s2
	s_cbranch_vccnz .LBB64_4
; %bb.3:
	s_load_b32 s12, s[12:13], 0x0
.LBB64_4:
	s_waitcnt lgkmcnt(0)
	v_cmp_eq_f32_e64 s2, s16, 0
	v_cmp_eq_f32_e64 s3, s12, 1.0
	s_delay_alu instid0(VALU_DEP_1) | instskip(NEXT) | instid1(SALU_CYCLE_1)
	s_and_b32 s2, s2, s3
	s_and_b32 vcc_lo, exec_lo, s2
	s_cbranch_vccnz .LBB64_23
; %bb.5:
	s_load_b64 s[2:3], s[0:1], 0x0
	v_lshrrev_b32_e32 v1, 6, v0
	s_delay_alu instid0(VALU_DEP_1) | instskip(SKIP_1) | instid1(VALU_DEP_1)
	v_lshl_or_b32 v1, s15, 1, v1
	s_waitcnt lgkmcnt(0)
	v_cmp_gt_i32_e32 vcc_lo, s2, v1
	s_and_saveexec_b32 s2, vcc_lo
	s_cbranch_execz .LBB64_23
; %bb.6:
	s_load_b256 s[4:11], s[0:1], 0x10
	v_ashrrev_i32_e32 v2, 31, v1
	v_and_b32_e32 v0, 63, v0
	s_cmp_lg_u32 s3, 0
	s_delay_alu instid0(VALU_DEP_2) | instskip(SKIP_1) | instid1(VALU_DEP_1)
	v_lshlrev_b64 v[2:3], 2, v[1:2]
	s_waitcnt lgkmcnt(0)
	v_add_co_u32 v2, vcc_lo, s4, v2
	s_delay_alu instid0(VALU_DEP_2) | instskip(SKIP_4) | instid1(VALU_DEP_2)
	v_add_co_ci_u32_e32 v3, vcc_lo, s5, v3, vcc_lo
	global_load_b64 v[2:3], v[2:3], off
	s_waitcnt vmcnt(0)
	v_subrev_nc_u32_e32 v2, s18, v2
	v_subrev_nc_u32_e32 v11, s18, v3
	v_add_nc_u32_e32 v2, v2, v0
	s_delay_alu instid0(VALU_DEP_1)
	v_cmp_lt_i32_e64 s2, v2, v11
	s_cbranch_scc0 .LBB64_12
; %bb.7:
	v_dual_mov_b32 v9, 0 :: v_dual_mov_b32 v10, 0
	s_mov_b32 s4, 0
	s_delay_alu instid0(VALU_DEP_2)
	s_and_saveexec_b32 s5, s2
	s_cbranch_execz .LBB64_11
; %bb.8:
	v_mad_u64_u32 v[3:4], null, v2, 28, 26
	v_dual_mov_b32 v6, 0 :: v_dual_mov_b32 v7, v2
	v_dual_mov_b32 v9, 0 :: v_dual_mov_b32 v10, 0
	s_mov_b32 s13, 0
.LBB64_9:                               ; =>This Inner Loop Header: Depth=1
	s_delay_alu instid0(VALU_DEP_2) | instskip(NEXT) | instid1(VALU_DEP_1)
	v_ashrrev_i32_e32 v8, 31, v7
	v_lshlrev_b64 v[4:5], 2, v[7:8]
	v_add_nc_u32_e32 v7, 64, v7
	s_delay_alu instid0(VALU_DEP_2) | instskip(NEXT) | instid1(VALU_DEP_3)
	v_add_co_u32 v4, vcc_lo, s6, v4
	v_add_co_ci_u32_e32 v5, vcc_lo, s7, v5, vcc_lo
	global_load_b32 v8, v[4:5], off
	v_subrev_nc_u32_e32 v5, 26, v3
	v_mov_b32_e32 v4, v6
	s_delay_alu instid0(VALU_DEP_2) | instskip(SKIP_1) | instid1(VALU_DEP_3)
	v_lshlrev_b64 v[12:13], 2, v[5:6]
	v_subrev_nc_u32_e32 v5, 22, v3
	v_lshlrev_b64 v[18:19], 2, v[3:4]
	s_delay_alu instid0(VALU_DEP_2) | instskip(NEXT) | instid1(VALU_DEP_4)
	v_lshlrev_b64 v[4:5], 2, v[5:6]
	v_add_co_u32 v12, vcc_lo, s8, v12
	v_add_co_ci_u32_e32 v13, vcc_lo, s9, v13, vcc_lo
	s_delay_alu instid0(VALU_DEP_4) | instskip(NEXT) | instid1(VALU_DEP_4)
	v_add_co_u32 v18, vcc_lo, s8, v18
	v_add_co_u32 v4, s3, s8, v4
	s_delay_alu instid0(VALU_DEP_1)
	v_add_co_ci_u32_e64 v5, s3, s9, v5, s3
	s_clause 0x1
	global_load_b128 v[12:15], v[12:13], off
	global_load_b64 v[20:21], v[4:5], off
	v_mov_b32_e32 v17, v6
	v_add_co_ci_u32_e32 v19, vcc_lo, s9, v19, vcc_lo
	v_cmp_ge_i32_e32 vcc_lo, v7, v11
	s_or_b32 s13, vcc_lo, s13
	s_waitcnt vmcnt(2)
	v_subrev_nc_u32_e32 v4, s18, v8
	s_delay_alu instid0(VALU_DEP_1) | instskip(NEXT) | instid1(VALU_DEP_1)
	v_mul_lo_u32 v16, v4, 14
	v_lshlrev_b64 v[22:23], 2, v[16:17]
	v_add_nc_u32_e32 v5, 2, v16
	s_delay_alu instid0(VALU_DEP_1) | instskip(NEXT) | instid1(VALU_DEP_3)
	v_lshlrev_b64 v[24:25], 2, v[5:6]
	v_add_co_u32 v22, s3, s10, v22
	s_delay_alu instid0(VALU_DEP_1) | instskip(SKIP_1) | instid1(VALU_DEP_4)
	v_add_co_ci_u32_e64 v23, s3, s11, v23, s3
	v_subrev_nc_u32_e32 v5, 20, v3
	v_add_co_u32 v24, s3, s10, v24
	global_load_b64 v[22:23], v[22:23], off
	v_add_co_ci_u32_e64 v25, s3, s11, v25, s3
	v_lshlrev_b64 v[26:27], 2, v[5:6]
	v_subrev_nc_u32_e32 v5, 18, v3
	global_load_b64 v[24:25], v[24:25], off
	v_lshlrev_b64 v[28:29], 2, v[5:6]
	v_add_co_u32 v26, s3, s8, v26
	s_delay_alu instid0(VALU_DEP_1) | instskip(NEXT) | instid1(VALU_DEP_3)
	v_add_co_ci_u32_e64 v27, s3, s9, v27, s3
	v_add_co_u32 v28, s3, s8, v28
	s_delay_alu instid0(VALU_DEP_1)
	v_add_co_ci_u32_e64 v29, s3, s9, v29, s3
	s_clause 0x1
	global_load_b64 v[26:27], v[26:27], off
	global_load_b64 v[28:29], v[28:29], off
	s_waitcnt vmcnt(3)
	v_dual_fmac_f32 v10, v13, v22 :: v_dual_add_nc_u32 v5, 4, v16
	s_delay_alu instid0(VALU_DEP_1) | instskip(NEXT) | instid1(VALU_DEP_2)
	v_fmac_f32_e32 v10, v15, v23
	v_lshlrev_b64 v[30:31], 2, v[5:6]
	s_waitcnt vmcnt(2)
	s_delay_alu instid0(VALU_DEP_2) | instskip(NEXT) | instid1(VALU_DEP_2)
	v_dual_fmac_f32 v10, v21, v24 :: v_dual_add_nc_u32 v5, -16, v3
	v_add_co_u32 v30, s3, s10, v30
	s_delay_alu instid0(VALU_DEP_1) | instskip(NEXT) | instid1(VALU_DEP_3)
	v_add_co_ci_u32_e64 v31, s3, s11, v31, s3
	v_lshlrev_b64 v[32:33], 2, v[5:6]
	s_waitcnt vmcnt(1)
	v_dual_fmac_f32 v10, v27, v25 :: v_dual_add_nc_u32 v5, -14, v3
	global_load_b64 v[30:31], v[30:31], off
	v_lshlrev_b64 v[34:35], 2, v[5:6]
	v_add_nc_u32_e32 v5, 6, v16
	v_add_co_u32 v32, s3, s8, v32
	s_delay_alu instid0(VALU_DEP_1) | instskip(NEXT) | instid1(VALU_DEP_4)
	v_add_co_ci_u32_e64 v33, s3, s9, v33, s3
	v_add_co_u32 v34, s3, s8, v34
	s_delay_alu instid0(VALU_DEP_1)
	v_add_co_ci_u32_e64 v35, s3, s9, v35, s3
	s_clause 0x1
	global_load_b64 v[32:33], v[32:33], off
	global_load_b64 v[34:35], v[34:35], off
	s_waitcnt vmcnt(2)
	v_fmac_f32_e32 v10, v29, v30
	v_lshlrev_b64 v[36:37], 2, v[5:6]
	v_fmac_f32_e32 v9, v12, v22
	s_delay_alu instid0(VALU_DEP_2) | instskip(NEXT) | instid1(VALU_DEP_1)
	v_add_co_u32 v36, s3, s10, v36
	v_add_co_ci_u32_e64 v37, s3, s11, v37, s3
	s_waitcnt vmcnt(1)
	v_fmac_f32_e32 v10, v33, v31
	global_load_b64 v[36:37], v[36:37], off
	s_waitcnt vmcnt(0)
	v_dual_fmac_f32 v10, v35, v36 :: v_dual_add_nc_u32 v5, -12, v3
	s_delay_alu instid0(VALU_DEP_1) | instskip(NEXT) | instid1(VALU_DEP_1)
	v_lshlrev_b64 v[38:39], 2, v[5:6]
	v_add_co_u32 v38, s3, s8, v38
	s_delay_alu instid0(VALU_DEP_1) | instskip(SKIP_2) | instid1(VALU_DEP_1)
	v_add_co_ci_u32_e64 v39, s3, s9, v39, s3
	global_load_b64 v[38:39], v[38:39], off
	v_add_nc_u32_e32 v5, -10, v3
	v_lshlrev_b64 v[40:41], 2, v[5:6]
	s_delay_alu instid0(VALU_DEP_1) | instskip(NEXT) | instid1(VALU_DEP_1)
	v_add_co_u32 v40, s3, s8, v40
	v_add_co_ci_u32_e64 v41, s3, s9, v41, s3
	global_load_b64 v[40:41], v[40:41], off
	s_waitcnt vmcnt(1)
	v_dual_fmac_f32 v10, v39, v37 :: v_dual_add_nc_u32 v5, 8, v16
	s_delay_alu instid0(VALU_DEP_1) | instskip(SKIP_1) | instid1(VALU_DEP_1)
	v_lshlrev_b64 v[42:43], 2, v[5:6]
	v_add_nc_u32_e32 v5, -8, v3
	v_lshlrev_b64 v[44:45], 2, v[5:6]
	s_delay_alu instid0(VALU_DEP_3) | instskip(NEXT) | instid1(VALU_DEP_1)
	v_add_co_u32 v42, s3, s10, v42
	v_add_co_ci_u32_e64 v43, s3, s11, v43, s3
	v_add_nc_u32_e32 v5, -6, v3
	s_delay_alu instid0(VALU_DEP_4)
	v_add_co_u32 v44, s3, s8, v44
	global_load_b64 v[42:43], v[42:43], off
	v_add_co_ci_u32_e64 v45, s3, s9, v45, s3
	v_lshlrev_b64 v[46:47], 2, v[5:6]
	global_load_b64 v[44:45], v[44:45], off
	v_add_co_u32 v46, s3, s8, v46
	s_delay_alu instid0(VALU_DEP_1) | instskip(SKIP_4) | instid1(VALU_DEP_1)
	v_add_co_ci_u32_e64 v47, s3, s9, v47, s3
	global_load_b64 v[46:47], v[46:47], off
	s_waitcnt vmcnt(2)
	v_dual_fmac_f32 v10, v41, v42 :: v_dual_add_nc_u32 v5, 10, v16
	s_waitcnt vmcnt(1)
	v_fmac_f32_e32 v10, v45, v43
	s_delay_alu instid0(VALU_DEP_2) | instskip(SKIP_1) | instid1(VALU_DEP_1)
	v_lshlrev_b64 v[48:49], 2, v[5:6]
	v_add_nc_u32_e32 v5, -4, v3
	v_lshlrev_b64 v[50:51], 2, v[5:6]
	v_add_nc_u32_e32 v5, -2, v3
	s_delay_alu instid0(VALU_DEP_4) | instskip(NEXT) | instid1(VALU_DEP_1)
	v_add_co_u32 v48, s3, s10, v48
	v_add_co_ci_u32_e64 v49, s3, s11, v49, s3
	s_delay_alu instid0(VALU_DEP_3) | instskip(SKIP_2) | instid1(VALU_DEP_1)
	v_lshlrev_b64 v[52:53], 2, v[5:6]
	v_add_nc_u32_e32 v5, 12, v16
	v_add_co_u32 v16, s3, s8, v50
	v_add_co_ci_u32_e64 v17, s3, s9, v51, s3
	s_delay_alu instid0(VALU_DEP_3) | instskip(SKIP_2) | instid1(VALU_DEP_1)
	v_lshlrev_b64 v[4:5], 2, v[5:6]
	global_load_b64 v[48:49], v[48:49], off
	v_add_co_u32 v50, s3, s8, v52
	v_add_co_ci_u32_e64 v51, s3, s9, v53, s3
	global_load_b64 v[16:17], v[16:17], off
	v_add_co_u32 v4, s3, s10, v4
	s_delay_alu instid0(VALU_DEP_1)
	v_add_co_ci_u32_e64 v5, s3, s11, v5, s3
	global_load_b64 v[50:51], v[50:51], off
	global_load_b64 v[4:5], v[4:5], off
	;; [unrolled: 1-line block ×3, first 2 shown]
	s_waitcnt vmcnt(4)
	v_dual_fmac_f32 v10, v47, v48 :: v_dual_add_nc_u32 v3, 0x700, v3
	s_waitcnt vmcnt(3)
	s_delay_alu instid0(VALU_DEP_1) | instskip(SKIP_1) | instid1(VALU_DEP_1)
	v_fmac_f32_e32 v10, v17, v49
	s_waitcnt vmcnt(1)
	v_dual_fmac_f32 v10, v51, v4 :: v_dual_fmac_f32 v9, v14, v23
	s_waitcnt vmcnt(0)
	s_delay_alu instid0(VALU_DEP_1) | instskip(NEXT) | instid1(VALU_DEP_1)
	v_dual_fmac_f32 v10, v19, v5 :: v_dual_fmac_f32 v9, v20, v24
	v_fmac_f32_e32 v9, v26, v25
	s_delay_alu instid0(VALU_DEP_1) | instskip(NEXT) | instid1(VALU_DEP_1)
	v_fmac_f32_e32 v9, v28, v30
	v_fmac_f32_e32 v9, v32, v31
	s_delay_alu instid0(VALU_DEP_1) | instskip(NEXT) | instid1(VALU_DEP_1)
	v_fmac_f32_e32 v9, v34, v36
	;; [unrolled: 3-line block ×5, first 2 shown]
	v_fmac_f32_e32 v9, v18, v5
	s_and_not1_b32 exec_lo, exec_lo, s13
	s_cbranch_execnz .LBB64_9
; %bb.10:
	s_or_b32 exec_lo, exec_lo, s13
.LBB64_11:
	s_delay_alu instid0(SALU_CYCLE_1) | instskip(NEXT) | instid1(SALU_CYCLE_1)
	s_or_b32 exec_lo, exec_lo, s5
	s_and_not1_b32 vcc_lo, exec_lo, s4
	s_cbranch_vccz .LBB64_13
	s_branch .LBB64_18
.LBB64_12:
                                        ; implicit-def: $vgpr9
                                        ; implicit-def: $vgpr10
.LBB64_13:
	v_dual_mov_b32 v9, 0 :: v_dual_mov_b32 v10, 0
	s_delay_alu instid0(VALU_DEP_2)
	s_and_saveexec_b32 s3, s2
	s_cbranch_execz .LBB64_17
; %bb.14:
	v_mad_u64_u32 v[4:5], null, v2, 28, 27
	v_dual_mov_b32 v7, 0 :: v_dual_mov_b32 v10, 0
	v_mov_b32_e32 v9, 0
	s_mov_b32 s2, 0
.LBB64_15:                              ; =>This Inner Loop Header: Depth=1
	v_ashrrev_i32_e32 v3, 31, v2
	s_delay_alu instid0(VALU_DEP_3) | instskip(SKIP_1) | instid1(VALU_DEP_3)
	v_dual_mov_b32 v17, v7 :: v_dual_add_nc_u32 v12, -13, v4
	v_mov_b32_e32 v13, v7
	v_lshlrev_b64 v[5:6], 2, v[2:3]
	v_add_nc_u32_e32 v2, 64, v2
	s_delay_alu instid0(VALU_DEP_2) | instskip(NEXT) | instid1(VALU_DEP_3)
	v_add_co_u32 v5, vcc_lo, s6, v5
	v_add_co_ci_u32_e32 v6, vcc_lo, s7, v6, vcc_lo
	global_load_b32 v3, v[5:6], off
	v_subrev_nc_u32_e32 v6, 27, v4
	s_delay_alu instid0(VALU_DEP_1) | instskip(SKIP_2) | instid1(VALU_DEP_3)
	v_lshlrev_b64 v[14:15], 2, v[6:7]
	v_add_nc_u32_e32 v6, -12, v4
	v_lshlrev_b64 v[12:13], 2, v[12:13]
	v_add_co_u32 v14, vcc_lo, s8, v14
	s_delay_alu instid0(VALU_DEP_4) | instskip(NEXT) | instid1(VALU_DEP_3)
	v_add_co_ci_u32_e32 v15, vcc_lo, s9, v15, vcc_lo
	v_add_co_u32 v20, vcc_lo, s8, v12
	s_delay_alu instid0(VALU_DEP_4) | instskip(SKIP_2) | instid1(VALU_DEP_1)
	v_add_co_ci_u32_e32 v21, vcc_lo, s9, v13, vcc_lo
	s_waitcnt vmcnt(0)
	v_subrev_nc_u32_e32 v3, s18, v3
	v_mul_lo_u32 v16, v3, 14
	v_mov_b32_e32 v5, v7
	s_delay_alu instid0(VALU_DEP_1) | instskip(SKIP_1) | instid1(VALU_DEP_2)
	v_lshlrev_b64 v[18:19], 2, v[4:5]
	v_lshlrev_b64 v[5:6], 2, v[6:7]
	v_add_co_u32 v18, vcc_lo, s8, v18
	s_delay_alu instid0(VALU_DEP_3) | instskip(NEXT) | instid1(VALU_DEP_3)
	v_add_co_ci_u32_e32 v19, vcc_lo, s9, v19, vcc_lo
	v_add_co_u32 v5, vcc_lo, s8, v5
	s_delay_alu instid0(VALU_DEP_4)
	v_add_co_ci_u32_e32 v6, vcc_lo, s9, v6, vcc_lo
	s_clause 0x2
	global_load_b128 v[12:15], v[14:15], off
	global_load_b32 v8, v[20:21], off
	global_load_b32 v38, v[5:6], off
	v_add_nc_u32_e32 v6, 2, v16
	v_lshlrev_b64 v[20:21], 2, v[16:17]
	s_delay_alu instid0(VALU_DEP_2) | instskip(NEXT) | instid1(VALU_DEP_2)
	v_lshlrev_b64 v[22:23], 2, v[6:7]
	v_add_co_u32 v20, vcc_lo, s10, v20
	s_delay_alu instid0(VALU_DEP_3) | instskip(NEXT) | instid1(VALU_DEP_3)
	v_add_co_ci_u32_e32 v21, vcc_lo, s11, v21, vcc_lo
	v_add_co_u32 v22, vcc_lo, s10, v22
	s_delay_alu instid0(VALU_DEP_4)
	v_add_co_ci_u32_e32 v23, vcc_lo, s11, v23, vcc_lo
	s_clause 0x1
	global_load_b64 v[20:21], v[20:21], off
	global_load_b64 v[22:23], v[22:23], off
	s_waitcnt vmcnt(1)
	v_fmac_f32_e32 v10, v8, v20
	s_delay_alu instid0(VALU_DEP_1) | instskip(NEXT) | instid1(VALU_DEP_1)
	v_dual_fmac_f32 v9, v12, v20 :: v_dual_fmac_f32 v10, v38, v21
	v_dual_fmac_f32 v9, v13, v21 :: v_dual_add_nc_u32 v6, -11, v4
	s_delay_alu instid0(VALU_DEP_1) | instskip(SKIP_1) | instid1(VALU_DEP_2)
	v_lshlrev_b64 v[24:25], 2, v[6:7]
	s_waitcnt vmcnt(0)
	v_dual_fmac_f32 v9, v14, v22 :: v_dual_add_nc_u32 v6, -10, v4
	s_delay_alu instid0(VALU_DEP_1) | instskip(SKIP_1) | instid1(VALU_DEP_4)
	v_lshlrev_b64 v[26:27], 2, v[6:7]
	v_subrev_nc_u32_e32 v6, 23, v4
	v_add_co_u32 v24, vcc_lo, s8, v24
	v_add_co_ci_u32_e32 v25, vcc_lo, s9, v25, vcc_lo
	s_delay_alu instid0(VALU_DEP_4) | instskip(NEXT) | instid1(VALU_DEP_4)
	v_add_co_u32 v26, vcc_lo, s8, v26
	v_lshlrev_b64 v[28:29], 2, v[6:7]
	v_dual_fmac_f32 v9, v15, v23 :: v_dual_add_nc_u32 v6, 4, v16
	v_add_co_ci_u32_e32 v27, vcc_lo, s9, v27, vcc_lo
	s_clause 0x1
	global_load_b32 v3, v[24:25], off
	global_load_b32 v39, v[26:27], off
	v_lshlrev_b64 v[24:25], 2, v[6:7]
	v_add_co_u32 v26, vcc_lo, s8, v28
	v_add_co_ci_u32_e32 v27, vcc_lo, s9, v29, vcc_lo
	s_delay_alu instid0(VALU_DEP_3) | instskip(NEXT) | instid1(VALU_DEP_4)
	v_add_co_u32 v24, vcc_lo, s10, v24
	v_add_co_ci_u32_e32 v25, vcc_lo, s11, v25, vcc_lo
	global_load_b32 v40, v[26:27], off
	global_load_b64 v[24:25], v[24:25], off
	v_add_nc_u32_e32 v6, -9, v4
	s_delay_alu instid0(VALU_DEP_1) | instskip(SKIP_1) | instid1(VALU_DEP_2)
	v_lshlrev_b64 v[28:29], 2, v[6:7]
	v_subrev_nc_u32_e32 v6, 22, v4
	v_add_co_u32 v28, vcc_lo, s8, v28
	s_delay_alu instid0(VALU_DEP_3) | instskip(SKIP_3) | instid1(VALU_DEP_1)
	v_add_co_ci_u32_e32 v29, vcc_lo, s9, v29, vcc_lo
	global_load_b32 v41, v[28:29], off
	v_lshlrev_b64 v[26:27], 2, v[6:7]
	v_add_nc_u32_e32 v6, -8, v4
	v_lshlrev_b64 v[30:31], 2, v[6:7]
	v_subrev_nc_u32_e32 v6, 21, v4
	s_delay_alu instid0(VALU_DEP_4) | instskip(SKIP_1) | instid1(VALU_DEP_3)
	v_add_co_u32 v26, vcc_lo, s8, v26
	v_add_co_ci_u32_e32 v27, vcc_lo, s9, v27, vcc_lo
	v_lshlrev_b64 v[28:29], 2, v[6:7]
	v_add_nc_u32_e32 v6, 6, v16
	global_load_b32 v42, v[26:27], off
	v_add_co_u32 v26, vcc_lo, s8, v30
	v_add_co_ci_u32_e32 v27, vcc_lo, s9, v31, vcc_lo
	v_add_co_u32 v28, vcc_lo, s8, v28
	v_lshlrev_b64 v[30:31], 2, v[6:7]
	v_add_nc_u32_e32 v6, -7, v4
	v_add_co_ci_u32_e32 v29, vcc_lo, s9, v29, vcc_lo
	s_clause 0x1
	global_load_b32 v43, v[26:27], off
	global_load_b32 v44, v[28:29], off
	v_lshlrev_b64 v[26:27], 2, v[6:7]
	v_subrev_nc_u32_e32 v6, 20, v4
	v_add_co_u32 v28, vcc_lo, s10, v30
	v_add_co_ci_u32_e32 v29, vcc_lo, s11, v31, vcc_lo
	s_delay_alu instid0(VALU_DEP_3) | instskip(SKIP_3) | instid1(VALU_DEP_3)
	v_lshlrev_b64 v[30:31], 2, v[6:7]
	v_add_nc_u32_e32 v6, -6, v4
	v_add_co_u32 v26, vcc_lo, s8, v26
	v_add_co_ci_u32_e32 v27, vcc_lo, s9, v27, vcc_lo
	v_lshlrev_b64 v[32:33], 2, v[6:7]
	v_subrev_nc_u32_e32 v6, 19, v4
	global_load_b64 v[28:29], v[28:29], off
	global_load_b32 v45, v[26:27], off
	v_add_co_u32 v26, vcc_lo, s8, v30
	v_add_co_ci_u32_e32 v27, vcc_lo, s9, v31, vcc_lo
	v_lshlrev_b64 v[30:31], 2, v[6:7]
	v_add_nc_u32_e32 v6, 8, v16
	v_add_co_u32 v32, vcc_lo, s8, v32
	v_add_co_ci_u32_e32 v33, vcc_lo, s9, v33, vcc_lo
	s_delay_alu instid0(VALU_DEP_4)
	v_add_co_u32 v30, vcc_lo, s8, v30
	global_load_b32 v46, v[26:27], off
	v_lshlrev_b64 v[26:27], 2, v[6:7]
	v_add_nc_u32_e32 v6, -5, v4
	v_add_co_ci_u32_e32 v31, vcc_lo, s9, v31, vcc_lo
	global_load_b32 v47, v[32:33], off
	v_add_co_u32 v26, vcc_lo, s10, v26
	global_load_b32 v48, v[30:31], off
	v_lshlrev_b64 v[32:33], 2, v[6:7]
	v_subrev_nc_u32_e32 v6, 18, v4
	v_add_co_ci_u32_e32 v27, vcc_lo, s11, v27, vcc_lo
	s_delay_alu instid0(VALU_DEP_2) | instskip(SKIP_3) | instid1(VALU_DEP_4)
	v_lshlrev_b64 v[30:31], 2, v[6:7]
	v_add_nc_u32_e32 v6, -4, v4
	v_add_co_u32 v32, vcc_lo, s8, v32
	v_add_co_ci_u32_e32 v33, vcc_lo, s9, v33, vcc_lo
	v_add_co_u32 v30, vcc_lo, s8, v30
	s_delay_alu instid0(VALU_DEP_4)
	v_lshlrev_b64 v[34:35], 2, v[6:7]
	v_subrev_nc_u32_e32 v6, 17, v4
	v_add_co_ci_u32_e32 v31, vcc_lo, s9, v31, vcc_lo
	global_load_b32 v49, v[32:33], off
	global_load_b64 v[26:27], v[26:27], off
	global_load_b32 v50, v[30:31], off
	v_lshlrev_b64 v[32:33], 2, v[6:7]
	v_add_nc_u32_e32 v6, 10, v16
	v_add_co_u32 v30, vcc_lo, s8, v34
	v_add_co_ci_u32_e32 v31, vcc_lo, s9, v35, vcc_lo
	s_delay_alu instid0(VALU_DEP_4) | instskip(NEXT) | instid1(VALU_DEP_4)
	v_add_co_u32 v32, vcc_lo, s8, v32
	v_lshlrev_b64 v[34:35], 2, v[6:7]
	v_add_nc_u32_e32 v6, -3, v4
	v_add_co_ci_u32_e32 v33, vcc_lo, s9, v33, vcc_lo
	s_clause 0x1
	global_load_b32 v51, v[30:31], off
	global_load_b32 v52, v[32:33], off
	v_lshlrev_b64 v[30:31], 2, v[6:7]
	v_add_nc_u32_e32 v6, -16, v4
	v_add_co_u32 v32, vcc_lo, s10, v34
	v_add_co_ci_u32_e32 v33, vcc_lo, s11, v35, vcc_lo
	s_delay_alu instid0(VALU_DEP_3) | instskip(SKIP_3) | instid1(VALU_DEP_3)
	v_lshlrev_b64 v[34:35], 2, v[6:7]
	v_add_nc_u32_e32 v6, -2, v4
	v_add_co_u32 v30, vcc_lo, s8, v30
	v_add_co_ci_u32_e32 v31, vcc_lo, s9, v31, vcc_lo
	v_lshlrev_b64 v[36:37], 2, v[6:7]
	v_add_nc_u32_e32 v6, -15, v4
	global_load_b64 v[32:33], v[32:33], off
	global_load_b32 v53, v[30:31], off
	v_add_co_u32 v30, vcc_lo, s8, v34
	v_add_co_ci_u32_e32 v31, vcc_lo, s9, v35, vcc_lo
	v_lshlrev_b64 v[34:35], 2, v[6:7]
	v_add_nc_u32_e32 v6, 12, v16
	v_add_co_u32 v16, vcc_lo, s8, v36
	v_add_co_ci_u32_e32 v17, vcc_lo, s9, v37, vcc_lo
	global_load_b32 v36, v[30:31], off
	v_lshlrev_b64 v[30:31], 2, v[6:7]
	v_add_nc_u32_e32 v6, -1, v4
	global_load_b32 v37, v[16:17], off
	v_add_co_u32 v16, vcc_lo, s8, v34
	v_add_co_ci_u32_e32 v17, vcc_lo, s9, v35, vcc_lo
	v_add_co_u32 v30, vcc_lo, s10, v30
	v_add_co_ci_u32_e32 v31, vcc_lo, s11, v31, vcc_lo
	global_load_b32 v54, v[16:17], off
	v_lshlrev_b64 v[34:35], 2, v[6:7]
	v_add_nc_u32_e32 v6, -14, v4
	global_load_b64 v[16:17], v[30:31], off
	v_add_nc_u32_e32 v4, 0x700, v4
	v_lshlrev_b64 v[5:6], 2, v[6:7]
	v_add_co_u32 v30, vcc_lo, s8, v34
	v_add_co_ci_u32_e32 v31, vcc_lo, s9, v35, vcc_lo
	s_delay_alu instid0(VALU_DEP_3) | instskip(NEXT) | instid1(VALU_DEP_4)
	v_add_co_u32 v5, vcc_lo, s8, v5
	v_add_co_ci_u32_e32 v6, vcc_lo, s9, v6, vcc_lo
	s_clause 0x2
	global_load_b32 v30, v[30:31], off
	global_load_b32 v5, v[5:6], off
	;; [unrolled: 1-line block ×3, first 2 shown]
	v_cmp_ge_i32_e32 vcc_lo, v2, v11
	s_or_b32 s2, vcc_lo, s2
	s_waitcnt vmcnt(23)
	v_dual_fmac_f32 v10, v3, v22 :: v_dual_fmac_f32 v9, v40, v24
	s_waitcnt vmcnt(21)
	s_delay_alu instid0(VALU_DEP_1) | instskip(SKIP_1) | instid1(VALU_DEP_1)
	v_dual_fmac_f32 v9, v42, v25 :: v_dual_fmac_f32 v10, v39, v23
	s_waitcnt vmcnt(18)
	v_fmac_f32_e32 v9, v44, v28
	s_waitcnt vmcnt(16)
	s_delay_alu instid0(VALU_DEP_1) | instskip(SKIP_1) | instid1(VALU_DEP_1)
	v_dual_fmac_f32 v10, v41, v24 :: v_dual_fmac_f32 v9, v46, v29
	s_waitcnt vmcnt(12)
	v_fmac_f32_e32 v9, v48, v26
	;; [unrolled: 5-line block ×3, first 2 shown]
	s_waitcnt vmcnt(6)
	s_delay_alu instid0(VALU_DEP_1) | instskip(SKIP_1) | instid1(VALU_DEP_1)
	v_dual_fmac_f32 v10, v45, v28 :: v_dual_fmac_f32 v9, v36, v33
	s_waitcnt vmcnt(3)
	v_dual_fmac_f32 v10, v47, v29 :: v_dual_fmac_f32 v9, v54, v16
	s_delay_alu instid0(VALU_DEP_1) | instskip(NEXT) | instid1(VALU_DEP_1)
	v_fmac_f32_e32 v10, v49, v26
	v_fmac_f32_e32 v10, v51, v27
	s_delay_alu instid0(VALU_DEP_1) | instskip(SKIP_2) | instid1(VALU_DEP_2)
	v_fmac_f32_e32 v10, v53, v32
	s_waitcnt vmcnt(1)
	v_fmac_f32_e32 v9, v5, v17
	v_fmac_f32_e32 v10, v37, v33
	s_delay_alu instid0(VALU_DEP_1) | instskip(SKIP_1) | instid1(VALU_DEP_1)
	v_fmac_f32_e32 v10, v30, v16
	s_waitcnt vmcnt(0)
	v_fmac_f32_e32 v10, v6, v17
	s_and_not1_b32 exec_lo, exec_lo, s2
	s_cbranch_execnz .LBB64_15
; %bb.16:
	s_or_b32 exec_lo, exec_lo, s2
.LBB64_17:
	s_delay_alu instid0(SALU_CYCLE_1)
	s_or_b32 exec_lo, exec_lo, s3
.LBB64_18:
	v_mbcnt_lo_u32_b32 v2, -1, 0
	s_mov_b32 s2, -1
	s_delay_alu instid0(VALU_DEP_1) | instskip(SKIP_2) | instid1(VALU_DEP_3)
	v_or_b32_e32 v3, 32, v2
	v_xor_b32_e32 v5, 16, v2
	v_xor_b32_e32 v7, 8, v2
	v_cmp_gt_i32_e32 vcc_lo, 32, v3
	v_cndmask_b32_e32 v3, v2, v3, vcc_lo
	s_delay_alu instid0(VALU_DEP_4) | instskip(NEXT) | instid1(VALU_DEP_2)
	v_cmp_gt_i32_e32 vcc_lo, 32, v5
	v_lshlrev_b32_e32 v3, 2, v3
	v_cndmask_b32_e32 v5, v2, v5, vcc_lo
	v_cmp_gt_i32_e32 vcc_lo, 32, v7
	ds_bpermute_b32 v4, v3, v9
	v_lshlrev_b32_e32 v5, 2, v5
	v_cndmask_b32_e32 v7, v2, v7, vcc_lo
	s_waitcnt lgkmcnt(0)
	s_delay_alu instid0(VALU_DEP_1)
	v_dual_add_f32 v4, v9, v4 :: v_dual_lshlrev_b32 v7, 2, v7
	ds_bpermute_b32 v6, v5, v4
	s_waitcnt lgkmcnt(0)
	v_add_f32_e32 v4, v4, v6
	ds_bpermute_b32 v3, v3, v10
	s_waitcnt lgkmcnt(0)
	v_add_f32_e32 v3, v10, v3
	;; [unrolled: 3-line block ×3, first 2 shown]
	ds_bpermute_b32 v5, v7, v4
	ds_bpermute_b32 v6, v7, v3
	v_xor_b32_e32 v7, 4, v2
	s_delay_alu instid0(VALU_DEP_1) | instskip(SKIP_2) | instid1(VALU_DEP_1)
	v_cmp_gt_i32_e32 vcc_lo, 32, v7
	s_waitcnt lgkmcnt(1)
	v_dual_cndmask_b32 v7, v2, v7 :: v_dual_add_f32 v4, v4, v5
	v_lshlrev_b32_e32 v7, 2, v7
	s_waitcnt lgkmcnt(0)
	v_add_f32_e32 v3, v3, v6
	ds_bpermute_b32 v5, v7, v4
	ds_bpermute_b32 v6, v7, v3
	v_xor_b32_e32 v7, 2, v2
	s_delay_alu instid0(VALU_DEP_1) | instskip(SKIP_2) | instid1(VALU_DEP_1)
	v_cmp_gt_i32_e32 vcc_lo, 32, v7
	v_cndmask_b32_e32 v7, v2, v7, vcc_lo
	s_waitcnt lgkmcnt(1)
	v_dual_add_f32 v4, v4, v5 :: v_dual_lshlrev_b32 v7, 2, v7
	s_waitcnt lgkmcnt(0)
	v_add_f32_e32 v3, v3, v6
	ds_bpermute_b32 v5, v7, v4
	ds_bpermute_b32 v6, v7, v3
	v_xor_b32_e32 v7, 1, v2
	s_delay_alu instid0(VALU_DEP_1) | instskip(SKIP_3) | instid1(VALU_DEP_2)
	v_cmp_gt_i32_e32 vcc_lo, 32, v7
	v_cndmask_b32_e32 v2, v2, v7, vcc_lo
	v_cmp_eq_u32_e32 vcc_lo, 63, v0
	s_waitcnt lgkmcnt(1)
	v_dual_add_f32 v2, v4, v5 :: v_dual_lshlrev_b32 v7, 2, v2
	s_waitcnt lgkmcnt(0)
	v_add_f32_e32 v3, v3, v6
	ds_bpermute_b32 v4, v7, v2
	ds_bpermute_b32 v5, v7, v3
	s_and_b32 exec_lo, exec_lo, vcc_lo
	s_cbranch_execz .LBB64_23
; %bb.19:
	s_load_b64 s[0:1], s[0:1], 0x38
	s_waitcnt lgkmcnt(0)
	v_dual_add_f32 v0, v2, v4 :: v_dual_add_f32 v3, v3, v5
	v_cmp_eq_f32_e64 s3, s12, 0
	s_delay_alu instid0(VALU_DEP_2) | instskip(SKIP_1) | instid1(VALU_DEP_3)
	v_dual_mul_f32 v2, s16, v0 :: v_dual_mul_f32 v3, s16, v3
	v_lshlrev_b32_e32 v0, 1, v1
	s_and_b32 vcc_lo, exec_lo, s3
	s_cbranch_vccz .LBB64_21
; %bb.20:
	s_delay_alu instid0(VALU_DEP_1) | instskip(SKIP_1) | instid1(VALU_DEP_1)
	v_ashrrev_i32_e32 v1, 31, v0
	s_mov_b32 s2, 0
	v_lshlrev_b64 v[4:5], 2, v[0:1]
	s_delay_alu instid0(VALU_DEP_1) | instskip(NEXT) | instid1(VALU_DEP_2)
	v_add_co_u32 v4, vcc_lo, s0, v4
	v_add_co_ci_u32_e32 v5, vcc_lo, s1, v5, vcc_lo
	global_store_b64 v[4:5], v[2:3], off
.LBB64_21:
	s_and_not1_b32 vcc_lo, exec_lo, s2
	s_cbranch_vccnz .LBB64_23
; %bb.22:
	v_ashrrev_i32_e32 v1, 31, v0
	s_delay_alu instid0(VALU_DEP_1) | instskip(NEXT) | instid1(VALU_DEP_1)
	v_lshlrev_b64 v[0:1], 2, v[0:1]
	v_add_co_u32 v0, vcc_lo, s0, v0
	s_delay_alu instid0(VALU_DEP_2)
	v_add_co_ci_u32_e32 v1, vcc_lo, s1, v1, vcc_lo
	global_load_b64 v[4:5], v[0:1], off
	s_waitcnt vmcnt(0)
	v_dual_fmac_f32 v2, s12, v4 :: v_dual_fmac_f32 v3, s12, v5
	global_store_b64 v[0:1], v[2:3], off
.LBB64_23:
	s_nop 0
	s_sendmsg sendmsg(MSG_DEALLOC_VGPRS)
	s_endpgm
	.section	.rodata,"a",@progbits
	.p2align	6, 0x0
	.amdhsa_kernel _ZN9rocsparseL19gebsrmvn_2xn_kernelILj128ELj14ELj64EfEEvi20rocsparse_direction_NS_24const_host_device_scalarIT2_EEPKiS6_PKS3_S8_S4_PS3_21rocsparse_index_base_b
		.amdhsa_group_segment_fixed_size 0
		.amdhsa_private_segment_fixed_size 0
		.amdhsa_kernarg_size 72
		.amdhsa_user_sgpr_count 15
		.amdhsa_user_sgpr_dispatch_ptr 0
		.amdhsa_user_sgpr_queue_ptr 0
		.amdhsa_user_sgpr_kernarg_segment_ptr 1
		.amdhsa_user_sgpr_dispatch_id 0
		.amdhsa_user_sgpr_private_segment_size 0
		.amdhsa_wavefront_size32 1
		.amdhsa_uses_dynamic_stack 0
		.amdhsa_enable_private_segment 0
		.amdhsa_system_sgpr_workgroup_id_x 1
		.amdhsa_system_sgpr_workgroup_id_y 0
		.amdhsa_system_sgpr_workgroup_id_z 0
		.amdhsa_system_sgpr_workgroup_info 0
		.amdhsa_system_vgpr_workitem_id 0
		.amdhsa_next_free_vgpr 55
		.amdhsa_next_free_sgpr 20
		.amdhsa_reserve_vcc 1
		.amdhsa_float_round_mode_32 0
		.amdhsa_float_round_mode_16_64 0
		.amdhsa_float_denorm_mode_32 3
		.amdhsa_float_denorm_mode_16_64 3
		.amdhsa_dx10_clamp 1
		.amdhsa_ieee_mode 1
		.amdhsa_fp16_overflow 0
		.amdhsa_workgroup_processor_mode 1
		.amdhsa_memory_ordered 1
		.amdhsa_forward_progress 0
		.amdhsa_shared_vgpr_count 0
		.amdhsa_exception_fp_ieee_invalid_op 0
		.amdhsa_exception_fp_denorm_src 0
		.amdhsa_exception_fp_ieee_div_zero 0
		.amdhsa_exception_fp_ieee_overflow 0
		.amdhsa_exception_fp_ieee_underflow 0
		.amdhsa_exception_fp_ieee_inexact 0
		.amdhsa_exception_int_div_zero 0
	.end_amdhsa_kernel
	.section	.text._ZN9rocsparseL19gebsrmvn_2xn_kernelILj128ELj14ELj64EfEEvi20rocsparse_direction_NS_24const_host_device_scalarIT2_EEPKiS6_PKS3_S8_S4_PS3_21rocsparse_index_base_b,"axG",@progbits,_ZN9rocsparseL19gebsrmvn_2xn_kernelILj128ELj14ELj64EfEEvi20rocsparse_direction_NS_24const_host_device_scalarIT2_EEPKiS6_PKS3_S8_S4_PS3_21rocsparse_index_base_b,comdat
.Lfunc_end64:
	.size	_ZN9rocsparseL19gebsrmvn_2xn_kernelILj128ELj14ELj64EfEEvi20rocsparse_direction_NS_24const_host_device_scalarIT2_EEPKiS6_PKS3_S8_S4_PS3_21rocsparse_index_base_b, .Lfunc_end64-_ZN9rocsparseL19gebsrmvn_2xn_kernelILj128ELj14ELj64EfEEvi20rocsparse_direction_NS_24const_host_device_scalarIT2_EEPKiS6_PKS3_S8_S4_PS3_21rocsparse_index_base_b
                                        ; -- End function
	.section	.AMDGPU.csdata,"",@progbits
; Kernel info:
; codeLenInByte = 3408
; NumSgprs: 22
; NumVgprs: 55
; ScratchSize: 0
; MemoryBound: 0
; FloatMode: 240
; IeeeMode: 1
; LDSByteSize: 0 bytes/workgroup (compile time only)
; SGPRBlocks: 2
; VGPRBlocks: 6
; NumSGPRsForWavesPerEU: 22
; NumVGPRsForWavesPerEU: 55
; Occupancy: 16
; WaveLimiterHint : 1
; COMPUTE_PGM_RSRC2:SCRATCH_EN: 0
; COMPUTE_PGM_RSRC2:USER_SGPR: 15
; COMPUTE_PGM_RSRC2:TRAP_HANDLER: 0
; COMPUTE_PGM_RSRC2:TGID_X_EN: 1
; COMPUTE_PGM_RSRC2:TGID_Y_EN: 0
; COMPUTE_PGM_RSRC2:TGID_Z_EN: 0
; COMPUTE_PGM_RSRC2:TIDIG_COMP_CNT: 0
	.section	.text._ZN9rocsparseL19gebsrmvn_2xn_kernelILj128ELj15ELj4EfEEvi20rocsparse_direction_NS_24const_host_device_scalarIT2_EEPKiS6_PKS3_S8_S4_PS3_21rocsparse_index_base_b,"axG",@progbits,_ZN9rocsparseL19gebsrmvn_2xn_kernelILj128ELj15ELj4EfEEvi20rocsparse_direction_NS_24const_host_device_scalarIT2_EEPKiS6_PKS3_S8_S4_PS3_21rocsparse_index_base_b,comdat
	.globl	_ZN9rocsparseL19gebsrmvn_2xn_kernelILj128ELj15ELj4EfEEvi20rocsparse_direction_NS_24const_host_device_scalarIT2_EEPKiS6_PKS3_S8_S4_PS3_21rocsparse_index_base_b ; -- Begin function _ZN9rocsparseL19gebsrmvn_2xn_kernelILj128ELj15ELj4EfEEvi20rocsparse_direction_NS_24const_host_device_scalarIT2_EEPKiS6_PKS3_S8_S4_PS3_21rocsparse_index_base_b
	.p2align	8
	.type	_ZN9rocsparseL19gebsrmvn_2xn_kernelILj128ELj15ELj4EfEEvi20rocsparse_direction_NS_24const_host_device_scalarIT2_EEPKiS6_PKS3_S8_S4_PS3_21rocsparse_index_base_b,@function
_ZN9rocsparseL19gebsrmvn_2xn_kernelILj128ELj15ELj4EfEEvi20rocsparse_direction_NS_24const_host_device_scalarIT2_EEPKiS6_PKS3_S8_S4_PS3_21rocsparse_index_base_b: ; @_ZN9rocsparseL19gebsrmvn_2xn_kernelILj128ELj15ELj4EfEEvi20rocsparse_direction_NS_24const_host_device_scalarIT2_EEPKiS6_PKS3_S8_S4_PS3_21rocsparse_index_base_b
; %bb.0:
	s_clause 0x2
	s_load_b64 s[18:19], s[0:1], 0x40
	s_load_b64 s[16:17], s[0:1], 0x8
	;; [unrolled: 1-line block ×3, first 2 shown]
	s_waitcnt lgkmcnt(0)
	s_bitcmp1_b32 s19, 0
	s_cselect_b32 s2, -1, 0
	s_delay_alu instid0(SALU_CYCLE_1)
	s_and_b32 vcc_lo, exec_lo, s2
	s_xor_b32 s2, s2, -1
	s_cbranch_vccnz .LBB65_2
; %bb.1:
	s_load_b32 s16, s[16:17], 0x0
.LBB65_2:
	s_and_not1_b32 vcc_lo, exec_lo, s2
	s_cbranch_vccnz .LBB65_4
; %bb.3:
	s_load_b32 s12, s[12:13], 0x0
.LBB65_4:
	s_waitcnt lgkmcnt(0)
	v_cmp_eq_f32_e64 s2, s16, 0
	v_cmp_eq_f32_e64 s3, s12, 1.0
	s_delay_alu instid0(VALU_DEP_1) | instskip(NEXT) | instid1(SALU_CYCLE_1)
	s_and_b32 s2, s2, s3
	s_and_b32 vcc_lo, exec_lo, s2
	s_cbranch_vccnz .LBB65_23
; %bb.5:
	s_load_b64 s[2:3], s[0:1], 0x0
	v_lshrrev_b32_e32 v1, 2, v0
	s_delay_alu instid0(VALU_DEP_1) | instskip(SKIP_1) | instid1(VALU_DEP_1)
	v_lshl_or_b32 v1, s15, 5, v1
	s_waitcnt lgkmcnt(0)
	v_cmp_gt_i32_e32 vcc_lo, s2, v1
	s_and_saveexec_b32 s2, vcc_lo
	s_cbranch_execz .LBB65_23
; %bb.6:
	s_load_b256 s[4:11], s[0:1], 0x10
	v_ashrrev_i32_e32 v2, 31, v1
	v_and_b32_e32 v0, 3, v0
	s_cmp_lg_u32 s3, 0
	s_delay_alu instid0(VALU_DEP_2) | instskip(SKIP_1) | instid1(VALU_DEP_1)
	v_lshlrev_b64 v[2:3], 2, v[1:2]
	s_waitcnt lgkmcnt(0)
	v_add_co_u32 v2, vcc_lo, s4, v2
	s_delay_alu instid0(VALU_DEP_2) | instskip(SKIP_4) | instid1(VALU_DEP_2)
	v_add_co_ci_u32_e32 v3, vcc_lo, s5, v3, vcc_lo
	global_load_b64 v[2:3], v[2:3], off
	s_waitcnt vmcnt(0)
	v_subrev_nc_u32_e32 v2, s18, v2
	v_subrev_nc_u32_e32 v11, s18, v3
	v_add_nc_u32_e32 v2, v2, v0
	s_delay_alu instid0(VALU_DEP_1)
	v_cmp_lt_i32_e64 s2, v2, v11
	s_cbranch_scc0 .LBB65_12
; %bb.7:
	v_mov_b32_e32 v10, 0
	v_mov_b32_e32 v12, 0
	s_mov_b32 s3, 0
	s_and_saveexec_b32 s4, s2
	s_cbranch_execz .LBB65_11
; %bb.8:
	v_mad_u64_u32 v[3:4], null, v2, 30, 28
	v_dual_mov_b32 v6, 0 :: v_dual_mov_b32 v7, v2
	v_mov_b32_e32 v10, 0
	v_mov_b32_e32 v12, 0
	s_mov_b32 s5, 0
.LBB65_9:                               ; =>This Inner Loop Header: Depth=1
	s_delay_alu instid0(VALU_DEP_3) | instskip(NEXT) | instid1(VALU_DEP_1)
	v_ashrrev_i32_e32 v8, 31, v7
	v_lshlrev_b64 v[4:5], 2, v[7:8]
	v_add_nc_u32_e32 v7, 4, v7
	s_delay_alu instid0(VALU_DEP_2) | instskip(NEXT) | instid1(VALU_DEP_3)
	v_add_co_u32 v4, vcc_lo, s6, v4
	v_add_co_ci_u32_e32 v5, vcc_lo, s7, v5, vcc_lo
	global_load_b32 v8, v[4:5], off
	v_subrev_nc_u32_e32 v5, 28, v3
	v_mov_b32_e32 v4, v6
	s_delay_alu instid0(VALU_DEP_2) | instskip(SKIP_1) | instid1(VALU_DEP_3)
	v_lshlrev_b64 v[13:14], 2, v[5:6]
	v_subrev_nc_u32_e32 v5, 26, v3
	v_lshlrev_b64 v[15:16], 2, v[3:4]
	s_delay_alu instid0(VALU_DEP_2) | instskip(NEXT) | instid1(VALU_DEP_4)
	v_lshlrev_b64 v[4:5], 2, v[5:6]
	v_add_co_u32 v13, vcc_lo, s8, v13
	v_add_co_ci_u32_e32 v14, vcc_lo, s9, v14, vcc_lo
	s_delay_alu instid0(VALU_DEP_4)
	v_add_co_u32 v15, vcc_lo, s8, v15
	v_add_co_ci_u32_e32 v16, vcc_lo, s9, v16, vcc_lo
	v_add_co_u32 v4, vcc_lo, s8, v4
	v_add_co_ci_u32_e32 v5, vcc_lo, s9, v5, vcc_lo
	s_clause 0x1
	global_load_b64 v[13:14], v[13:14], off
	global_load_b64 v[17:18], v[4:5], off
	v_mov_b32_e32 v9, v6
	s_waitcnt vmcnt(2)
	v_subrev_nc_u32_e32 v4, s18, v8
	s_delay_alu instid0(VALU_DEP_1) | instskip(NEXT) | instid1(VALU_DEP_1)
	v_mul_lo_u32 v8, v4, 15
	v_lshlrev_b64 v[19:20], 2, v[8:9]
	v_add_nc_u32_e32 v5, 1, v8
	s_delay_alu instid0(VALU_DEP_2) | instskip(NEXT) | instid1(VALU_DEP_3)
	v_add_co_u32 v19, vcc_lo, s10, v19
	v_add_co_ci_u32_e32 v20, vcc_lo, s11, v20, vcc_lo
	s_delay_alu instid0(VALU_DEP_3)
	v_lshlrev_b64 v[21:22], 2, v[5:6]
	v_subrev_nc_u32_e32 v5, 24, v3
	global_load_b32 v47, v[19:20], off
	v_add_co_u32 v21, vcc_lo, s10, v21
	v_add_co_ci_u32_e32 v22, vcc_lo, s11, v22, vcc_lo
	v_lshlrev_b64 v[23:24], 2, v[5:6]
	global_load_b32 v48, v[21:22], off
	v_add_nc_u32_e32 v5, 2, v8
	v_add_co_u32 v21, vcc_lo, s8, v23
	v_add_co_ci_u32_e32 v22, vcc_lo, s9, v24, vcc_lo
	global_load_b64 v[21:22], v[21:22], off
	s_waitcnt vmcnt(2)
	v_fmac_f32_e32 v12, v14, v47
	v_lshlrev_b64 v[19:20], 2, v[5:6]
	v_subrev_nc_u32_e32 v5, 22, v3
	v_fmac_f32_e32 v10, v13, v47
	s_delay_alu instid0(VALU_DEP_2) | instskip(NEXT) | instid1(VALU_DEP_4)
	v_lshlrev_b64 v[23:24], 2, v[5:6]
	v_add_co_u32 v19, vcc_lo, s10, v19
	v_add_co_ci_u32_e32 v20, vcc_lo, s11, v20, vcc_lo
	s_waitcnt vmcnt(1)
	v_fmac_f32_e32 v10, v17, v48
	v_fmac_f32_e32 v12, v18, v48
	global_load_b32 v49, v[19:20], off
	v_add_nc_u32_e32 v5, 3, v8
	v_add_co_u32 v19, vcc_lo, s8, v23
	v_add_co_ci_u32_e32 v20, vcc_lo, s9, v24, vcc_lo
	s_delay_alu instid0(VALU_DEP_3) | instskip(SKIP_1) | instid1(VALU_DEP_1)
	v_lshlrev_b64 v[25:26], 2, v[5:6]
	v_subrev_nc_u32_e32 v5, 20, v3
	v_lshlrev_b64 v[23:24], 2, v[5:6]
	s_delay_alu instid0(VALU_DEP_3) | instskip(NEXT) | instid1(VALU_DEP_4)
	v_add_co_u32 v25, vcc_lo, s10, v25
	v_add_co_ci_u32_e32 v26, vcc_lo, s11, v26, vcc_lo
	s_delay_alu instid0(VALU_DEP_3) | instskip(NEXT) | instid1(VALU_DEP_4)
	v_add_co_u32 v23, vcc_lo, s8, v23
	v_add_co_ci_u32_e32 v24, vcc_lo, s9, v24, vcc_lo
	global_load_b32 v50, v[25:26], off
	s_clause 0x1
	global_load_b64 v[23:24], v[23:24], off
	global_load_b64 v[19:20], v[19:20], off
	s_waitcnt vmcnt(3)
	v_dual_fmac_f32 v12, v22, v49 :: v_dual_add_nc_u32 v5, 4, v8
	s_delay_alu instid0(VALU_DEP_1) | instskip(SKIP_2) | instid1(VALU_DEP_3)
	v_lshlrev_b64 v[27:28], 2, v[5:6]
	v_subrev_nc_u32_e32 v5, 18, v3
	v_fmac_f32_e32 v10, v21, v49
	v_add_co_u32 v27, vcc_lo, s10, v27
	s_delay_alu instid0(VALU_DEP_4) | instskip(SKIP_3) | instid1(VALU_DEP_2)
	v_add_co_ci_u32_e32 v28, vcc_lo, s11, v28, vcc_lo
	global_load_b32 v51, v[27:28], off
	v_lshlrev_b64 v[25:26], 2, v[5:6]
	v_add_nc_u32_e32 v5, 5, v8
	v_add_co_u32 v25, vcc_lo, s8, v25
	s_delay_alu instid0(VALU_DEP_3)
	v_add_co_ci_u32_e32 v26, vcc_lo, s9, v26, vcc_lo
	s_waitcnt vmcnt(1)
	v_fmac_f32_e32 v10, v19, v50
	v_lshlrev_b64 v[29:30], 2, v[5:6]
	global_load_b64 v[25:26], v[25:26], off
	v_dual_fmac_f32 v12, v20, v50 :: v_dual_add_nc_u32 v5, -16, v3
	v_add_co_u32 v29, vcc_lo, s10, v29
	v_add_co_ci_u32_e32 v30, vcc_lo, s11, v30, vcc_lo
	s_delay_alu instid0(VALU_DEP_3)
	v_lshlrev_b64 v[27:28], 2, v[5:6]
	v_add_nc_u32_e32 v5, 6, v8
	global_load_b32 v52, v[29:30], off
	v_add_co_u32 v27, vcc_lo, s8, v27
	v_add_co_ci_u32_e32 v28, vcc_lo, s9, v28, vcc_lo
	global_load_b64 v[27:28], v[27:28], off
	s_waitcnt vmcnt(3)
	v_fmac_f32_e32 v10, v23, v51
	v_lshlrev_b64 v[31:32], 2, v[5:6]
	v_fmac_f32_e32 v12, v24, v51
	s_delay_alu instid0(VALU_DEP_2) | instskip(NEXT) | instid1(VALU_DEP_3)
	v_add_co_u32 v31, vcc_lo, s10, v31
	v_add_co_ci_u32_e32 v32, vcc_lo, s11, v32, vcc_lo
	global_load_b32 v53, v[31:32], off
	s_waitcnt vmcnt(2)
	v_dual_fmac_f32 v10, v25, v52 :: v_dual_add_nc_u32 v5, -14, v3
	s_delay_alu instid0(VALU_DEP_1) | instskip(SKIP_2) | instid1(VALU_DEP_2)
	v_lshlrev_b64 v[29:30], 2, v[5:6]
	v_add_nc_u32_e32 v5, 7, v8
	v_fmac_f32_e32 v12, v26, v52
	v_lshlrev_b64 v[33:34], 2, v[5:6]
	s_delay_alu instid0(VALU_DEP_4) | instskip(SKIP_2) | instid1(VALU_DEP_4)
	v_add_co_u32 v29, vcc_lo, s8, v29
	v_add_co_ci_u32_e32 v30, vcc_lo, s9, v30, vcc_lo
	v_add_nc_u32_e32 v5, -12, v3
	v_add_co_u32 v33, vcc_lo, s10, v33
	v_add_co_ci_u32_e32 v34, vcc_lo, s11, v34, vcc_lo
	global_load_b64 v[29:30], v[29:30], off
	v_lshlrev_b64 v[31:32], 2, v[5:6]
	v_add_nc_u32_e32 v5, 8, v8
	global_load_b32 v54, v[33:34], off
	v_add_co_u32 v31, vcc_lo, s8, v31
	v_add_co_ci_u32_e32 v32, vcc_lo, s9, v32, vcc_lo
	global_load_b64 v[31:32], v[31:32], off
	s_waitcnt vmcnt(3)
	v_fmac_f32_e32 v10, v27, v53
	v_lshlrev_b64 v[35:36], 2, v[5:6]
	v_dual_fmac_f32 v12, v28, v53 :: v_dual_add_nc_u32 v5, -10, v3
	s_delay_alu instid0(VALU_DEP_2) | instskip(NEXT) | instid1(VALU_DEP_3)
	v_add_co_u32 v35, vcc_lo, s10, v35
	v_add_co_ci_u32_e32 v36, vcc_lo, s11, v36, vcc_lo
	global_load_b32 v55, v[35:36], off
	v_lshlrev_b64 v[33:34], 2, v[5:6]
	v_add_nc_u32_e32 v5, 9, v8
	s_delay_alu instid0(VALU_DEP_2) | instskip(NEXT) | instid1(VALU_DEP_3)
	v_add_co_u32 v33, vcc_lo, s8, v33
	v_add_co_ci_u32_e32 v34, vcc_lo, s9, v34, vcc_lo
	global_load_b64 v[33:34], v[33:34], off
	s_waitcnt vmcnt(3)
	v_fmac_f32_e32 v10, v29, v54
	v_lshlrev_b64 v[37:38], 2, v[5:6]
	v_dual_fmac_f32 v12, v30, v54 :: v_dual_add_nc_u32 v5, -8, v3
	s_delay_alu instid0(VALU_DEP_2) | instskip(NEXT) | instid1(VALU_DEP_3)
	v_add_co_u32 v37, vcc_lo, s10, v37
	v_add_co_ci_u32_e32 v38, vcc_lo, s11, v38, vcc_lo
	s_delay_alu instid0(VALU_DEP_3)
	v_lshlrev_b64 v[35:36], 2, v[5:6]
	v_add_nc_u32_e32 v5, 10, v8
	global_load_b32 v56, v[37:38], off
	v_add_co_u32 v35, vcc_lo, s8, v35
	v_add_co_ci_u32_e32 v36, vcc_lo, s9, v36, vcc_lo
	global_load_b64 v[35:36], v[35:36], off
	s_waitcnt vmcnt(3)
	v_fmac_f32_e32 v10, v31, v55
	v_lshlrev_b64 v[39:40], 2, v[5:6]
	v_fmac_f32_e32 v12, v32, v55
	s_delay_alu instid0(VALU_DEP_2) | instskip(NEXT) | instid1(VALU_DEP_3)
	v_add_co_u32 v39, vcc_lo, s10, v39
	v_add_co_ci_u32_e32 v40, vcc_lo, s11, v40, vcc_lo
	global_load_b32 v57, v[39:40], off
	s_waitcnt vmcnt(2)
	v_dual_fmac_f32 v10, v33, v56 :: v_dual_add_nc_u32 v5, -6, v3
	s_delay_alu instid0(VALU_DEP_1) | instskip(SKIP_2) | instid1(VALU_DEP_2)
	v_lshlrev_b64 v[37:38], 2, v[5:6]
	v_add_nc_u32_e32 v5, 11, v8
	v_fmac_f32_e32 v12, v34, v56
	v_lshlrev_b64 v[41:42], 2, v[5:6]
	s_delay_alu instid0(VALU_DEP_4) | instskip(SKIP_2) | instid1(VALU_DEP_4)
	v_add_co_u32 v37, vcc_lo, s8, v37
	v_add_co_ci_u32_e32 v38, vcc_lo, s9, v38, vcc_lo
	v_add_nc_u32_e32 v5, -4, v3
	v_add_co_u32 v41, vcc_lo, s10, v41
	v_add_co_ci_u32_e32 v42, vcc_lo, s11, v42, vcc_lo
	global_load_b64 v[37:38], v[37:38], off
	v_lshlrev_b64 v[39:40], 2, v[5:6]
	v_add_nc_u32_e32 v5, 12, v8
	global_load_b32 v58, v[41:42], off
	v_add_co_u32 v39, vcc_lo, s8, v39
	v_add_co_ci_u32_e32 v40, vcc_lo, s9, v40, vcc_lo
	global_load_b64 v[39:40], v[39:40], off
	s_waitcnt vmcnt(3)
	v_fmac_f32_e32 v10, v35, v57
	v_lshlrev_b64 v[43:44], 2, v[5:6]
	v_dual_fmac_f32 v12, v36, v57 :: v_dual_add_nc_u32 v5, -2, v3
	v_add_nc_u32_e32 v3, 0x78, v3
	s_delay_alu instid0(VALU_DEP_3) | instskip(NEXT) | instid1(VALU_DEP_4)
	v_add_co_u32 v43, vcc_lo, s10, v43
	v_add_co_ci_u32_e32 v44, vcc_lo, s11, v44, vcc_lo
	global_load_b32 v43, v[43:44], off
	v_lshlrev_b64 v[41:42], 2, v[5:6]
	s_waitcnt vmcnt(2)
	v_dual_fmac_f32 v10, v37, v58 :: v_dual_add_nc_u32 v5, 13, v8
	s_delay_alu instid0(VALU_DEP_1) | instskip(SKIP_1) | instid1(VALU_DEP_4)
	v_lshlrev_b64 v[45:46], 2, v[5:6]
	v_dual_fmac_f32 v12, v38, v58 :: v_dual_add_nc_u32 v5, 14, v8
	v_add_co_u32 v8, vcc_lo, s8, v41
	v_add_co_ci_u32_e32 v9, vcc_lo, s9, v42, vcc_lo
	s_delay_alu instid0(VALU_DEP_3)
	v_lshlrev_b64 v[4:5], 2, v[5:6]
	v_add_co_u32 v41, vcc_lo, s10, v45
	v_add_co_ci_u32_e32 v42, vcc_lo, s11, v46, vcc_lo
	global_load_b64 v[8:9], v[8:9], off
	global_load_b32 v41, v[41:42], off
	v_add_co_u32 v4, vcc_lo, s10, v4
	v_add_co_ci_u32_e32 v5, vcc_lo, s11, v5, vcc_lo
	global_load_b64 v[15:16], v[15:16], off
	global_load_b32 v4, v[4:5], off
	v_cmp_ge_i32_e32 vcc_lo, v7, v11
	s_or_b32 s5, vcc_lo, s5
	s_waitcnt vmcnt(4)
	v_fmac_f32_e32 v10, v39, v43
	v_fmac_f32_e32 v12, v40, v43
	s_waitcnt vmcnt(2)
	s_delay_alu instid0(VALU_DEP_2) | instskip(NEXT) | instid1(VALU_DEP_2)
	v_fmac_f32_e32 v10, v8, v41
	v_fmac_f32_e32 v12, v9, v41
	s_waitcnt vmcnt(0)
	s_delay_alu instid0(VALU_DEP_2) | instskip(NEXT) | instid1(VALU_DEP_2)
	v_fmac_f32_e32 v10, v15, v4
	v_fmac_f32_e32 v12, v16, v4
	s_and_not1_b32 exec_lo, exec_lo, s5
	s_cbranch_execnz .LBB65_9
; %bb.10:
	s_or_b32 exec_lo, exec_lo, s5
.LBB65_11:
	s_delay_alu instid0(SALU_CYCLE_1) | instskip(NEXT) | instid1(SALU_CYCLE_1)
	s_or_b32 exec_lo, exec_lo, s4
	s_and_not1_b32 vcc_lo, exec_lo, s3
	s_cbranch_vccz .LBB65_13
	s_branch .LBB65_18
.LBB65_12:
                                        ; implicit-def: $vgpr10
                                        ; implicit-def: $vgpr12
.LBB65_13:
	v_mov_b32_e32 v10, 0
	v_mov_b32_e32 v12, 0
	s_delay_alu instid0(VALU_DEP_3)
	s_and_saveexec_b32 s3, s2
	s_cbranch_execz .LBB65_17
; %bb.14:
	v_mad_u64_u32 v[4:5], null, v2, 30, 29
	v_dual_mov_b32 v7, 0 :: v_dual_mov_b32 v10, 0
	v_mov_b32_e32 v12, 0
	s_mov_b32 s2, 0
.LBB65_15:                              ; =>This Inner Loop Header: Depth=1
	v_ashrrev_i32_e32 v3, 31, v2
	s_delay_alu instid0(VALU_DEP_3) | instskip(NEXT) | instid1(VALU_DEP_2)
	v_dual_mov_b32 v14, v7 :: v_dual_add_nc_u32 v13, -14, v4
	v_lshlrev_b64 v[5:6], 2, v[2:3]
	v_add_nc_u32_e32 v2, 4, v2
	s_delay_alu instid0(VALU_DEP_3) | instskip(NEXT) | instid1(VALU_DEP_3)
	v_lshlrev_b64 v[13:14], 2, v[13:14]
	v_add_co_u32 v5, vcc_lo, s6, v5
	s_delay_alu instid0(VALU_DEP_4) | instskip(SKIP_3) | instid1(VALU_DEP_2)
	v_add_co_ci_u32_e32 v6, vcc_lo, s7, v6, vcc_lo
	global_load_b32 v3, v[5:6], off
	v_subrev_nc_u32_e32 v6, 29, v4
	v_mov_b32_e32 v5, v7
	v_lshlrev_b64 v[15:16], 2, v[6:7]
	s_delay_alu instid0(VALU_DEP_2) | instskip(NEXT) | instid1(VALU_DEP_2)
	v_lshlrev_b64 v[5:6], 2, v[4:5]
	v_add_co_u32 v15, vcc_lo, s8, v15
	s_delay_alu instid0(VALU_DEP_3)
	v_add_co_ci_u32_e32 v16, vcc_lo, s9, v16, vcc_lo
	v_add_co_u32 v13, vcc_lo, s8, v13
	v_add_co_ci_u32_e32 v14, vcc_lo, s9, v14, vcc_lo
	v_add_co_u32 v17, vcc_lo, s8, v5
	v_add_co_ci_u32_e32 v18, vcc_lo, s9, v6, vcc_lo
	s_clause 0x1
	global_load_b64 v[15:16], v[15:16], off
	global_load_b32 v23, v[13:14], off
	s_waitcnt vmcnt(2)
	v_subrev_nc_u32_e32 v3, s18, v3
	s_delay_alu instid0(VALU_DEP_1) | instskip(NEXT) | instid1(VALU_DEP_1)
	v_mul_lo_u32 v8, v3, 15
	v_dual_mov_b32 v9, v7 :: v_dual_add_nc_u32 v6, 1, v8
	s_delay_alu instid0(VALU_DEP_1) | instskip(NEXT) | instid1(VALU_DEP_2)
	v_lshlrev_b64 v[13:14], 2, v[8:9]
	v_lshlrev_b64 v[19:20], 2, v[6:7]
	v_add_nc_u32_e32 v6, -13, v4
	s_delay_alu instid0(VALU_DEP_3) | instskip(NEXT) | instid1(VALU_DEP_4)
	v_add_co_u32 v13, vcc_lo, s10, v13
	v_add_co_ci_u32_e32 v14, vcc_lo, s11, v14, vcc_lo
	s_delay_alu instid0(VALU_DEP_3)
	v_lshlrev_b64 v[21:22], 2, v[6:7]
	v_subrev_nc_u32_e32 v6, 27, v4
	global_load_b32 v3, v[13:14], off
	v_add_co_u32 v13, vcc_lo, s10, v19
	v_add_co_ci_u32_e32 v14, vcc_lo, s11, v20, vcc_lo
	v_lshlrev_b64 v[19:20], 2, v[6:7]
	v_add_nc_u32_e32 v6, 2, v8
	v_add_co_u32 v21, vcc_lo, s8, v21
	v_add_co_ci_u32_e32 v22, vcc_lo, s9, v22, vcc_lo
	global_load_b32 v24, v[13:14], off
	v_lshlrev_b64 v[13:14], 2, v[6:7]
	v_add_co_u32 v19, vcc_lo, s8, v19
	v_add_nc_u32_e32 v6, -12, v4
	v_add_co_ci_u32_e32 v20, vcc_lo, s9, v20, vcc_lo
	s_delay_alu instid0(VALU_DEP_4)
	v_add_co_u32 v13, vcc_lo, s10, v13
	s_clause 0x1
	global_load_b32 v25, v[21:22], off
	global_load_b32 v26, v[19:20], off
	v_lshlrev_b64 v[21:22], 2, v[6:7]
	v_add_co_ci_u32_e32 v14, vcc_lo, s11, v14, vcc_lo
	v_subrev_nc_u32_e32 v6, 26, v4
	global_load_b32 v27, v[13:14], off
	v_add_co_u32 v13, vcc_lo, s8, v21
	v_add_co_ci_u32_e32 v14, vcc_lo, s9, v22, vcc_lo
	global_load_b32 v28, v[13:14], off
	v_lshlrev_b64 v[19:20], 2, v[6:7]
	v_add_nc_u32_e32 v6, 3, v8
	s_delay_alu instid0(VALU_DEP_1) | instskip(SKIP_1) | instid1(VALU_DEP_4)
	v_lshlrev_b64 v[21:22], 2, v[6:7]
	v_add_nc_u32_e32 v6, -11, v4
	v_add_co_u32 v19, vcc_lo, s8, v19
	v_add_co_ci_u32_e32 v20, vcc_lo, s9, v20, vcc_lo
	s_delay_alu instid0(VALU_DEP_3)
	v_lshlrev_b64 v[13:14], 2, v[6:7]
	v_subrev_nc_u32_e32 v6, 25, v4
	global_load_b32 v29, v[19:20], off
	v_add_co_u32 v19, vcc_lo, s10, v21
	v_add_co_ci_u32_e32 v20, vcc_lo, s11, v22, vcc_lo
	v_lshlrev_b64 v[21:22], 2, v[6:7]
	v_add_nc_u32_e32 v6, 4, v8
	v_add_co_u32 v13, vcc_lo, s8, v13
	v_add_co_ci_u32_e32 v14, vcc_lo, s9, v14, vcc_lo
	global_load_b32 v30, v[19:20], off
	v_lshlrev_b64 v[19:20], 2, v[6:7]
	v_add_nc_u32_e32 v6, -10, v4
	global_load_b32 v31, v[13:14], off
	v_add_co_u32 v13, vcc_lo, s8, v21
	v_add_co_ci_u32_e32 v14, vcc_lo, s9, v22, vcc_lo
	v_lshlrev_b64 v[21:22], 2, v[6:7]
	v_subrev_nc_u32_e32 v6, 24, v4
	v_add_co_u32 v19, vcc_lo, s10, v19
	v_add_co_ci_u32_e32 v20, vcc_lo, s11, v20, vcc_lo
	global_load_b32 v32, v[13:14], off
	v_lshlrev_b64 v[13:14], 2, v[6:7]
	v_add_nc_u32_e32 v6, 5, v8
	global_load_b32 v33, v[19:20], off
	v_add_co_u32 v19, vcc_lo, s8, v21
	v_add_co_ci_u32_e32 v20, vcc_lo, s9, v22, vcc_lo
	v_add_co_u32 v13, vcc_lo, s8, v13
	v_lshlrev_b64 v[21:22], 2, v[6:7]
	v_add_nc_u32_e32 v6, -9, v4
	v_add_co_ci_u32_e32 v14, vcc_lo, s9, v14, vcc_lo
	s_clause 0x1
	global_load_b32 v34, v[19:20], off
	global_load_b32 v35, v[13:14], off
	v_lshlrev_b64 v[19:20], 2, v[6:7]
	v_subrev_nc_u32_e32 v6, 23, v4
	v_add_co_u32 v13, vcc_lo, s10, v21
	v_add_co_ci_u32_e32 v14, vcc_lo, s11, v22, vcc_lo
	s_delay_alu instid0(VALU_DEP_3)
	v_lshlrev_b64 v[21:22], 2, v[6:7]
	v_add_nc_u32_e32 v6, 6, v8
	v_add_co_u32 v19, vcc_lo, s8, v19
	v_add_co_ci_u32_e32 v20, vcc_lo, s9, v20, vcc_lo
	global_load_b32 v36, v[13:14], off
	v_lshlrev_b64 v[13:14], 2, v[6:7]
	v_add_nc_u32_e32 v6, -8, v4
	global_load_b32 v37, v[19:20], off
	v_add_co_u32 v19, vcc_lo, s8, v21
	v_add_co_ci_u32_e32 v20, vcc_lo, s9, v22, vcc_lo
	v_add_co_u32 v13, vcc_lo, s10, v13
	v_lshlrev_b64 v[21:22], 2, v[6:7]
	v_add_co_ci_u32_e32 v14, vcc_lo, s11, v14, vcc_lo
	v_subrev_nc_u32_e32 v6, 22, v4
	global_load_b32 v38, v[19:20], off
	global_load_b32 v39, v[13:14], off
	v_add_co_u32 v13, vcc_lo, s8, v21
	v_add_co_ci_u32_e32 v14, vcc_lo, s9, v22, vcc_lo
	global_load_b32 v40, v[13:14], off
	v_lshlrev_b64 v[19:20], 2, v[6:7]
	v_add_nc_u32_e32 v6, 7, v8
	s_delay_alu instid0(VALU_DEP_1) | instskip(SKIP_1) | instid1(VALU_DEP_4)
	v_lshlrev_b64 v[21:22], 2, v[6:7]
	v_add_nc_u32_e32 v6, -7, v4
	v_add_co_u32 v19, vcc_lo, s8, v19
	v_add_co_ci_u32_e32 v20, vcc_lo, s9, v20, vcc_lo
	s_delay_alu instid0(VALU_DEP_3)
	v_lshlrev_b64 v[13:14], 2, v[6:7]
	v_subrev_nc_u32_e32 v6, 21, v4
	global_load_b32 v41, v[19:20], off
	v_add_co_u32 v19, vcc_lo, s10, v21
	v_add_co_ci_u32_e32 v20, vcc_lo, s11, v22, vcc_lo
	v_lshlrev_b64 v[21:22], 2, v[6:7]
	v_add_nc_u32_e32 v6, 8, v8
	v_add_co_u32 v13, vcc_lo, s8, v13
	v_add_co_ci_u32_e32 v14, vcc_lo, s9, v14, vcc_lo
	global_load_b32 v42, v[19:20], off
	v_lshlrev_b64 v[19:20], 2, v[6:7]
	v_add_nc_u32_e32 v6, -6, v4
	global_load_b32 v43, v[13:14], off
	v_add_co_u32 v13, vcc_lo, s8, v21
	v_add_co_ci_u32_e32 v14, vcc_lo, s9, v22, vcc_lo
	v_lshlrev_b64 v[21:22], 2, v[6:7]
	v_subrev_nc_u32_e32 v6, 20, v4
	v_add_co_u32 v19, vcc_lo, s10, v19
	v_add_co_ci_u32_e32 v20, vcc_lo, s11, v20, vcc_lo
	global_load_b32 v44, v[13:14], off
	v_lshlrev_b64 v[13:14], 2, v[6:7]
	v_add_nc_u32_e32 v6, 9, v8
	global_load_b32 v45, v[19:20], off
	v_add_co_u32 v19, vcc_lo, s8, v21
	v_add_co_ci_u32_e32 v20, vcc_lo, s9, v22, vcc_lo
	v_add_co_u32 v13, vcc_lo, s8, v13
	v_lshlrev_b64 v[21:22], 2, v[6:7]
	v_add_nc_u32_e32 v6, -5, v4
	v_add_co_ci_u32_e32 v14, vcc_lo, s9, v14, vcc_lo
	s_clause 0x1
	global_load_b32 v46, v[19:20], off
	global_load_b32 v47, v[13:14], off
	v_lshlrev_b64 v[19:20], 2, v[6:7]
	v_subrev_nc_u32_e32 v6, 19, v4
	v_add_co_u32 v13, vcc_lo, s10, v21
	v_add_co_ci_u32_e32 v14, vcc_lo, s11, v22, vcc_lo
	s_delay_alu instid0(VALU_DEP_3)
	v_lshlrev_b64 v[21:22], 2, v[6:7]
	v_add_nc_u32_e32 v6, 10, v8
	v_add_co_u32 v19, vcc_lo, s8, v19
	v_add_co_ci_u32_e32 v20, vcc_lo, s9, v20, vcc_lo
	global_load_b32 v48, v[13:14], off
	v_lshlrev_b64 v[13:14], 2, v[6:7]
	v_add_nc_u32_e32 v6, -4, v4
	global_load_b32 v49, v[19:20], off
	v_add_co_u32 v19, vcc_lo, s8, v21
	v_add_co_ci_u32_e32 v20, vcc_lo, s9, v22, vcc_lo
	v_add_co_u32 v13, vcc_lo, s10, v13
	v_lshlrev_b64 v[21:22], 2, v[6:7]
	v_add_co_ci_u32_e32 v14, vcc_lo, s11, v14, vcc_lo
	v_subrev_nc_u32_e32 v6, 18, v4
	global_load_b32 v50, v[19:20], off
	global_load_b32 v51, v[13:14], off
	v_add_co_u32 v13, vcc_lo, s8, v21
	v_add_co_ci_u32_e32 v14, vcc_lo, s9, v22, vcc_lo
	global_load_b32 v52, v[13:14], off
	v_lshlrev_b64 v[19:20], 2, v[6:7]
	v_add_nc_u32_e32 v6, 11, v8
	s_delay_alu instid0(VALU_DEP_1) | instskip(SKIP_1) | instid1(VALU_DEP_4)
	v_lshlrev_b64 v[21:22], 2, v[6:7]
	v_add_nc_u32_e32 v6, -3, v4
	v_add_co_u32 v19, vcc_lo, s8, v19
	v_add_co_ci_u32_e32 v20, vcc_lo, s9, v20, vcc_lo
	s_delay_alu instid0(VALU_DEP_3)
	v_lshlrev_b64 v[13:14], 2, v[6:7]
	v_subrev_nc_u32_e32 v6, 17, v4
	global_load_b32 v53, v[19:20], off
	v_add_co_u32 v19, vcc_lo, s10, v21
	v_add_co_ci_u32_e32 v20, vcc_lo, s11, v22, vcc_lo
	v_lshlrev_b64 v[21:22], 2, v[6:7]
	v_add_nc_u32_e32 v6, 12, v8
	v_add_co_u32 v13, vcc_lo, s8, v13
	v_add_co_ci_u32_e32 v14, vcc_lo, s9, v14, vcc_lo
	global_load_b32 v54, v[19:20], off
	v_lshlrev_b64 v[19:20], 2, v[6:7]
	v_add_nc_u32_e32 v6, -2, v4
	global_load_b32 v55, v[13:14], off
	v_add_co_u32 v13, vcc_lo, s8, v21
	v_add_co_ci_u32_e32 v14, vcc_lo, s9, v22, vcc_lo
	v_lshlrev_b64 v[21:22], 2, v[6:7]
	v_add_nc_u32_e32 v6, -16, v4
	v_add_co_u32 v19, vcc_lo, s10, v19
	v_add_co_ci_u32_e32 v20, vcc_lo, s11, v20, vcc_lo
	global_load_b32 v56, v[13:14], off
	v_lshlrev_b64 v[13:14], 2, v[6:7]
	v_add_nc_u32_e32 v6, 13, v8
	global_load_b32 v57, v[19:20], off
	v_add_co_u32 v19, vcc_lo, s8, v21
	v_add_co_ci_u32_e32 v20, vcc_lo, s9, v22, vcc_lo
	v_add_co_u32 v13, vcc_lo, s8, v13
	v_lshlrev_b64 v[21:22], 2, v[6:7]
	v_add_nc_u32_e32 v6, -1, v4
	v_add_co_ci_u32_e32 v14, vcc_lo, s9, v14, vcc_lo
	s_clause 0x1
	global_load_b32 v58, v[19:20], off
	global_load_b32 v59, v[13:14], off
	v_lshlrev_b64 v[19:20], 2, v[6:7]
	v_add_nc_u32_e32 v6, -15, v4
	v_add_co_u32 v13, vcc_lo, s10, v21
	v_add_co_ci_u32_e32 v14, vcc_lo, s11, v22, vcc_lo
	s_delay_alu instid0(VALU_DEP_3) | instskip(SKIP_3) | instid1(VALU_DEP_3)
	v_lshlrev_b64 v[21:22], 2, v[6:7]
	v_add_nc_u32_e32 v6, 14, v8
	v_add_co_u32 v8, vcc_lo, s8, v19
	v_add_co_ci_u32_e32 v9, vcc_lo, s9, v20, vcc_lo
	v_lshlrev_b64 v[5:6], 2, v[6:7]
	global_load_b32 v13, v[13:14], off
	v_add_nc_u32_e32 v4, 0x78, v4
	global_load_b32 v14, v[8:9], off
	v_add_co_u32 v8, vcc_lo, s8, v21
	v_add_co_ci_u32_e32 v9, vcc_lo, s9, v22, vcc_lo
	v_add_co_u32 v5, vcc_lo, s10, v5
	v_add_co_ci_u32_e32 v6, vcc_lo, s11, v6, vcc_lo
	s_clause 0x1
	global_load_b32 v17, v[17:18], off
	global_load_b32 v8, v[8:9], off
	;; [unrolled: 1-line block ×3, first 2 shown]
	v_cmp_ge_i32_e32 vcc_lo, v2, v11
	s_or_b32 s2, vcc_lo, s2
	s_waitcnt vmcnt(41)
	v_fmac_f32_e32 v10, v15, v3
	v_fmac_f32_e32 v12, v23, v3
	s_waitcnt vmcnt(40)
	s_delay_alu instid0(VALU_DEP_2) | instskip(SKIP_1) | instid1(VALU_DEP_2)
	v_fmac_f32_e32 v10, v16, v24
	s_waitcnt vmcnt(39)
	v_fmac_f32_e32 v12, v25, v24
	s_waitcnt vmcnt(37)
	s_delay_alu instid0(VALU_DEP_2) | instskip(SKIP_1) | instid1(VALU_DEP_2)
	v_fmac_f32_e32 v10, v26, v27
	s_waitcnt vmcnt(36)
	;; [unrolled: 5-line block ×13, first 2 shown]
	v_fmac_f32_e32 v12, v14, v13
	s_waitcnt vmcnt(0)
	s_delay_alu instid0(VALU_DEP_2) | instskip(NEXT) | instid1(VALU_DEP_2)
	v_fmac_f32_e32 v10, v8, v5
	v_fmac_f32_e32 v12, v17, v5
	s_and_not1_b32 exec_lo, exec_lo, s2
	s_cbranch_execnz .LBB65_15
; %bb.16:
	s_or_b32 exec_lo, exec_lo, s2
.LBB65_17:
	s_delay_alu instid0(SALU_CYCLE_1)
	s_or_b32 exec_lo, exec_lo, s3
.LBB65_18:
	v_mbcnt_lo_u32_b32 v2, -1, 0
	s_mov_b32 s2, -1
	s_delay_alu instid0(VALU_DEP_1) | instskip(SKIP_1) | instid1(VALU_DEP_2)
	v_xor_b32_e32 v3, 2, v2
	v_xor_b32_e32 v5, 1, v2
	v_cmp_gt_i32_e32 vcc_lo, 32, v3
	v_cndmask_b32_e32 v3, v2, v3, vcc_lo
	s_delay_alu instid0(VALU_DEP_3) | instskip(NEXT) | instid1(VALU_DEP_2)
	v_cmp_gt_i32_e32 vcc_lo, 32, v5
	v_dual_cndmask_b32 v2, v2, v5 :: v_dual_lshlrev_b32 v3, 2, v3
	v_cmp_eq_u32_e32 vcc_lo, 3, v0
	ds_bpermute_b32 v4, v3, v10
	ds_bpermute_b32 v3, v3, v12
	s_waitcnt lgkmcnt(1)
	v_dual_add_f32 v2, v10, v4 :: v_dual_lshlrev_b32 v5, 2, v2
	s_waitcnt lgkmcnt(0)
	v_add_f32_e32 v3, v12, v3
	ds_bpermute_b32 v4, v5, v2
	ds_bpermute_b32 v5, v5, v3
	s_and_b32 exec_lo, exec_lo, vcc_lo
	s_cbranch_execz .LBB65_23
; %bb.19:
	s_load_b64 s[0:1], s[0:1], 0x38
	s_waitcnt lgkmcnt(0)
	v_dual_add_f32 v0, v2, v4 :: v_dual_add_f32 v3, v3, v5
	v_cmp_eq_f32_e64 s3, s12, 0
	s_delay_alu instid0(VALU_DEP_2) | instskip(SKIP_1) | instid1(VALU_DEP_3)
	v_dual_mul_f32 v2, s16, v0 :: v_dual_mul_f32 v3, s16, v3
	v_lshlrev_b32_e32 v0, 1, v1
	s_and_b32 vcc_lo, exec_lo, s3
	s_cbranch_vccz .LBB65_21
; %bb.20:
	s_delay_alu instid0(VALU_DEP_1) | instskip(SKIP_1) | instid1(VALU_DEP_1)
	v_ashrrev_i32_e32 v1, 31, v0
	s_mov_b32 s2, 0
	v_lshlrev_b64 v[4:5], 2, v[0:1]
	s_delay_alu instid0(VALU_DEP_1) | instskip(NEXT) | instid1(VALU_DEP_2)
	v_add_co_u32 v4, vcc_lo, s0, v4
	v_add_co_ci_u32_e32 v5, vcc_lo, s1, v5, vcc_lo
	global_store_b64 v[4:5], v[2:3], off
.LBB65_21:
	s_and_not1_b32 vcc_lo, exec_lo, s2
	s_cbranch_vccnz .LBB65_23
; %bb.22:
	v_ashrrev_i32_e32 v1, 31, v0
	s_delay_alu instid0(VALU_DEP_1) | instskip(NEXT) | instid1(VALU_DEP_1)
	v_lshlrev_b64 v[0:1], 2, v[0:1]
	v_add_co_u32 v0, vcc_lo, s0, v0
	s_delay_alu instid0(VALU_DEP_2)
	v_add_co_ci_u32_e32 v1, vcc_lo, s1, v1, vcc_lo
	global_load_b64 v[4:5], v[0:1], off
	s_waitcnt vmcnt(0)
	v_dual_fmac_f32 v2, s12, v4 :: v_dual_fmac_f32 v3, s12, v5
	global_store_b64 v[0:1], v[2:3], off
.LBB65_23:
	s_nop 0
	s_sendmsg sendmsg(MSG_DEALLOC_VGPRS)
	s_endpgm
	.section	.rodata,"a",@progbits
	.p2align	6, 0x0
	.amdhsa_kernel _ZN9rocsparseL19gebsrmvn_2xn_kernelILj128ELj15ELj4EfEEvi20rocsparse_direction_NS_24const_host_device_scalarIT2_EEPKiS6_PKS3_S8_S4_PS3_21rocsparse_index_base_b
		.amdhsa_group_segment_fixed_size 0
		.amdhsa_private_segment_fixed_size 0
		.amdhsa_kernarg_size 72
		.amdhsa_user_sgpr_count 15
		.amdhsa_user_sgpr_dispatch_ptr 0
		.amdhsa_user_sgpr_queue_ptr 0
		.amdhsa_user_sgpr_kernarg_segment_ptr 1
		.amdhsa_user_sgpr_dispatch_id 0
		.amdhsa_user_sgpr_private_segment_size 0
		.amdhsa_wavefront_size32 1
		.amdhsa_uses_dynamic_stack 0
		.amdhsa_enable_private_segment 0
		.amdhsa_system_sgpr_workgroup_id_x 1
		.amdhsa_system_sgpr_workgroup_id_y 0
		.amdhsa_system_sgpr_workgroup_id_z 0
		.amdhsa_system_sgpr_workgroup_info 0
		.amdhsa_system_vgpr_workitem_id 0
		.amdhsa_next_free_vgpr 60
		.amdhsa_next_free_sgpr 20
		.amdhsa_reserve_vcc 1
		.amdhsa_float_round_mode_32 0
		.amdhsa_float_round_mode_16_64 0
		.amdhsa_float_denorm_mode_32 3
		.amdhsa_float_denorm_mode_16_64 3
		.amdhsa_dx10_clamp 1
		.amdhsa_ieee_mode 1
		.amdhsa_fp16_overflow 0
		.amdhsa_workgroup_processor_mode 1
		.amdhsa_memory_ordered 1
		.amdhsa_forward_progress 0
		.amdhsa_shared_vgpr_count 0
		.amdhsa_exception_fp_ieee_invalid_op 0
		.amdhsa_exception_fp_denorm_src 0
		.amdhsa_exception_fp_ieee_div_zero 0
		.amdhsa_exception_fp_ieee_overflow 0
		.amdhsa_exception_fp_ieee_underflow 0
		.amdhsa_exception_fp_ieee_inexact 0
		.amdhsa_exception_int_div_zero 0
	.end_amdhsa_kernel
	.section	.text._ZN9rocsparseL19gebsrmvn_2xn_kernelILj128ELj15ELj4EfEEvi20rocsparse_direction_NS_24const_host_device_scalarIT2_EEPKiS6_PKS3_S8_S4_PS3_21rocsparse_index_base_b,"axG",@progbits,_ZN9rocsparseL19gebsrmvn_2xn_kernelILj128ELj15ELj4EfEEvi20rocsparse_direction_NS_24const_host_device_scalarIT2_EEPKiS6_PKS3_S8_S4_PS3_21rocsparse_index_base_b,comdat
.Lfunc_end65:
	.size	_ZN9rocsparseL19gebsrmvn_2xn_kernelILj128ELj15ELj4EfEEvi20rocsparse_direction_NS_24const_host_device_scalarIT2_EEPKiS6_PKS3_S8_S4_PS3_21rocsparse_index_base_b, .Lfunc_end65-_ZN9rocsparseL19gebsrmvn_2xn_kernelILj128ELj15ELj4EfEEvi20rocsparse_direction_NS_24const_host_device_scalarIT2_EEPKiS6_PKS3_S8_S4_PS3_21rocsparse_index_base_b
                                        ; -- End function
	.section	.AMDGPU.csdata,"",@progbits
; Kernel info:
; codeLenInByte = 3888
; NumSgprs: 22
; NumVgprs: 60
; ScratchSize: 0
; MemoryBound: 0
; FloatMode: 240
; IeeeMode: 1
; LDSByteSize: 0 bytes/workgroup (compile time only)
; SGPRBlocks: 2
; VGPRBlocks: 7
; NumSGPRsForWavesPerEU: 22
; NumVGPRsForWavesPerEU: 60
; Occupancy: 16
; WaveLimiterHint : 1
; COMPUTE_PGM_RSRC2:SCRATCH_EN: 0
; COMPUTE_PGM_RSRC2:USER_SGPR: 15
; COMPUTE_PGM_RSRC2:TRAP_HANDLER: 0
; COMPUTE_PGM_RSRC2:TGID_X_EN: 1
; COMPUTE_PGM_RSRC2:TGID_Y_EN: 0
; COMPUTE_PGM_RSRC2:TGID_Z_EN: 0
; COMPUTE_PGM_RSRC2:TIDIG_COMP_CNT: 0
	.section	.text._ZN9rocsparseL19gebsrmvn_2xn_kernelILj128ELj15ELj8EfEEvi20rocsparse_direction_NS_24const_host_device_scalarIT2_EEPKiS6_PKS3_S8_S4_PS3_21rocsparse_index_base_b,"axG",@progbits,_ZN9rocsparseL19gebsrmvn_2xn_kernelILj128ELj15ELj8EfEEvi20rocsparse_direction_NS_24const_host_device_scalarIT2_EEPKiS6_PKS3_S8_S4_PS3_21rocsparse_index_base_b,comdat
	.globl	_ZN9rocsparseL19gebsrmvn_2xn_kernelILj128ELj15ELj8EfEEvi20rocsparse_direction_NS_24const_host_device_scalarIT2_EEPKiS6_PKS3_S8_S4_PS3_21rocsparse_index_base_b ; -- Begin function _ZN9rocsparseL19gebsrmvn_2xn_kernelILj128ELj15ELj8EfEEvi20rocsparse_direction_NS_24const_host_device_scalarIT2_EEPKiS6_PKS3_S8_S4_PS3_21rocsparse_index_base_b
	.p2align	8
	.type	_ZN9rocsparseL19gebsrmvn_2xn_kernelILj128ELj15ELj8EfEEvi20rocsparse_direction_NS_24const_host_device_scalarIT2_EEPKiS6_PKS3_S8_S4_PS3_21rocsparse_index_base_b,@function
_ZN9rocsparseL19gebsrmvn_2xn_kernelILj128ELj15ELj8EfEEvi20rocsparse_direction_NS_24const_host_device_scalarIT2_EEPKiS6_PKS3_S8_S4_PS3_21rocsparse_index_base_b: ; @_ZN9rocsparseL19gebsrmvn_2xn_kernelILj128ELj15ELj8EfEEvi20rocsparse_direction_NS_24const_host_device_scalarIT2_EEPKiS6_PKS3_S8_S4_PS3_21rocsparse_index_base_b
; %bb.0:
	s_clause 0x2
	s_load_b64 s[18:19], s[0:1], 0x40
	s_load_b64 s[16:17], s[0:1], 0x8
	;; [unrolled: 1-line block ×3, first 2 shown]
	s_waitcnt lgkmcnt(0)
	s_bitcmp1_b32 s19, 0
	s_cselect_b32 s2, -1, 0
	s_delay_alu instid0(SALU_CYCLE_1)
	s_and_b32 vcc_lo, exec_lo, s2
	s_xor_b32 s2, s2, -1
	s_cbranch_vccnz .LBB66_2
; %bb.1:
	s_load_b32 s16, s[16:17], 0x0
.LBB66_2:
	s_and_not1_b32 vcc_lo, exec_lo, s2
	s_cbranch_vccnz .LBB66_4
; %bb.3:
	s_load_b32 s12, s[12:13], 0x0
.LBB66_4:
	s_waitcnt lgkmcnt(0)
	v_cmp_eq_f32_e64 s2, s16, 0
	v_cmp_eq_f32_e64 s3, s12, 1.0
	s_delay_alu instid0(VALU_DEP_1) | instskip(NEXT) | instid1(SALU_CYCLE_1)
	s_and_b32 s2, s2, s3
	s_and_b32 vcc_lo, exec_lo, s2
	s_cbranch_vccnz .LBB66_23
; %bb.5:
	s_load_b64 s[2:3], s[0:1], 0x0
	v_lshrrev_b32_e32 v1, 3, v0
	s_delay_alu instid0(VALU_DEP_1) | instskip(SKIP_1) | instid1(VALU_DEP_1)
	v_lshl_or_b32 v1, s15, 4, v1
	s_waitcnt lgkmcnt(0)
	v_cmp_gt_i32_e32 vcc_lo, s2, v1
	s_and_saveexec_b32 s2, vcc_lo
	s_cbranch_execz .LBB66_23
; %bb.6:
	s_load_b256 s[4:11], s[0:1], 0x10
	v_ashrrev_i32_e32 v2, 31, v1
	v_and_b32_e32 v0, 7, v0
	s_cmp_lg_u32 s3, 0
	s_delay_alu instid0(VALU_DEP_2) | instskip(SKIP_1) | instid1(VALU_DEP_1)
	v_lshlrev_b64 v[2:3], 2, v[1:2]
	s_waitcnt lgkmcnt(0)
	v_add_co_u32 v2, vcc_lo, s4, v2
	s_delay_alu instid0(VALU_DEP_2) | instskip(SKIP_4) | instid1(VALU_DEP_2)
	v_add_co_ci_u32_e32 v3, vcc_lo, s5, v3, vcc_lo
	global_load_b64 v[2:3], v[2:3], off
	s_waitcnt vmcnt(0)
	v_subrev_nc_u32_e32 v2, s18, v2
	v_subrev_nc_u32_e32 v12, s18, v3
	v_add_nc_u32_e32 v2, v2, v0
	s_delay_alu instid0(VALU_DEP_1)
	v_cmp_lt_i32_e64 s2, v2, v12
	s_cbranch_scc0 .LBB66_12
; %bb.7:
	v_dual_mov_b32 v10, 0 :: v_dual_mov_b32 v11, 0
	s_mov_b32 s3, 0
	s_delay_alu instid0(VALU_DEP_2)
	s_and_saveexec_b32 s4, s2
	s_cbranch_execz .LBB66_11
; %bb.8:
	v_mad_u64_u32 v[3:4], null, v2, 30, 28
	v_dual_mov_b32 v6, 0 :: v_dual_mov_b32 v7, v2
	v_dual_mov_b32 v10, 0 :: v_dual_mov_b32 v11, 0
	s_mov_b32 s5, 0
.LBB66_9:                               ; =>This Inner Loop Header: Depth=1
	s_delay_alu instid0(VALU_DEP_2) | instskip(NEXT) | instid1(VALU_DEP_1)
	v_ashrrev_i32_e32 v8, 31, v7
	v_lshlrev_b64 v[4:5], 2, v[7:8]
	v_add_nc_u32_e32 v7, 8, v7
	s_delay_alu instid0(VALU_DEP_2) | instskip(NEXT) | instid1(VALU_DEP_3)
	v_add_co_u32 v4, vcc_lo, s6, v4
	v_add_co_ci_u32_e32 v5, vcc_lo, s7, v5, vcc_lo
	global_load_b32 v8, v[4:5], off
	v_subrev_nc_u32_e32 v5, 28, v3
	v_mov_b32_e32 v4, v6
	s_delay_alu instid0(VALU_DEP_2) | instskip(SKIP_1) | instid1(VALU_DEP_3)
	v_lshlrev_b64 v[13:14], 2, v[5:6]
	v_subrev_nc_u32_e32 v5, 26, v3
	v_lshlrev_b64 v[15:16], 2, v[3:4]
	s_delay_alu instid0(VALU_DEP_2) | instskip(NEXT) | instid1(VALU_DEP_4)
	v_lshlrev_b64 v[4:5], 2, v[5:6]
	v_add_co_u32 v13, vcc_lo, s8, v13
	v_add_co_ci_u32_e32 v14, vcc_lo, s9, v14, vcc_lo
	s_delay_alu instid0(VALU_DEP_4)
	v_add_co_u32 v15, vcc_lo, s8, v15
	v_add_co_ci_u32_e32 v16, vcc_lo, s9, v16, vcc_lo
	v_add_co_u32 v4, vcc_lo, s8, v4
	v_add_co_ci_u32_e32 v5, vcc_lo, s9, v5, vcc_lo
	s_clause 0x1
	global_load_b64 v[13:14], v[13:14], off
	global_load_b64 v[17:18], v[4:5], off
	v_mov_b32_e32 v9, v6
	s_waitcnt vmcnt(2)
	v_subrev_nc_u32_e32 v4, s18, v8
	s_delay_alu instid0(VALU_DEP_1) | instskip(NEXT) | instid1(VALU_DEP_1)
	v_mul_lo_u32 v8, v4, 15
	v_add_nc_u32_e32 v5, 1, v8
	v_lshlrev_b64 v[19:20], 2, v[8:9]
	s_delay_alu instid0(VALU_DEP_2) | instskip(SKIP_1) | instid1(VALU_DEP_3)
	v_lshlrev_b64 v[21:22], 2, v[5:6]
	v_subrev_nc_u32_e32 v5, 24, v3
	v_add_co_u32 v19, vcc_lo, s10, v19
	s_delay_alu instid0(VALU_DEP_4) | instskip(NEXT) | instid1(VALU_DEP_4)
	v_add_co_ci_u32_e32 v20, vcc_lo, s11, v20, vcc_lo
	v_add_co_u32 v21, vcc_lo, s10, v21
	v_add_co_ci_u32_e32 v22, vcc_lo, s11, v22, vcc_lo
	global_load_b32 v47, v[19:20], off
	v_lshlrev_b64 v[23:24], 2, v[5:6]
	global_load_b32 v48, v[21:22], off
	v_add_co_u32 v21, vcc_lo, s8, v23
	v_add_co_ci_u32_e32 v22, vcc_lo, s9, v24, vcc_lo
	global_load_b64 v[21:22], v[21:22], off
	s_waitcnt vmcnt(2)
	v_fmac_f32_e32 v10, v13, v47
	s_waitcnt vmcnt(1)
	s_delay_alu instid0(VALU_DEP_1) | instskip(SKIP_1) | instid1(VALU_DEP_2)
	v_dual_fmac_f32 v11, v14, v47 :: v_dual_fmac_f32 v10, v17, v48
	v_add_nc_u32_e32 v5, 2, v8
	v_fmac_f32_e32 v11, v18, v48
	s_delay_alu instid0(VALU_DEP_2) | instskip(SKIP_1) | instid1(VALU_DEP_1)
	v_lshlrev_b64 v[19:20], 2, v[5:6]
	v_subrev_nc_u32_e32 v5, 22, v3
	v_lshlrev_b64 v[23:24], 2, v[5:6]
	v_add_nc_u32_e32 v5, 3, v8
	s_delay_alu instid0(VALU_DEP_4) | instskip(SKIP_1) | instid1(VALU_DEP_3)
	v_add_co_u32 v19, vcc_lo, s10, v19
	v_add_co_ci_u32_e32 v20, vcc_lo, s11, v20, vcc_lo
	v_lshlrev_b64 v[25:26], 2, v[5:6]
	v_subrev_nc_u32_e32 v5, 20, v3
	global_load_b32 v49, v[19:20], off
	v_add_co_u32 v19, vcc_lo, s8, v23
	v_add_co_ci_u32_e32 v20, vcc_lo, s9, v24, vcc_lo
	v_lshlrev_b64 v[23:24], 2, v[5:6]
	v_add_co_u32 v25, vcc_lo, s10, v25
	v_add_co_ci_u32_e32 v26, vcc_lo, s11, v26, vcc_lo
	s_delay_alu instid0(VALU_DEP_3) | instskip(NEXT) | instid1(VALU_DEP_4)
	v_add_co_u32 v23, vcc_lo, s8, v23
	v_add_co_ci_u32_e32 v24, vcc_lo, s9, v24, vcc_lo
	global_load_b32 v50, v[25:26], off
	global_load_b64 v[23:24], v[23:24], off
	v_add_nc_u32_e32 v5, 4, v8
	global_load_b64 v[19:20], v[19:20], off
	v_lshlrev_b64 v[27:28], 2, v[5:6]
	v_subrev_nc_u32_e32 v5, 18, v3
	s_delay_alu instid0(VALU_DEP_2) | instskip(NEXT) | instid1(VALU_DEP_3)
	v_add_co_u32 v27, vcc_lo, s10, v27
	v_add_co_ci_u32_e32 v28, vcc_lo, s11, v28, vcc_lo
	global_load_b32 v51, v[27:28], off
	v_lshlrev_b64 v[25:26], 2, v[5:6]
	v_add_nc_u32_e32 v5, 5, v8
	s_delay_alu instid0(VALU_DEP_1) | instskip(NEXT) | instid1(VALU_DEP_3)
	v_lshlrev_b64 v[29:30], 2, v[5:6]
	v_add_co_u32 v25, vcc_lo, s8, v25
	s_delay_alu instid0(VALU_DEP_4) | instskip(NEXT) | instid1(VALU_DEP_3)
	v_add_co_ci_u32_e32 v26, vcc_lo, s9, v26, vcc_lo
	v_add_co_u32 v29, vcc_lo, s10, v29
	s_delay_alu instid0(VALU_DEP_4)
	v_add_co_ci_u32_e32 v30, vcc_lo, s11, v30, vcc_lo
	global_load_b64 v[25:26], v[25:26], off
	global_load_b32 v52, v[29:30], off
	s_waitcnt vmcnt(6)
	v_fmac_f32_e32 v10, v21, v49
	s_waitcnt vmcnt(3)
	s_delay_alu instid0(VALU_DEP_1) | instskip(SKIP_1) | instid1(VALU_DEP_1)
	v_dual_fmac_f32 v11, v22, v49 :: v_dual_fmac_f32 v10, v19, v50
	s_waitcnt vmcnt(2)
	v_dual_fmac_f32 v11, v20, v50 :: v_dual_fmac_f32 v10, v23, v51
	v_add_nc_u32_e32 v5, -16, v3
	s_delay_alu instid0(VALU_DEP_2) | instskip(NEXT) | instid1(VALU_DEP_2)
	v_fmac_f32_e32 v11, v24, v51
	v_lshlrev_b64 v[27:28], 2, v[5:6]
	v_add_nc_u32_e32 v5, 6, v8
	s_delay_alu instid0(VALU_DEP_1) | instskip(NEXT) | instid1(VALU_DEP_3)
	v_lshlrev_b64 v[31:32], 2, v[5:6]
	v_add_co_u32 v27, vcc_lo, s8, v27
	s_delay_alu instid0(VALU_DEP_4) | instskip(SKIP_1) | instid1(VALU_DEP_4)
	v_add_co_ci_u32_e32 v28, vcc_lo, s9, v28, vcc_lo
	v_add_nc_u32_e32 v5, -14, v3
	v_add_co_u32 v31, vcc_lo, s10, v31
	v_add_co_ci_u32_e32 v32, vcc_lo, s11, v32, vcc_lo
	global_load_b64 v[27:28], v[27:28], off
	global_load_b32 v53, v[31:32], off
	v_lshlrev_b64 v[29:30], 2, v[5:6]
	v_add_nc_u32_e32 v5, 7, v8
	s_waitcnt vmcnt(2)
	v_fmac_f32_e32 v10, v25, v52
	v_fmac_f32_e32 v11, v26, v52
	s_delay_alu instid0(VALU_DEP_3) | instskip(SKIP_3) | instid1(VALU_DEP_3)
	v_lshlrev_b64 v[33:34], 2, v[5:6]
	v_add_nc_u32_e32 v5, -12, v3
	v_add_co_u32 v29, vcc_lo, s8, v29
	v_add_co_ci_u32_e32 v30, vcc_lo, s9, v30, vcc_lo
	v_lshlrev_b64 v[31:32], 2, v[5:6]
	v_add_nc_u32_e32 v5, 8, v8
	v_add_co_u32 v33, vcc_lo, s10, v33
	v_add_co_ci_u32_e32 v34, vcc_lo, s11, v34, vcc_lo
	s_delay_alu instid0(VALU_DEP_3) | instskip(SKIP_3) | instid1(VALU_DEP_4)
	v_lshlrev_b64 v[35:36], 2, v[5:6]
	v_add_co_u32 v31, vcc_lo, s8, v31
	v_add_co_ci_u32_e32 v32, vcc_lo, s9, v32, vcc_lo
	v_add_nc_u32_e32 v5, -10, v3
	v_add_co_u32 v35, vcc_lo, s10, v35
	v_add_co_ci_u32_e32 v36, vcc_lo, s11, v36, vcc_lo
	global_load_b32 v54, v[33:34], off
	s_clause 0x1
	global_load_b64 v[29:30], v[29:30], off
	global_load_b64 v[31:32], v[31:32], off
	global_load_b32 v55, v[35:36], off
	v_lshlrev_b64 v[33:34], 2, v[5:6]
	v_add_nc_u32_e32 v5, 9, v8
	s_delay_alu instid0(VALU_DEP_1) | instskip(SKIP_1) | instid1(VALU_DEP_4)
	v_lshlrev_b64 v[37:38], 2, v[5:6]
	v_add_nc_u32_e32 v5, -8, v3
	v_add_co_u32 v33, vcc_lo, s8, v33
	v_add_co_ci_u32_e32 v34, vcc_lo, s9, v34, vcc_lo
	s_delay_alu instid0(VALU_DEP_3) | instskip(SKIP_3) | instid1(VALU_DEP_3)
	v_lshlrev_b64 v[35:36], 2, v[5:6]
	v_add_nc_u32_e32 v5, 10, v8
	v_add_co_u32 v37, vcc_lo, s10, v37
	v_add_co_ci_u32_e32 v38, vcc_lo, s11, v38, vcc_lo
	v_lshlrev_b64 v[39:40], 2, v[5:6]
	v_add_co_u32 v35, vcc_lo, s8, v35
	v_add_co_ci_u32_e32 v36, vcc_lo, s9, v36, vcc_lo
	v_add_nc_u32_e32 v5, -6, v3
	s_delay_alu instid0(VALU_DEP_4)
	v_add_co_u32 v39, vcc_lo, s10, v39
	v_add_co_ci_u32_e32 v40, vcc_lo, s11, v40, vcc_lo
	global_load_b32 v56, v[37:38], off
	s_clause 0x1
	global_load_b64 v[33:34], v[33:34], off
	global_load_b64 v[35:36], v[35:36], off
	global_load_b32 v57, v[39:40], off
	v_lshlrev_b64 v[37:38], 2, v[5:6]
	v_add_nc_u32_e32 v5, 11, v8
	s_delay_alu instid0(VALU_DEP_1) | instskip(SKIP_1) | instid1(VALU_DEP_4)
	v_lshlrev_b64 v[41:42], 2, v[5:6]
	v_add_nc_u32_e32 v5, -4, v3
	v_add_co_u32 v37, vcc_lo, s8, v37
	v_add_co_ci_u32_e32 v38, vcc_lo, s9, v38, vcc_lo
	s_delay_alu instid0(VALU_DEP_3) | instskip(SKIP_3) | instid1(VALU_DEP_3)
	v_lshlrev_b64 v[39:40], 2, v[5:6]
	v_add_nc_u32_e32 v5, 12, v8
	v_add_co_u32 v41, vcc_lo, s10, v41
	v_add_co_ci_u32_e32 v42, vcc_lo, s11, v42, vcc_lo
	v_lshlrev_b64 v[43:44], 2, v[5:6]
	v_add_co_u32 v39, vcc_lo, s8, v39
	v_add_co_ci_u32_e32 v40, vcc_lo, s9, v40, vcc_lo
	v_add_nc_u32_e32 v5, -2, v3
	s_delay_alu instid0(VALU_DEP_4)
	v_add_co_u32 v43, vcc_lo, s10, v43
	v_add_co_ci_u32_e32 v44, vcc_lo, s11, v44, vcc_lo
	global_load_b32 v58, v[41:42], off
	s_clause 0x1
	global_load_b64 v[37:38], v[37:38], off
	global_load_b64 v[39:40], v[39:40], off
	global_load_b32 v43, v[43:44], off
	v_lshlrev_b64 v[41:42], 2, v[5:6]
	v_add_nc_u32_e32 v5, 13, v8
	v_add_nc_u32_e32 v3, 0xf0, v3
	s_delay_alu instid0(VALU_DEP_2) | instskip(SKIP_3) | instid1(VALU_DEP_3)
	v_lshlrev_b64 v[45:46], 2, v[5:6]
	v_add_nc_u32_e32 v5, 14, v8
	v_add_co_u32 v8, vcc_lo, s8, v41
	v_add_co_ci_u32_e32 v9, vcc_lo, s9, v42, vcc_lo
	v_lshlrev_b64 v[4:5], 2, v[5:6]
	v_add_co_u32 v41, vcc_lo, s10, v45
	v_add_co_ci_u32_e32 v42, vcc_lo, s11, v46, vcc_lo
	global_load_b64 v[8:9], v[8:9], off
	global_load_b32 v41, v[41:42], off
	v_add_co_u32 v4, vcc_lo, s10, v4
	v_add_co_ci_u32_e32 v5, vcc_lo, s11, v5, vcc_lo
	global_load_b64 v[15:16], v[15:16], off
	global_load_b32 v4, v[4:5], off
	v_cmp_ge_i32_e32 vcc_lo, v7, v12
	s_or_b32 s5, vcc_lo, s5
	s_waitcnt vmcnt(16)
	v_fmac_f32_e32 v10, v27, v53
	s_waitcnt vmcnt(14)
	s_delay_alu instid0(VALU_DEP_1) | instskip(SKIP_1) | instid1(VALU_DEP_1)
	v_dual_fmac_f32 v11, v28, v53 :: v_dual_fmac_f32 v10, v29, v54
	s_waitcnt vmcnt(12)
	v_dual_fmac_f32 v11, v30, v54 :: v_dual_fmac_f32 v10, v31, v55
	s_waitcnt vmcnt(10)
	s_delay_alu instid0(VALU_DEP_1) | instskip(SKIP_1) | instid1(VALU_DEP_1)
	v_dual_fmac_f32 v11, v32, v55 :: v_dual_fmac_f32 v10, v33, v56
	s_waitcnt vmcnt(8)
	v_dual_fmac_f32 v11, v34, v56 :: v_dual_fmac_f32 v10, v35, v57
	;; [unrolled: 5-line block ×3, first 2 shown]
	s_delay_alu instid0(VALU_DEP_1) | instskip(SKIP_1) | instid1(VALU_DEP_2)
	v_fmac_f32_e32 v11, v40, v43
	s_waitcnt vmcnt(2)
	v_fmac_f32_e32 v10, v8, v41
	s_waitcnt vmcnt(0)
	s_delay_alu instid0(VALU_DEP_1) | instskip(NEXT) | instid1(VALU_DEP_1)
	v_dual_fmac_f32 v11, v9, v41 :: v_dual_fmac_f32 v10, v15, v4
	v_fmac_f32_e32 v11, v16, v4
	s_and_not1_b32 exec_lo, exec_lo, s5
	s_cbranch_execnz .LBB66_9
; %bb.10:
	s_or_b32 exec_lo, exec_lo, s5
.LBB66_11:
	s_delay_alu instid0(SALU_CYCLE_1) | instskip(NEXT) | instid1(SALU_CYCLE_1)
	s_or_b32 exec_lo, exec_lo, s4
	s_and_not1_b32 vcc_lo, exec_lo, s3
	s_cbranch_vccz .LBB66_13
	s_branch .LBB66_18
.LBB66_12:
                                        ; implicit-def: $vgpr10
                                        ; implicit-def: $vgpr11
.LBB66_13:
	v_dual_mov_b32 v10, 0 :: v_dual_mov_b32 v11, 0
	s_delay_alu instid0(VALU_DEP_2)
	s_and_saveexec_b32 s3, s2
	s_cbranch_execz .LBB66_17
; %bb.14:
	v_mad_u64_u32 v[4:5], null, v2, 30, 29
	v_dual_mov_b32 v7, 0 :: v_dual_mov_b32 v10, 0
	v_mov_b32_e32 v11, 0
	s_mov_b32 s2, 0
.LBB66_15:                              ; =>This Inner Loop Header: Depth=1
	v_ashrrev_i32_e32 v3, 31, v2
	s_delay_alu instid0(VALU_DEP_3) | instskip(NEXT) | instid1(VALU_DEP_2)
	v_dual_mov_b32 v14, v7 :: v_dual_add_nc_u32 v13, -14, v4
	v_lshlrev_b64 v[5:6], 2, v[2:3]
	v_add_nc_u32_e32 v2, 8, v2
	s_delay_alu instid0(VALU_DEP_3) | instskip(NEXT) | instid1(VALU_DEP_3)
	v_lshlrev_b64 v[13:14], 2, v[13:14]
	v_add_co_u32 v5, vcc_lo, s6, v5
	s_delay_alu instid0(VALU_DEP_4) | instskip(SKIP_3) | instid1(VALU_DEP_2)
	v_add_co_ci_u32_e32 v6, vcc_lo, s7, v6, vcc_lo
	global_load_b32 v3, v[5:6], off
	v_subrev_nc_u32_e32 v6, 29, v4
	v_mov_b32_e32 v5, v7
	v_lshlrev_b64 v[15:16], 2, v[6:7]
	s_delay_alu instid0(VALU_DEP_2) | instskip(NEXT) | instid1(VALU_DEP_2)
	v_lshlrev_b64 v[5:6], 2, v[4:5]
	v_add_co_u32 v15, vcc_lo, s8, v15
	s_delay_alu instid0(VALU_DEP_3)
	v_add_co_ci_u32_e32 v16, vcc_lo, s9, v16, vcc_lo
	v_add_co_u32 v13, vcc_lo, s8, v13
	v_add_co_ci_u32_e32 v14, vcc_lo, s9, v14, vcc_lo
	v_add_co_u32 v17, vcc_lo, s8, v5
	v_add_co_ci_u32_e32 v18, vcc_lo, s9, v6, vcc_lo
	s_clause 0x1
	global_load_b64 v[15:16], v[15:16], off
	global_load_b32 v23, v[13:14], off
	s_waitcnt vmcnt(2)
	v_subrev_nc_u32_e32 v3, s18, v3
	s_delay_alu instid0(VALU_DEP_1) | instskip(NEXT) | instid1(VALU_DEP_1)
	v_mul_lo_u32 v8, v3, 15
	v_dual_mov_b32 v9, v7 :: v_dual_add_nc_u32 v6, 1, v8
	s_delay_alu instid0(VALU_DEP_1) | instskip(NEXT) | instid1(VALU_DEP_2)
	v_lshlrev_b64 v[13:14], 2, v[8:9]
	v_lshlrev_b64 v[19:20], 2, v[6:7]
	v_add_nc_u32_e32 v6, -13, v4
	s_delay_alu instid0(VALU_DEP_3) | instskip(NEXT) | instid1(VALU_DEP_4)
	v_add_co_u32 v13, vcc_lo, s10, v13
	v_add_co_ci_u32_e32 v14, vcc_lo, s11, v14, vcc_lo
	s_delay_alu instid0(VALU_DEP_3)
	v_lshlrev_b64 v[21:22], 2, v[6:7]
	v_subrev_nc_u32_e32 v6, 27, v4
	global_load_b32 v3, v[13:14], off
	v_add_co_u32 v13, vcc_lo, s10, v19
	v_add_co_ci_u32_e32 v14, vcc_lo, s11, v20, vcc_lo
	v_add_co_u32 v21, vcc_lo, s8, v21
	v_add_co_ci_u32_e32 v22, vcc_lo, s9, v22, vcc_lo
	global_load_b32 v24, v[13:14], off
	v_lshlrev_b64 v[19:20], 2, v[6:7]
	v_add_nc_u32_e32 v6, 2, v8
	global_load_b32 v25, v[21:22], off
	v_add_co_u32 v19, vcc_lo, s8, v19
	v_add_co_ci_u32_e32 v20, vcc_lo, s9, v20, vcc_lo
	global_load_b32 v26, v[19:20], off
	s_waitcnt vmcnt(3)
	v_fmac_f32_e32 v11, v23, v3
	v_lshlrev_b64 v[13:14], 2, v[6:7]
	v_fmac_f32_e32 v10, v15, v3
	s_delay_alu instid0(VALU_DEP_2) | instskip(NEXT) | instid1(VALU_DEP_3)
	v_add_co_u32 v13, vcc_lo, s10, v13
	v_add_co_ci_u32_e32 v14, vcc_lo, s11, v14, vcc_lo
	s_waitcnt vmcnt(1)
	v_fmac_f32_e32 v11, v25, v24
	v_fmac_f32_e32 v10, v16, v24
	global_load_b32 v27, v[13:14], off
	v_add_nc_u32_e32 v6, -12, v4
	s_delay_alu instid0(VALU_DEP_1) | instskip(SKIP_1) | instid1(VALU_DEP_2)
	v_lshlrev_b64 v[21:22], 2, v[6:7]
	v_subrev_nc_u32_e32 v6, 26, v4
	v_add_co_u32 v13, vcc_lo, s8, v21
	s_delay_alu instid0(VALU_DEP_3) | instskip(SKIP_2) | instid1(VALU_DEP_1)
	v_add_co_ci_u32_e32 v14, vcc_lo, s9, v22, vcc_lo
	global_load_b32 v28, v[13:14], off
	v_lshlrev_b64 v[19:20], 2, v[6:7]
	v_add_co_u32 v19, vcc_lo, s8, v19
	s_delay_alu instid0(VALU_DEP_2) | instskip(SKIP_3) | instid1(VALU_DEP_1)
	v_add_co_ci_u32_e32 v20, vcc_lo, s9, v20, vcc_lo
	global_load_b32 v29, v[19:20], off
	s_waitcnt vmcnt(1)
	v_dual_fmac_f32 v11, v28, v27 :: v_dual_add_nc_u32 v6, 3, v8
	v_lshlrev_b64 v[21:22], 2, v[6:7]
	v_add_nc_u32_e32 v6, -11, v4
	s_delay_alu instid0(VALU_DEP_1) | instskip(SKIP_1) | instid1(VALU_DEP_4)
	v_lshlrev_b64 v[13:14], 2, v[6:7]
	v_subrev_nc_u32_e32 v6, 25, v4
	v_add_co_u32 v19, vcc_lo, s10, v21
	v_add_co_ci_u32_e32 v20, vcc_lo, s11, v22, vcc_lo
	s_delay_alu instid0(VALU_DEP_3)
	v_lshlrev_b64 v[21:22], 2, v[6:7]
	v_add_nc_u32_e32 v6, 4, v8
	v_add_co_u32 v13, vcc_lo, s8, v13
	v_add_co_ci_u32_e32 v14, vcc_lo, s9, v14, vcc_lo
	global_load_b32 v30, v[19:20], off
	v_lshlrev_b64 v[19:20], 2, v[6:7]
	v_add_nc_u32_e32 v6, -10, v4
	global_load_b32 v31, v[13:14], off
	v_add_co_u32 v13, vcc_lo, s8, v21
	v_add_co_ci_u32_e32 v14, vcc_lo, s9, v22, vcc_lo
	v_lshlrev_b64 v[21:22], 2, v[6:7]
	v_subrev_nc_u32_e32 v6, 24, v4
	v_add_co_u32 v19, vcc_lo, s10, v19
	v_add_co_ci_u32_e32 v20, vcc_lo, s11, v20, vcc_lo
	global_load_b32 v32, v[13:14], off
	v_lshlrev_b64 v[13:14], 2, v[6:7]
	v_add_nc_u32_e32 v6, 5, v8
	global_load_b32 v33, v[19:20], off
	v_add_co_u32 v19, vcc_lo, s8, v21
	v_add_co_ci_u32_e32 v20, vcc_lo, s9, v22, vcc_lo
	v_add_co_u32 v13, vcc_lo, s8, v13
	v_lshlrev_b64 v[21:22], 2, v[6:7]
	v_add_nc_u32_e32 v6, -9, v4
	v_add_co_ci_u32_e32 v14, vcc_lo, s9, v14, vcc_lo
	s_clause 0x1
	global_load_b32 v34, v[19:20], off
	global_load_b32 v35, v[13:14], off
	v_lshlrev_b64 v[19:20], 2, v[6:7]
	v_subrev_nc_u32_e32 v6, 23, v4
	v_add_co_u32 v13, vcc_lo, s10, v21
	v_add_co_ci_u32_e32 v14, vcc_lo, s11, v22, vcc_lo
	s_delay_alu instid0(VALU_DEP_3)
	v_lshlrev_b64 v[21:22], 2, v[6:7]
	v_add_nc_u32_e32 v6, 6, v8
	v_add_co_u32 v19, vcc_lo, s8, v19
	v_add_co_ci_u32_e32 v20, vcc_lo, s9, v20, vcc_lo
	global_load_b32 v36, v[13:14], off
	v_lshlrev_b64 v[13:14], 2, v[6:7]
	v_add_nc_u32_e32 v6, -8, v4
	global_load_b32 v37, v[19:20], off
	v_add_co_u32 v19, vcc_lo, s8, v21
	v_add_co_ci_u32_e32 v20, vcc_lo, s9, v22, vcc_lo
	v_add_co_u32 v13, vcc_lo, s10, v13
	v_lshlrev_b64 v[21:22], 2, v[6:7]
	v_add_co_ci_u32_e32 v14, vcc_lo, s11, v14, vcc_lo
	v_subrev_nc_u32_e32 v6, 22, v4
	global_load_b32 v38, v[19:20], off
	global_load_b32 v39, v[13:14], off
	v_add_co_u32 v13, vcc_lo, s8, v21
	v_add_co_ci_u32_e32 v14, vcc_lo, s9, v22, vcc_lo
	global_load_b32 v40, v[13:14], off
	v_lshlrev_b64 v[19:20], 2, v[6:7]
	v_add_nc_u32_e32 v6, 7, v8
	s_delay_alu instid0(VALU_DEP_1) | instskip(SKIP_1) | instid1(VALU_DEP_4)
	v_lshlrev_b64 v[21:22], 2, v[6:7]
	v_add_nc_u32_e32 v6, -7, v4
	v_add_co_u32 v19, vcc_lo, s8, v19
	v_add_co_ci_u32_e32 v20, vcc_lo, s9, v20, vcc_lo
	s_delay_alu instid0(VALU_DEP_3)
	v_lshlrev_b64 v[13:14], 2, v[6:7]
	v_subrev_nc_u32_e32 v6, 21, v4
	global_load_b32 v41, v[19:20], off
	v_add_co_u32 v19, vcc_lo, s10, v21
	v_add_co_ci_u32_e32 v20, vcc_lo, s11, v22, vcc_lo
	v_lshlrev_b64 v[21:22], 2, v[6:7]
	v_add_nc_u32_e32 v6, 8, v8
	v_add_co_u32 v13, vcc_lo, s8, v13
	v_add_co_ci_u32_e32 v14, vcc_lo, s9, v14, vcc_lo
	global_load_b32 v42, v[19:20], off
	v_lshlrev_b64 v[19:20], 2, v[6:7]
	v_add_nc_u32_e32 v6, -6, v4
	global_load_b32 v43, v[13:14], off
	v_add_co_u32 v13, vcc_lo, s8, v21
	v_add_co_ci_u32_e32 v14, vcc_lo, s9, v22, vcc_lo
	v_lshlrev_b64 v[21:22], 2, v[6:7]
	v_subrev_nc_u32_e32 v6, 20, v4
	v_add_co_u32 v19, vcc_lo, s10, v19
	v_add_co_ci_u32_e32 v20, vcc_lo, s11, v20, vcc_lo
	global_load_b32 v44, v[13:14], off
	v_lshlrev_b64 v[13:14], 2, v[6:7]
	v_add_nc_u32_e32 v6, 9, v8
	global_load_b32 v45, v[19:20], off
	v_add_co_u32 v19, vcc_lo, s8, v21
	v_add_co_ci_u32_e32 v20, vcc_lo, s9, v22, vcc_lo
	v_add_co_u32 v13, vcc_lo, s8, v13
	v_lshlrev_b64 v[21:22], 2, v[6:7]
	v_add_nc_u32_e32 v6, -5, v4
	v_add_co_ci_u32_e32 v14, vcc_lo, s9, v14, vcc_lo
	s_clause 0x1
	global_load_b32 v46, v[19:20], off
	global_load_b32 v47, v[13:14], off
	v_lshlrev_b64 v[19:20], 2, v[6:7]
	v_subrev_nc_u32_e32 v6, 19, v4
	v_add_co_u32 v13, vcc_lo, s10, v21
	v_add_co_ci_u32_e32 v14, vcc_lo, s11, v22, vcc_lo
	s_delay_alu instid0(VALU_DEP_3)
	v_lshlrev_b64 v[21:22], 2, v[6:7]
	v_add_nc_u32_e32 v6, 10, v8
	v_add_co_u32 v19, vcc_lo, s8, v19
	v_add_co_ci_u32_e32 v20, vcc_lo, s9, v20, vcc_lo
	global_load_b32 v48, v[13:14], off
	v_lshlrev_b64 v[13:14], 2, v[6:7]
	v_add_nc_u32_e32 v6, -4, v4
	global_load_b32 v49, v[19:20], off
	v_add_co_u32 v19, vcc_lo, s8, v21
	v_add_co_ci_u32_e32 v20, vcc_lo, s9, v22, vcc_lo
	v_add_co_u32 v13, vcc_lo, s10, v13
	v_lshlrev_b64 v[21:22], 2, v[6:7]
	v_add_co_ci_u32_e32 v14, vcc_lo, s11, v14, vcc_lo
	v_subrev_nc_u32_e32 v6, 18, v4
	global_load_b32 v50, v[19:20], off
	global_load_b32 v51, v[13:14], off
	v_add_co_u32 v13, vcc_lo, s8, v21
	v_add_co_ci_u32_e32 v14, vcc_lo, s9, v22, vcc_lo
	global_load_b32 v52, v[13:14], off
	v_lshlrev_b64 v[19:20], 2, v[6:7]
	v_add_nc_u32_e32 v6, 11, v8
	s_delay_alu instid0(VALU_DEP_1) | instskip(SKIP_1) | instid1(VALU_DEP_4)
	v_lshlrev_b64 v[21:22], 2, v[6:7]
	v_add_nc_u32_e32 v6, -3, v4
	v_add_co_u32 v19, vcc_lo, s8, v19
	v_add_co_ci_u32_e32 v20, vcc_lo, s9, v20, vcc_lo
	s_delay_alu instid0(VALU_DEP_3)
	v_lshlrev_b64 v[13:14], 2, v[6:7]
	v_subrev_nc_u32_e32 v6, 17, v4
	global_load_b32 v53, v[19:20], off
	v_add_co_u32 v19, vcc_lo, s10, v21
	v_add_co_ci_u32_e32 v20, vcc_lo, s11, v22, vcc_lo
	v_lshlrev_b64 v[21:22], 2, v[6:7]
	v_add_nc_u32_e32 v6, 12, v8
	v_add_co_u32 v13, vcc_lo, s8, v13
	v_add_co_ci_u32_e32 v14, vcc_lo, s9, v14, vcc_lo
	global_load_b32 v54, v[19:20], off
	v_lshlrev_b64 v[19:20], 2, v[6:7]
	v_add_nc_u32_e32 v6, -2, v4
	global_load_b32 v55, v[13:14], off
	v_add_co_u32 v13, vcc_lo, s8, v21
	v_add_co_ci_u32_e32 v14, vcc_lo, s9, v22, vcc_lo
	v_lshlrev_b64 v[21:22], 2, v[6:7]
	v_add_nc_u32_e32 v6, -16, v4
	v_add_co_u32 v19, vcc_lo, s10, v19
	v_add_co_ci_u32_e32 v20, vcc_lo, s11, v20, vcc_lo
	global_load_b32 v56, v[13:14], off
	v_lshlrev_b64 v[13:14], 2, v[6:7]
	v_add_nc_u32_e32 v6, 13, v8
	global_load_b32 v57, v[19:20], off
	v_add_co_u32 v19, vcc_lo, s8, v21
	v_add_co_ci_u32_e32 v20, vcc_lo, s9, v22, vcc_lo
	v_add_co_u32 v13, vcc_lo, s8, v13
	v_lshlrev_b64 v[21:22], 2, v[6:7]
	v_add_nc_u32_e32 v6, -1, v4
	v_add_co_ci_u32_e32 v14, vcc_lo, s9, v14, vcc_lo
	s_clause 0x1
	global_load_b32 v58, v[19:20], off
	global_load_b32 v59, v[13:14], off
	v_lshlrev_b64 v[19:20], 2, v[6:7]
	v_add_nc_u32_e32 v6, -15, v4
	v_add_co_u32 v13, vcc_lo, s10, v21
	v_add_co_ci_u32_e32 v14, vcc_lo, s11, v22, vcc_lo
	s_delay_alu instid0(VALU_DEP_3) | instskip(SKIP_3) | instid1(VALU_DEP_3)
	v_lshlrev_b64 v[21:22], 2, v[6:7]
	v_add_nc_u32_e32 v6, 14, v8
	v_add_co_u32 v8, vcc_lo, s8, v19
	v_add_co_ci_u32_e32 v9, vcc_lo, s9, v20, vcc_lo
	v_lshlrev_b64 v[5:6], 2, v[6:7]
	global_load_b32 v13, v[13:14], off
	v_add_nc_u32_e32 v4, 0xf0, v4
	global_load_b32 v14, v[8:9], off
	v_add_co_u32 v8, vcc_lo, s8, v21
	v_add_co_ci_u32_e32 v9, vcc_lo, s9, v22, vcc_lo
	v_add_co_u32 v5, vcc_lo, s10, v5
	v_add_co_ci_u32_e32 v6, vcc_lo, s11, v6, vcc_lo
	s_clause 0x1
	global_load_b32 v17, v[17:18], off
	global_load_b32 v8, v[8:9], off
	;; [unrolled: 1-line block ×3, first 2 shown]
	v_cmp_ge_i32_e32 vcc_lo, v2, v12
	s_or_b32 s2, vcc_lo, s2
	s_waitcnt vmcnt(33)
	v_fmac_f32_e32 v11, v31, v30
	s_waitcnt vmcnt(30)
	s_delay_alu instid0(VALU_DEP_1) | instskip(SKIP_1) | instid1(VALU_DEP_1)
	v_fmac_f32_e32 v11, v34, v33
	s_waitcnt vmcnt(27)
	v_dual_fmac_f32 v10, v26, v27 :: v_dual_fmac_f32 v11, v37, v36
	s_waitcnt vmcnt(24)
	s_delay_alu instid0(VALU_DEP_1) | instskip(SKIP_1) | instid1(VALU_DEP_1)
	v_dual_fmac_f32 v10, v29, v30 :: v_dual_fmac_f32 v11, v40, v39
	s_waitcnt vmcnt(21)
	v_fmac_f32_e32 v11, v43, v42
	s_waitcnt vmcnt(18)
	s_delay_alu instid0(VALU_DEP_1) | instskip(SKIP_1) | instid1(VALU_DEP_1)
	v_fmac_f32_e32 v11, v46, v45
	s_waitcnt vmcnt(15)
	v_dual_fmac_f32 v10, v32, v33 :: v_dual_fmac_f32 v11, v49, v48
	s_delay_alu instid0(VALU_DEP_1) | instskip(NEXT) | instid1(VALU_DEP_1)
	v_fmac_f32_e32 v10, v35, v36
	v_fmac_f32_e32 v10, v38, v39
	s_delay_alu instid0(VALU_DEP_1) | instskip(NEXT) | instid1(VALU_DEP_1)
	v_fmac_f32_e32 v10, v41, v42
	v_fmac_f32_e32 v10, v44, v45
	s_waitcnt vmcnt(12)
	s_delay_alu instid0(VALU_DEP_1) | instskip(NEXT) | instid1(VALU_DEP_1)
	v_dual_fmac_f32 v10, v47, v48 :: v_dual_fmac_f32 v11, v52, v51
	v_fmac_f32_e32 v10, v50, v51
	s_waitcnt vmcnt(10)
	s_delay_alu instid0(VALU_DEP_1) | instskip(SKIP_1) | instid1(VALU_DEP_1)
	v_fmac_f32_e32 v10, v53, v54
	s_waitcnt vmcnt(7)
	v_dual_fmac_f32 v11, v55, v54 :: v_dual_fmac_f32 v10, v56, v57
	s_waitcnt vmcnt(6)
	s_delay_alu instid0(VALU_DEP_1) | instskip(SKIP_1) | instid1(VALU_DEP_2)
	v_fmac_f32_e32 v11, v58, v57
	s_waitcnt vmcnt(4)
	v_fmac_f32_e32 v10, v59, v13
	s_waitcnt vmcnt(3)
	s_delay_alu instid0(VALU_DEP_2) | instskip(SKIP_1) | instid1(VALU_DEP_2)
	v_fmac_f32_e32 v11, v14, v13
	s_waitcnt vmcnt(0)
	v_fmac_f32_e32 v10, v8, v5
	s_delay_alu instid0(VALU_DEP_2)
	v_fmac_f32_e32 v11, v17, v5
	s_and_not1_b32 exec_lo, exec_lo, s2
	s_cbranch_execnz .LBB66_15
; %bb.16:
	s_or_b32 exec_lo, exec_lo, s2
.LBB66_17:
	s_delay_alu instid0(SALU_CYCLE_1)
	s_or_b32 exec_lo, exec_lo, s3
.LBB66_18:
	v_mbcnt_lo_u32_b32 v2, -1, 0
	s_mov_b32 s2, -1
	s_delay_alu instid0(VALU_DEP_1) | instskip(SKIP_2) | instid1(VALU_DEP_3)
	v_xor_b32_e32 v3, 4, v2
	v_xor_b32_e32 v5, 2, v2
	;; [unrolled: 1-line block ×3, first 2 shown]
	v_cmp_gt_i32_e32 vcc_lo, 32, v3
	v_cndmask_b32_e32 v3, v2, v3, vcc_lo
	s_delay_alu instid0(VALU_DEP_4) | instskip(NEXT) | instid1(VALU_DEP_2)
	v_cmp_gt_i32_e32 vcc_lo, 32, v5
	v_lshlrev_b32_e32 v3, 2, v3
	v_cndmask_b32_e32 v5, v2, v5, vcc_lo
	v_cmp_gt_i32_e32 vcc_lo, 32, v7
	ds_bpermute_b32 v4, v3, v10
	v_dual_cndmask_b32 v2, v2, v7 :: v_dual_lshlrev_b32 v5, 2, v5
	v_cmp_eq_u32_e32 vcc_lo, 7, v0
	s_waitcnt lgkmcnt(0)
	s_delay_alu instid0(VALU_DEP_2)
	v_dual_add_f32 v4, v10, v4 :: v_dual_lshlrev_b32 v7, 2, v2
	ds_bpermute_b32 v3, v3, v11
	ds_bpermute_b32 v6, v5, v4
	s_waitcnt lgkmcnt(0)
	v_dual_add_f32 v3, v11, v3 :: v_dual_add_f32 v2, v4, v6
	ds_bpermute_b32 v5, v5, v3
	ds_bpermute_b32 v4, v7, v2
	s_waitcnt lgkmcnt(1)
	v_add_f32_e32 v3, v3, v5
	ds_bpermute_b32 v5, v7, v3
	s_and_b32 exec_lo, exec_lo, vcc_lo
	s_cbranch_execz .LBB66_23
; %bb.19:
	s_load_b64 s[0:1], s[0:1], 0x38
	s_waitcnt lgkmcnt(0)
	v_dual_add_f32 v0, v2, v4 :: v_dual_add_f32 v3, v3, v5
	v_cmp_eq_f32_e64 s3, s12, 0
	s_delay_alu instid0(VALU_DEP_2) | instskip(SKIP_1) | instid1(VALU_DEP_3)
	v_dual_mul_f32 v2, s16, v0 :: v_dual_mul_f32 v3, s16, v3
	v_lshlrev_b32_e32 v0, 1, v1
	s_and_b32 vcc_lo, exec_lo, s3
	s_cbranch_vccz .LBB66_21
; %bb.20:
	s_delay_alu instid0(VALU_DEP_1) | instskip(SKIP_1) | instid1(VALU_DEP_1)
	v_ashrrev_i32_e32 v1, 31, v0
	s_mov_b32 s2, 0
	v_lshlrev_b64 v[4:5], 2, v[0:1]
	s_delay_alu instid0(VALU_DEP_1) | instskip(NEXT) | instid1(VALU_DEP_2)
	v_add_co_u32 v4, vcc_lo, s0, v4
	v_add_co_ci_u32_e32 v5, vcc_lo, s1, v5, vcc_lo
	global_store_b64 v[4:5], v[2:3], off
.LBB66_21:
	s_and_not1_b32 vcc_lo, exec_lo, s2
	s_cbranch_vccnz .LBB66_23
; %bb.22:
	v_ashrrev_i32_e32 v1, 31, v0
	s_delay_alu instid0(VALU_DEP_1) | instskip(NEXT) | instid1(VALU_DEP_1)
	v_lshlrev_b64 v[0:1], 2, v[0:1]
	v_add_co_u32 v0, vcc_lo, s0, v0
	s_delay_alu instid0(VALU_DEP_2)
	v_add_co_ci_u32_e32 v1, vcc_lo, s1, v1, vcc_lo
	global_load_b64 v[4:5], v[0:1], off
	s_waitcnt vmcnt(0)
	v_dual_fmac_f32 v2, s12, v4 :: v_dual_fmac_f32 v3, s12, v5
	global_store_b64 v[0:1], v[2:3], off
.LBB66_23:
	s_nop 0
	s_sendmsg sendmsg(MSG_DEALLOC_VGPRS)
	s_endpgm
	.section	.rodata,"a",@progbits
	.p2align	6, 0x0
	.amdhsa_kernel _ZN9rocsparseL19gebsrmvn_2xn_kernelILj128ELj15ELj8EfEEvi20rocsparse_direction_NS_24const_host_device_scalarIT2_EEPKiS6_PKS3_S8_S4_PS3_21rocsparse_index_base_b
		.amdhsa_group_segment_fixed_size 0
		.amdhsa_private_segment_fixed_size 0
		.amdhsa_kernarg_size 72
		.amdhsa_user_sgpr_count 15
		.amdhsa_user_sgpr_dispatch_ptr 0
		.amdhsa_user_sgpr_queue_ptr 0
		.amdhsa_user_sgpr_kernarg_segment_ptr 1
		.amdhsa_user_sgpr_dispatch_id 0
		.amdhsa_user_sgpr_private_segment_size 0
		.amdhsa_wavefront_size32 1
		.amdhsa_uses_dynamic_stack 0
		.amdhsa_enable_private_segment 0
		.amdhsa_system_sgpr_workgroup_id_x 1
		.amdhsa_system_sgpr_workgroup_id_y 0
		.amdhsa_system_sgpr_workgroup_id_z 0
		.amdhsa_system_sgpr_workgroup_info 0
		.amdhsa_system_vgpr_workitem_id 0
		.amdhsa_next_free_vgpr 60
		.amdhsa_next_free_sgpr 20
		.amdhsa_reserve_vcc 1
		.amdhsa_float_round_mode_32 0
		.amdhsa_float_round_mode_16_64 0
		.amdhsa_float_denorm_mode_32 3
		.amdhsa_float_denorm_mode_16_64 3
		.amdhsa_dx10_clamp 1
		.amdhsa_ieee_mode 1
		.amdhsa_fp16_overflow 0
		.amdhsa_workgroup_processor_mode 1
		.amdhsa_memory_ordered 1
		.amdhsa_forward_progress 0
		.amdhsa_shared_vgpr_count 0
		.amdhsa_exception_fp_ieee_invalid_op 0
		.amdhsa_exception_fp_denorm_src 0
		.amdhsa_exception_fp_ieee_div_zero 0
		.amdhsa_exception_fp_ieee_overflow 0
		.amdhsa_exception_fp_ieee_underflow 0
		.amdhsa_exception_fp_ieee_inexact 0
		.amdhsa_exception_int_div_zero 0
	.end_amdhsa_kernel
	.section	.text._ZN9rocsparseL19gebsrmvn_2xn_kernelILj128ELj15ELj8EfEEvi20rocsparse_direction_NS_24const_host_device_scalarIT2_EEPKiS6_PKS3_S8_S4_PS3_21rocsparse_index_base_b,"axG",@progbits,_ZN9rocsparseL19gebsrmvn_2xn_kernelILj128ELj15ELj8EfEEvi20rocsparse_direction_NS_24const_host_device_scalarIT2_EEPKiS6_PKS3_S8_S4_PS3_21rocsparse_index_base_b,comdat
.Lfunc_end66:
	.size	_ZN9rocsparseL19gebsrmvn_2xn_kernelILj128ELj15ELj8EfEEvi20rocsparse_direction_NS_24const_host_device_scalarIT2_EEPKiS6_PKS3_S8_S4_PS3_21rocsparse_index_base_b, .Lfunc_end66-_ZN9rocsparseL19gebsrmvn_2xn_kernelILj128ELj15ELj8EfEEvi20rocsparse_direction_NS_24const_host_device_scalarIT2_EEPKiS6_PKS3_S8_S4_PS3_21rocsparse_index_base_b
                                        ; -- End function
	.section	.AMDGPU.csdata,"",@progbits
; Kernel info:
; codeLenInByte = 3908
; NumSgprs: 22
; NumVgprs: 60
; ScratchSize: 0
; MemoryBound: 0
; FloatMode: 240
; IeeeMode: 1
; LDSByteSize: 0 bytes/workgroup (compile time only)
; SGPRBlocks: 2
; VGPRBlocks: 7
; NumSGPRsForWavesPerEU: 22
; NumVGPRsForWavesPerEU: 60
; Occupancy: 16
; WaveLimiterHint : 1
; COMPUTE_PGM_RSRC2:SCRATCH_EN: 0
; COMPUTE_PGM_RSRC2:USER_SGPR: 15
; COMPUTE_PGM_RSRC2:TRAP_HANDLER: 0
; COMPUTE_PGM_RSRC2:TGID_X_EN: 1
; COMPUTE_PGM_RSRC2:TGID_Y_EN: 0
; COMPUTE_PGM_RSRC2:TGID_Z_EN: 0
; COMPUTE_PGM_RSRC2:TIDIG_COMP_CNT: 0
	.section	.text._ZN9rocsparseL19gebsrmvn_2xn_kernelILj128ELj15ELj16EfEEvi20rocsparse_direction_NS_24const_host_device_scalarIT2_EEPKiS6_PKS3_S8_S4_PS3_21rocsparse_index_base_b,"axG",@progbits,_ZN9rocsparseL19gebsrmvn_2xn_kernelILj128ELj15ELj16EfEEvi20rocsparse_direction_NS_24const_host_device_scalarIT2_EEPKiS6_PKS3_S8_S4_PS3_21rocsparse_index_base_b,comdat
	.globl	_ZN9rocsparseL19gebsrmvn_2xn_kernelILj128ELj15ELj16EfEEvi20rocsparse_direction_NS_24const_host_device_scalarIT2_EEPKiS6_PKS3_S8_S4_PS3_21rocsparse_index_base_b ; -- Begin function _ZN9rocsparseL19gebsrmvn_2xn_kernelILj128ELj15ELj16EfEEvi20rocsparse_direction_NS_24const_host_device_scalarIT2_EEPKiS6_PKS3_S8_S4_PS3_21rocsparse_index_base_b
	.p2align	8
	.type	_ZN9rocsparseL19gebsrmvn_2xn_kernelILj128ELj15ELj16EfEEvi20rocsparse_direction_NS_24const_host_device_scalarIT2_EEPKiS6_PKS3_S8_S4_PS3_21rocsparse_index_base_b,@function
_ZN9rocsparseL19gebsrmvn_2xn_kernelILj128ELj15ELj16EfEEvi20rocsparse_direction_NS_24const_host_device_scalarIT2_EEPKiS6_PKS3_S8_S4_PS3_21rocsparse_index_base_b: ; @_ZN9rocsparseL19gebsrmvn_2xn_kernelILj128ELj15ELj16EfEEvi20rocsparse_direction_NS_24const_host_device_scalarIT2_EEPKiS6_PKS3_S8_S4_PS3_21rocsparse_index_base_b
; %bb.0:
	s_clause 0x2
	s_load_b64 s[18:19], s[0:1], 0x40
	s_load_b64 s[16:17], s[0:1], 0x8
	;; [unrolled: 1-line block ×3, first 2 shown]
	s_waitcnt lgkmcnt(0)
	s_bitcmp1_b32 s19, 0
	s_cselect_b32 s2, -1, 0
	s_delay_alu instid0(SALU_CYCLE_1)
	s_and_b32 vcc_lo, exec_lo, s2
	s_xor_b32 s2, s2, -1
	s_cbranch_vccnz .LBB67_2
; %bb.1:
	s_load_b32 s16, s[16:17], 0x0
.LBB67_2:
	s_and_not1_b32 vcc_lo, exec_lo, s2
	s_cbranch_vccnz .LBB67_4
; %bb.3:
	s_load_b32 s12, s[12:13], 0x0
.LBB67_4:
	s_waitcnt lgkmcnt(0)
	v_cmp_eq_f32_e64 s2, s16, 0
	v_cmp_eq_f32_e64 s3, s12, 1.0
	s_delay_alu instid0(VALU_DEP_1) | instskip(NEXT) | instid1(SALU_CYCLE_1)
	s_and_b32 s2, s2, s3
	s_and_b32 vcc_lo, exec_lo, s2
	s_cbranch_vccnz .LBB67_23
; %bb.5:
	s_load_b64 s[2:3], s[0:1], 0x0
	v_lshrrev_b32_e32 v1, 4, v0
	s_delay_alu instid0(VALU_DEP_1) | instskip(SKIP_1) | instid1(VALU_DEP_1)
	v_lshl_or_b32 v1, s15, 3, v1
	s_waitcnt lgkmcnt(0)
	v_cmp_gt_i32_e32 vcc_lo, s2, v1
	s_and_saveexec_b32 s2, vcc_lo
	s_cbranch_execz .LBB67_23
; %bb.6:
	s_load_b256 s[4:11], s[0:1], 0x10
	v_ashrrev_i32_e32 v2, 31, v1
	v_and_b32_e32 v0, 15, v0
	s_cmp_lg_u32 s3, 0
	s_delay_alu instid0(VALU_DEP_2) | instskip(SKIP_1) | instid1(VALU_DEP_1)
	v_lshlrev_b64 v[2:3], 2, v[1:2]
	s_waitcnt lgkmcnt(0)
	v_add_co_u32 v2, vcc_lo, s4, v2
	s_delay_alu instid0(VALU_DEP_2) | instskip(SKIP_4) | instid1(VALU_DEP_2)
	v_add_co_ci_u32_e32 v3, vcc_lo, s5, v3, vcc_lo
	global_load_b64 v[2:3], v[2:3], off
	s_waitcnt vmcnt(0)
	v_subrev_nc_u32_e32 v2, s18, v2
	v_subrev_nc_u32_e32 v12, s18, v3
	v_add_nc_u32_e32 v2, v2, v0
	s_delay_alu instid0(VALU_DEP_1)
	v_cmp_lt_i32_e64 s2, v2, v12
	s_cbranch_scc0 .LBB67_12
; %bb.7:
	v_dual_mov_b32 v10, 0 :: v_dual_mov_b32 v11, 0
	s_mov_b32 s3, 0
	s_delay_alu instid0(VALU_DEP_2)
	s_and_saveexec_b32 s4, s2
	s_cbranch_execz .LBB67_11
; %bb.8:
	v_mad_u64_u32 v[3:4], null, v2, 30, 28
	v_dual_mov_b32 v6, 0 :: v_dual_mov_b32 v7, v2
	v_dual_mov_b32 v10, 0 :: v_dual_mov_b32 v11, 0
	s_mov_b32 s5, 0
.LBB67_9:                               ; =>This Inner Loop Header: Depth=1
	s_delay_alu instid0(VALU_DEP_2) | instskip(NEXT) | instid1(VALU_DEP_1)
	v_ashrrev_i32_e32 v8, 31, v7
	v_lshlrev_b64 v[4:5], 2, v[7:8]
	v_add_nc_u32_e32 v7, 16, v7
	s_delay_alu instid0(VALU_DEP_2) | instskip(NEXT) | instid1(VALU_DEP_3)
	v_add_co_u32 v4, vcc_lo, s6, v4
	v_add_co_ci_u32_e32 v5, vcc_lo, s7, v5, vcc_lo
	global_load_b32 v8, v[4:5], off
	v_subrev_nc_u32_e32 v5, 28, v3
	v_mov_b32_e32 v4, v6
	s_delay_alu instid0(VALU_DEP_2) | instskip(SKIP_1) | instid1(VALU_DEP_3)
	v_lshlrev_b64 v[13:14], 2, v[5:6]
	v_subrev_nc_u32_e32 v5, 26, v3
	v_lshlrev_b64 v[15:16], 2, v[3:4]
	s_delay_alu instid0(VALU_DEP_2) | instskip(NEXT) | instid1(VALU_DEP_4)
	v_lshlrev_b64 v[4:5], 2, v[5:6]
	v_add_co_u32 v13, vcc_lo, s8, v13
	v_add_co_ci_u32_e32 v14, vcc_lo, s9, v14, vcc_lo
	s_delay_alu instid0(VALU_DEP_4)
	v_add_co_u32 v15, vcc_lo, s8, v15
	v_add_co_ci_u32_e32 v16, vcc_lo, s9, v16, vcc_lo
	v_add_co_u32 v4, vcc_lo, s8, v4
	v_add_co_ci_u32_e32 v5, vcc_lo, s9, v5, vcc_lo
	s_clause 0x1
	global_load_b64 v[13:14], v[13:14], off
	global_load_b64 v[17:18], v[4:5], off
	v_mov_b32_e32 v9, v6
	s_waitcnt vmcnt(2)
	v_subrev_nc_u32_e32 v4, s18, v8
	s_delay_alu instid0(VALU_DEP_1) | instskip(NEXT) | instid1(VALU_DEP_1)
	v_mul_lo_u32 v8, v4, 15
	v_add_nc_u32_e32 v5, 1, v8
	v_lshlrev_b64 v[19:20], 2, v[8:9]
	s_delay_alu instid0(VALU_DEP_2) | instskip(SKIP_1) | instid1(VALU_DEP_3)
	v_lshlrev_b64 v[21:22], 2, v[5:6]
	v_subrev_nc_u32_e32 v5, 24, v3
	v_add_co_u32 v19, vcc_lo, s10, v19
	s_delay_alu instid0(VALU_DEP_4) | instskip(NEXT) | instid1(VALU_DEP_4)
	v_add_co_ci_u32_e32 v20, vcc_lo, s11, v20, vcc_lo
	v_add_co_u32 v21, vcc_lo, s10, v21
	v_add_co_ci_u32_e32 v22, vcc_lo, s11, v22, vcc_lo
	global_load_b32 v47, v[19:20], off
	v_lshlrev_b64 v[23:24], 2, v[5:6]
	global_load_b32 v48, v[21:22], off
	v_add_co_u32 v21, vcc_lo, s8, v23
	v_add_co_ci_u32_e32 v22, vcc_lo, s9, v24, vcc_lo
	global_load_b64 v[21:22], v[21:22], off
	s_waitcnt vmcnt(2)
	v_fmac_f32_e32 v10, v13, v47
	s_waitcnt vmcnt(1)
	s_delay_alu instid0(VALU_DEP_1) | instskip(SKIP_1) | instid1(VALU_DEP_2)
	v_dual_fmac_f32 v11, v14, v47 :: v_dual_fmac_f32 v10, v17, v48
	v_add_nc_u32_e32 v5, 2, v8
	v_fmac_f32_e32 v11, v18, v48
	s_delay_alu instid0(VALU_DEP_2) | instskip(SKIP_1) | instid1(VALU_DEP_1)
	v_lshlrev_b64 v[19:20], 2, v[5:6]
	v_subrev_nc_u32_e32 v5, 22, v3
	v_lshlrev_b64 v[23:24], 2, v[5:6]
	v_add_nc_u32_e32 v5, 3, v8
	s_delay_alu instid0(VALU_DEP_4) | instskip(SKIP_1) | instid1(VALU_DEP_3)
	v_add_co_u32 v19, vcc_lo, s10, v19
	v_add_co_ci_u32_e32 v20, vcc_lo, s11, v20, vcc_lo
	v_lshlrev_b64 v[25:26], 2, v[5:6]
	v_subrev_nc_u32_e32 v5, 20, v3
	global_load_b32 v49, v[19:20], off
	v_add_co_u32 v19, vcc_lo, s8, v23
	v_add_co_ci_u32_e32 v20, vcc_lo, s9, v24, vcc_lo
	v_lshlrev_b64 v[23:24], 2, v[5:6]
	v_add_co_u32 v25, vcc_lo, s10, v25
	v_add_co_ci_u32_e32 v26, vcc_lo, s11, v26, vcc_lo
	s_delay_alu instid0(VALU_DEP_3) | instskip(NEXT) | instid1(VALU_DEP_4)
	v_add_co_u32 v23, vcc_lo, s8, v23
	v_add_co_ci_u32_e32 v24, vcc_lo, s9, v24, vcc_lo
	global_load_b32 v50, v[25:26], off
	global_load_b64 v[23:24], v[23:24], off
	v_add_nc_u32_e32 v5, 4, v8
	global_load_b64 v[19:20], v[19:20], off
	v_lshlrev_b64 v[27:28], 2, v[5:6]
	v_subrev_nc_u32_e32 v5, 18, v3
	s_delay_alu instid0(VALU_DEP_2) | instskip(NEXT) | instid1(VALU_DEP_3)
	v_add_co_u32 v27, vcc_lo, s10, v27
	v_add_co_ci_u32_e32 v28, vcc_lo, s11, v28, vcc_lo
	global_load_b32 v51, v[27:28], off
	v_lshlrev_b64 v[25:26], 2, v[5:6]
	v_add_nc_u32_e32 v5, 5, v8
	s_delay_alu instid0(VALU_DEP_1) | instskip(NEXT) | instid1(VALU_DEP_3)
	v_lshlrev_b64 v[29:30], 2, v[5:6]
	v_add_co_u32 v25, vcc_lo, s8, v25
	s_delay_alu instid0(VALU_DEP_4) | instskip(NEXT) | instid1(VALU_DEP_3)
	v_add_co_ci_u32_e32 v26, vcc_lo, s9, v26, vcc_lo
	v_add_co_u32 v29, vcc_lo, s10, v29
	s_delay_alu instid0(VALU_DEP_4)
	v_add_co_ci_u32_e32 v30, vcc_lo, s11, v30, vcc_lo
	global_load_b64 v[25:26], v[25:26], off
	global_load_b32 v52, v[29:30], off
	s_waitcnt vmcnt(6)
	v_fmac_f32_e32 v10, v21, v49
	s_waitcnt vmcnt(3)
	s_delay_alu instid0(VALU_DEP_1) | instskip(SKIP_1) | instid1(VALU_DEP_1)
	v_dual_fmac_f32 v11, v22, v49 :: v_dual_fmac_f32 v10, v19, v50
	s_waitcnt vmcnt(2)
	v_dual_fmac_f32 v11, v20, v50 :: v_dual_fmac_f32 v10, v23, v51
	v_add_nc_u32_e32 v5, -16, v3
	s_delay_alu instid0(VALU_DEP_2) | instskip(NEXT) | instid1(VALU_DEP_2)
	v_fmac_f32_e32 v11, v24, v51
	v_lshlrev_b64 v[27:28], 2, v[5:6]
	v_add_nc_u32_e32 v5, 6, v8
	s_delay_alu instid0(VALU_DEP_1) | instskip(NEXT) | instid1(VALU_DEP_3)
	v_lshlrev_b64 v[31:32], 2, v[5:6]
	v_add_co_u32 v27, vcc_lo, s8, v27
	s_delay_alu instid0(VALU_DEP_4) | instskip(SKIP_1) | instid1(VALU_DEP_4)
	v_add_co_ci_u32_e32 v28, vcc_lo, s9, v28, vcc_lo
	v_add_nc_u32_e32 v5, -14, v3
	v_add_co_u32 v31, vcc_lo, s10, v31
	v_add_co_ci_u32_e32 v32, vcc_lo, s11, v32, vcc_lo
	global_load_b64 v[27:28], v[27:28], off
	global_load_b32 v53, v[31:32], off
	v_lshlrev_b64 v[29:30], 2, v[5:6]
	v_add_nc_u32_e32 v5, 7, v8
	s_waitcnt vmcnt(2)
	v_fmac_f32_e32 v10, v25, v52
	v_fmac_f32_e32 v11, v26, v52
	s_delay_alu instid0(VALU_DEP_3) | instskip(SKIP_3) | instid1(VALU_DEP_3)
	v_lshlrev_b64 v[33:34], 2, v[5:6]
	v_add_nc_u32_e32 v5, -12, v3
	v_add_co_u32 v29, vcc_lo, s8, v29
	v_add_co_ci_u32_e32 v30, vcc_lo, s9, v30, vcc_lo
	v_lshlrev_b64 v[31:32], 2, v[5:6]
	v_add_nc_u32_e32 v5, 8, v8
	v_add_co_u32 v33, vcc_lo, s10, v33
	v_add_co_ci_u32_e32 v34, vcc_lo, s11, v34, vcc_lo
	s_delay_alu instid0(VALU_DEP_3) | instskip(SKIP_3) | instid1(VALU_DEP_4)
	v_lshlrev_b64 v[35:36], 2, v[5:6]
	v_add_co_u32 v31, vcc_lo, s8, v31
	v_add_co_ci_u32_e32 v32, vcc_lo, s9, v32, vcc_lo
	v_add_nc_u32_e32 v5, -10, v3
	v_add_co_u32 v35, vcc_lo, s10, v35
	v_add_co_ci_u32_e32 v36, vcc_lo, s11, v36, vcc_lo
	global_load_b32 v54, v[33:34], off
	s_clause 0x1
	global_load_b64 v[29:30], v[29:30], off
	global_load_b64 v[31:32], v[31:32], off
	global_load_b32 v55, v[35:36], off
	v_lshlrev_b64 v[33:34], 2, v[5:6]
	v_add_nc_u32_e32 v5, 9, v8
	s_delay_alu instid0(VALU_DEP_1) | instskip(SKIP_1) | instid1(VALU_DEP_4)
	v_lshlrev_b64 v[37:38], 2, v[5:6]
	v_add_nc_u32_e32 v5, -8, v3
	v_add_co_u32 v33, vcc_lo, s8, v33
	v_add_co_ci_u32_e32 v34, vcc_lo, s9, v34, vcc_lo
	s_delay_alu instid0(VALU_DEP_3) | instskip(SKIP_3) | instid1(VALU_DEP_3)
	v_lshlrev_b64 v[35:36], 2, v[5:6]
	v_add_nc_u32_e32 v5, 10, v8
	v_add_co_u32 v37, vcc_lo, s10, v37
	v_add_co_ci_u32_e32 v38, vcc_lo, s11, v38, vcc_lo
	v_lshlrev_b64 v[39:40], 2, v[5:6]
	v_add_co_u32 v35, vcc_lo, s8, v35
	v_add_co_ci_u32_e32 v36, vcc_lo, s9, v36, vcc_lo
	v_add_nc_u32_e32 v5, -6, v3
	s_delay_alu instid0(VALU_DEP_4)
	v_add_co_u32 v39, vcc_lo, s10, v39
	v_add_co_ci_u32_e32 v40, vcc_lo, s11, v40, vcc_lo
	global_load_b32 v56, v[37:38], off
	s_clause 0x1
	global_load_b64 v[33:34], v[33:34], off
	global_load_b64 v[35:36], v[35:36], off
	global_load_b32 v57, v[39:40], off
	v_lshlrev_b64 v[37:38], 2, v[5:6]
	v_add_nc_u32_e32 v5, 11, v8
	s_delay_alu instid0(VALU_DEP_1) | instskip(SKIP_1) | instid1(VALU_DEP_4)
	v_lshlrev_b64 v[41:42], 2, v[5:6]
	v_add_nc_u32_e32 v5, -4, v3
	v_add_co_u32 v37, vcc_lo, s8, v37
	v_add_co_ci_u32_e32 v38, vcc_lo, s9, v38, vcc_lo
	s_delay_alu instid0(VALU_DEP_3) | instskip(SKIP_3) | instid1(VALU_DEP_3)
	v_lshlrev_b64 v[39:40], 2, v[5:6]
	v_add_nc_u32_e32 v5, 12, v8
	v_add_co_u32 v41, vcc_lo, s10, v41
	v_add_co_ci_u32_e32 v42, vcc_lo, s11, v42, vcc_lo
	v_lshlrev_b64 v[43:44], 2, v[5:6]
	v_add_co_u32 v39, vcc_lo, s8, v39
	v_add_co_ci_u32_e32 v40, vcc_lo, s9, v40, vcc_lo
	v_add_nc_u32_e32 v5, -2, v3
	s_delay_alu instid0(VALU_DEP_4)
	v_add_co_u32 v43, vcc_lo, s10, v43
	v_add_co_ci_u32_e32 v44, vcc_lo, s11, v44, vcc_lo
	global_load_b32 v58, v[41:42], off
	s_clause 0x1
	global_load_b64 v[37:38], v[37:38], off
	global_load_b64 v[39:40], v[39:40], off
	global_load_b32 v43, v[43:44], off
	v_lshlrev_b64 v[41:42], 2, v[5:6]
	v_add_nc_u32_e32 v5, 13, v8
	v_add_nc_u32_e32 v3, 0x1e0, v3
	s_delay_alu instid0(VALU_DEP_2) | instskip(SKIP_3) | instid1(VALU_DEP_3)
	v_lshlrev_b64 v[45:46], 2, v[5:6]
	v_add_nc_u32_e32 v5, 14, v8
	v_add_co_u32 v8, vcc_lo, s8, v41
	v_add_co_ci_u32_e32 v9, vcc_lo, s9, v42, vcc_lo
	v_lshlrev_b64 v[4:5], 2, v[5:6]
	v_add_co_u32 v41, vcc_lo, s10, v45
	v_add_co_ci_u32_e32 v42, vcc_lo, s11, v46, vcc_lo
	global_load_b64 v[8:9], v[8:9], off
	global_load_b32 v41, v[41:42], off
	v_add_co_u32 v4, vcc_lo, s10, v4
	v_add_co_ci_u32_e32 v5, vcc_lo, s11, v5, vcc_lo
	global_load_b64 v[15:16], v[15:16], off
	global_load_b32 v4, v[4:5], off
	v_cmp_ge_i32_e32 vcc_lo, v7, v12
	s_or_b32 s5, vcc_lo, s5
	s_waitcnt vmcnt(16)
	v_fmac_f32_e32 v10, v27, v53
	s_waitcnt vmcnt(14)
	s_delay_alu instid0(VALU_DEP_1) | instskip(SKIP_1) | instid1(VALU_DEP_1)
	v_dual_fmac_f32 v11, v28, v53 :: v_dual_fmac_f32 v10, v29, v54
	s_waitcnt vmcnt(12)
	v_dual_fmac_f32 v11, v30, v54 :: v_dual_fmac_f32 v10, v31, v55
	s_waitcnt vmcnt(10)
	s_delay_alu instid0(VALU_DEP_1) | instskip(SKIP_1) | instid1(VALU_DEP_1)
	v_dual_fmac_f32 v11, v32, v55 :: v_dual_fmac_f32 v10, v33, v56
	s_waitcnt vmcnt(8)
	v_dual_fmac_f32 v11, v34, v56 :: v_dual_fmac_f32 v10, v35, v57
	;; [unrolled: 5-line block ×3, first 2 shown]
	s_delay_alu instid0(VALU_DEP_1) | instskip(SKIP_1) | instid1(VALU_DEP_2)
	v_fmac_f32_e32 v11, v40, v43
	s_waitcnt vmcnt(2)
	v_fmac_f32_e32 v10, v8, v41
	s_waitcnt vmcnt(0)
	s_delay_alu instid0(VALU_DEP_1) | instskip(NEXT) | instid1(VALU_DEP_1)
	v_dual_fmac_f32 v11, v9, v41 :: v_dual_fmac_f32 v10, v15, v4
	v_fmac_f32_e32 v11, v16, v4
	s_and_not1_b32 exec_lo, exec_lo, s5
	s_cbranch_execnz .LBB67_9
; %bb.10:
	s_or_b32 exec_lo, exec_lo, s5
.LBB67_11:
	s_delay_alu instid0(SALU_CYCLE_1) | instskip(NEXT) | instid1(SALU_CYCLE_1)
	s_or_b32 exec_lo, exec_lo, s4
	s_and_not1_b32 vcc_lo, exec_lo, s3
	s_cbranch_vccz .LBB67_13
	s_branch .LBB67_18
.LBB67_12:
                                        ; implicit-def: $vgpr10
                                        ; implicit-def: $vgpr11
.LBB67_13:
	v_dual_mov_b32 v10, 0 :: v_dual_mov_b32 v11, 0
	s_delay_alu instid0(VALU_DEP_2)
	s_and_saveexec_b32 s3, s2
	s_cbranch_execz .LBB67_17
; %bb.14:
	v_mad_u64_u32 v[4:5], null, v2, 30, 29
	v_dual_mov_b32 v7, 0 :: v_dual_mov_b32 v10, 0
	v_mov_b32_e32 v11, 0
	s_mov_b32 s2, 0
.LBB67_15:                              ; =>This Inner Loop Header: Depth=1
	v_ashrrev_i32_e32 v3, 31, v2
	s_delay_alu instid0(VALU_DEP_3) | instskip(NEXT) | instid1(VALU_DEP_2)
	v_dual_mov_b32 v14, v7 :: v_dual_add_nc_u32 v13, -14, v4
	v_lshlrev_b64 v[5:6], 2, v[2:3]
	v_add_nc_u32_e32 v2, 16, v2
	s_delay_alu instid0(VALU_DEP_3) | instskip(NEXT) | instid1(VALU_DEP_3)
	v_lshlrev_b64 v[13:14], 2, v[13:14]
	v_add_co_u32 v5, vcc_lo, s6, v5
	s_delay_alu instid0(VALU_DEP_4) | instskip(SKIP_3) | instid1(VALU_DEP_2)
	v_add_co_ci_u32_e32 v6, vcc_lo, s7, v6, vcc_lo
	global_load_b32 v3, v[5:6], off
	v_subrev_nc_u32_e32 v6, 29, v4
	v_mov_b32_e32 v5, v7
	v_lshlrev_b64 v[15:16], 2, v[6:7]
	s_delay_alu instid0(VALU_DEP_2) | instskip(NEXT) | instid1(VALU_DEP_2)
	v_lshlrev_b64 v[5:6], 2, v[4:5]
	v_add_co_u32 v15, vcc_lo, s8, v15
	s_delay_alu instid0(VALU_DEP_3)
	v_add_co_ci_u32_e32 v16, vcc_lo, s9, v16, vcc_lo
	v_add_co_u32 v13, vcc_lo, s8, v13
	v_add_co_ci_u32_e32 v14, vcc_lo, s9, v14, vcc_lo
	v_add_co_u32 v17, vcc_lo, s8, v5
	v_add_co_ci_u32_e32 v18, vcc_lo, s9, v6, vcc_lo
	s_clause 0x1
	global_load_b64 v[15:16], v[15:16], off
	global_load_b32 v23, v[13:14], off
	s_waitcnt vmcnt(2)
	v_subrev_nc_u32_e32 v3, s18, v3
	s_delay_alu instid0(VALU_DEP_1) | instskip(NEXT) | instid1(VALU_DEP_1)
	v_mul_lo_u32 v8, v3, 15
	v_dual_mov_b32 v9, v7 :: v_dual_add_nc_u32 v6, 1, v8
	s_delay_alu instid0(VALU_DEP_1) | instskip(NEXT) | instid1(VALU_DEP_2)
	v_lshlrev_b64 v[13:14], 2, v[8:9]
	v_lshlrev_b64 v[19:20], 2, v[6:7]
	v_add_nc_u32_e32 v6, -13, v4
	s_delay_alu instid0(VALU_DEP_3) | instskip(NEXT) | instid1(VALU_DEP_4)
	v_add_co_u32 v13, vcc_lo, s10, v13
	v_add_co_ci_u32_e32 v14, vcc_lo, s11, v14, vcc_lo
	s_delay_alu instid0(VALU_DEP_3)
	v_lshlrev_b64 v[21:22], 2, v[6:7]
	v_subrev_nc_u32_e32 v6, 27, v4
	global_load_b32 v3, v[13:14], off
	v_add_co_u32 v13, vcc_lo, s10, v19
	v_add_co_ci_u32_e32 v14, vcc_lo, s11, v20, vcc_lo
	v_add_co_u32 v21, vcc_lo, s8, v21
	v_add_co_ci_u32_e32 v22, vcc_lo, s9, v22, vcc_lo
	global_load_b32 v24, v[13:14], off
	v_lshlrev_b64 v[19:20], 2, v[6:7]
	v_add_nc_u32_e32 v6, 2, v8
	global_load_b32 v25, v[21:22], off
	v_add_co_u32 v19, vcc_lo, s8, v19
	v_add_co_ci_u32_e32 v20, vcc_lo, s9, v20, vcc_lo
	global_load_b32 v26, v[19:20], off
	s_waitcnt vmcnt(3)
	v_fmac_f32_e32 v11, v23, v3
	v_lshlrev_b64 v[13:14], 2, v[6:7]
	v_fmac_f32_e32 v10, v15, v3
	s_delay_alu instid0(VALU_DEP_2) | instskip(NEXT) | instid1(VALU_DEP_3)
	v_add_co_u32 v13, vcc_lo, s10, v13
	v_add_co_ci_u32_e32 v14, vcc_lo, s11, v14, vcc_lo
	s_waitcnt vmcnt(1)
	v_fmac_f32_e32 v11, v25, v24
	v_fmac_f32_e32 v10, v16, v24
	global_load_b32 v27, v[13:14], off
	v_add_nc_u32_e32 v6, -12, v4
	s_delay_alu instid0(VALU_DEP_1) | instskip(SKIP_1) | instid1(VALU_DEP_2)
	v_lshlrev_b64 v[21:22], 2, v[6:7]
	v_subrev_nc_u32_e32 v6, 26, v4
	v_add_co_u32 v13, vcc_lo, s8, v21
	s_delay_alu instid0(VALU_DEP_3) | instskip(SKIP_2) | instid1(VALU_DEP_1)
	v_add_co_ci_u32_e32 v14, vcc_lo, s9, v22, vcc_lo
	global_load_b32 v28, v[13:14], off
	v_lshlrev_b64 v[19:20], 2, v[6:7]
	v_add_co_u32 v19, vcc_lo, s8, v19
	s_delay_alu instid0(VALU_DEP_2) | instskip(SKIP_3) | instid1(VALU_DEP_1)
	v_add_co_ci_u32_e32 v20, vcc_lo, s9, v20, vcc_lo
	global_load_b32 v29, v[19:20], off
	s_waitcnt vmcnt(1)
	v_dual_fmac_f32 v11, v28, v27 :: v_dual_add_nc_u32 v6, 3, v8
	v_lshlrev_b64 v[21:22], 2, v[6:7]
	v_add_nc_u32_e32 v6, -11, v4
	s_delay_alu instid0(VALU_DEP_1) | instskip(SKIP_1) | instid1(VALU_DEP_4)
	v_lshlrev_b64 v[13:14], 2, v[6:7]
	v_subrev_nc_u32_e32 v6, 25, v4
	v_add_co_u32 v19, vcc_lo, s10, v21
	v_add_co_ci_u32_e32 v20, vcc_lo, s11, v22, vcc_lo
	s_delay_alu instid0(VALU_DEP_3)
	v_lshlrev_b64 v[21:22], 2, v[6:7]
	v_add_nc_u32_e32 v6, 4, v8
	v_add_co_u32 v13, vcc_lo, s8, v13
	v_add_co_ci_u32_e32 v14, vcc_lo, s9, v14, vcc_lo
	global_load_b32 v30, v[19:20], off
	v_lshlrev_b64 v[19:20], 2, v[6:7]
	v_add_nc_u32_e32 v6, -10, v4
	global_load_b32 v31, v[13:14], off
	v_add_co_u32 v13, vcc_lo, s8, v21
	v_add_co_ci_u32_e32 v14, vcc_lo, s9, v22, vcc_lo
	v_lshlrev_b64 v[21:22], 2, v[6:7]
	v_subrev_nc_u32_e32 v6, 24, v4
	v_add_co_u32 v19, vcc_lo, s10, v19
	v_add_co_ci_u32_e32 v20, vcc_lo, s11, v20, vcc_lo
	global_load_b32 v32, v[13:14], off
	v_lshlrev_b64 v[13:14], 2, v[6:7]
	v_add_nc_u32_e32 v6, 5, v8
	global_load_b32 v33, v[19:20], off
	v_add_co_u32 v19, vcc_lo, s8, v21
	v_add_co_ci_u32_e32 v20, vcc_lo, s9, v22, vcc_lo
	v_add_co_u32 v13, vcc_lo, s8, v13
	v_lshlrev_b64 v[21:22], 2, v[6:7]
	v_add_nc_u32_e32 v6, -9, v4
	v_add_co_ci_u32_e32 v14, vcc_lo, s9, v14, vcc_lo
	s_clause 0x1
	global_load_b32 v34, v[19:20], off
	global_load_b32 v35, v[13:14], off
	v_lshlrev_b64 v[19:20], 2, v[6:7]
	v_subrev_nc_u32_e32 v6, 23, v4
	v_add_co_u32 v13, vcc_lo, s10, v21
	v_add_co_ci_u32_e32 v14, vcc_lo, s11, v22, vcc_lo
	s_delay_alu instid0(VALU_DEP_3)
	v_lshlrev_b64 v[21:22], 2, v[6:7]
	v_add_nc_u32_e32 v6, 6, v8
	v_add_co_u32 v19, vcc_lo, s8, v19
	v_add_co_ci_u32_e32 v20, vcc_lo, s9, v20, vcc_lo
	global_load_b32 v36, v[13:14], off
	v_lshlrev_b64 v[13:14], 2, v[6:7]
	v_add_nc_u32_e32 v6, -8, v4
	global_load_b32 v37, v[19:20], off
	v_add_co_u32 v19, vcc_lo, s8, v21
	v_add_co_ci_u32_e32 v20, vcc_lo, s9, v22, vcc_lo
	v_add_co_u32 v13, vcc_lo, s10, v13
	v_lshlrev_b64 v[21:22], 2, v[6:7]
	v_add_co_ci_u32_e32 v14, vcc_lo, s11, v14, vcc_lo
	v_subrev_nc_u32_e32 v6, 22, v4
	global_load_b32 v38, v[19:20], off
	global_load_b32 v39, v[13:14], off
	v_add_co_u32 v13, vcc_lo, s8, v21
	v_add_co_ci_u32_e32 v14, vcc_lo, s9, v22, vcc_lo
	global_load_b32 v40, v[13:14], off
	v_lshlrev_b64 v[19:20], 2, v[6:7]
	v_add_nc_u32_e32 v6, 7, v8
	s_delay_alu instid0(VALU_DEP_1) | instskip(SKIP_1) | instid1(VALU_DEP_4)
	v_lshlrev_b64 v[21:22], 2, v[6:7]
	v_add_nc_u32_e32 v6, -7, v4
	v_add_co_u32 v19, vcc_lo, s8, v19
	v_add_co_ci_u32_e32 v20, vcc_lo, s9, v20, vcc_lo
	s_delay_alu instid0(VALU_DEP_3)
	v_lshlrev_b64 v[13:14], 2, v[6:7]
	v_subrev_nc_u32_e32 v6, 21, v4
	global_load_b32 v41, v[19:20], off
	v_add_co_u32 v19, vcc_lo, s10, v21
	v_add_co_ci_u32_e32 v20, vcc_lo, s11, v22, vcc_lo
	v_lshlrev_b64 v[21:22], 2, v[6:7]
	v_add_nc_u32_e32 v6, 8, v8
	v_add_co_u32 v13, vcc_lo, s8, v13
	v_add_co_ci_u32_e32 v14, vcc_lo, s9, v14, vcc_lo
	global_load_b32 v42, v[19:20], off
	v_lshlrev_b64 v[19:20], 2, v[6:7]
	v_add_nc_u32_e32 v6, -6, v4
	global_load_b32 v43, v[13:14], off
	v_add_co_u32 v13, vcc_lo, s8, v21
	v_add_co_ci_u32_e32 v14, vcc_lo, s9, v22, vcc_lo
	v_lshlrev_b64 v[21:22], 2, v[6:7]
	v_subrev_nc_u32_e32 v6, 20, v4
	v_add_co_u32 v19, vcc_lo, s10, v19
	v_add_co_ci_u32_e32 v20, vcc_lo, s11, v20, vcc_lo
	global_load_b32 v44, v[13:14], off
	v_lshlrev_b64 v[13:14], 2, v[6:7]
	v_add_nc_u32_e32 v6, 9, v8
	global_load_b32 v45, v[19:20], off
	v_add_co_u32 v19, vcc_lo, s8, v21
	v_add_co_ci_u32_e32 v20, vcc_lo, s9, v22, vcc_lo
	v_add_co_u32 v13, vcc_lo, s8, v13
	v_lshlrev_b64 v[21:22], 2, v[6:7]
	v_add_nc_u32_e32 v6, -5, v4
	v_add_co_ci_u32_e32 v14, vcc_lo, s9, v14, vcc_lo
	s_clause 0x1
	global_load_b32 v46, v[19:20], off
	global_load_b32 v47, v[13:14], off
	v_lshlrev_b64 v[19:20], 2, v[6:7]
	v_subrev_nc_u32_e32 v6, 19, v4
	v_add_co_u32 v13, vcc_lo, s10, v21
	v_add_co_ci_u32_e32 v14, vcc_lo, s11, v22, vcc_lo
	s_delay_alu instid0(VALU_DEP_3)
	v_lshlrev_b64 v[21:22], 2, v[6:7]
	v_add_nc_u32_e32 v6, 10, v8
	v_add_co_u32 v19, vcc_lo, s8, v19
	v_add_co_ci_u32_e32 v20, vcc_lo, s9, v20, vcc_lo
	global_load_b32 v48, v[13:14], off
	v_lshlrev_b64 v[13:14], 2, v[6:7]
	v_add_nc_u32_e32 v6, -4, v4
	global_load_b32 v49, v[19:20], off
	v_add_co_u32 v19, vcc_lo, s8, v21
	v_add_co_ci_u32_e32 v20, vcc_lo, s9, v22, vcc_lo
	v_add_co_u32 v13, vcc_lo, s10, v13
	v_lshlrev_b64 v[21:22], 2, v[6:7]
	v_add_co_ci_u32_e32 v14, vcc_lo, s11, v14, vcc_lo
	v_subrev_nc_u32_e32 v6, 18, v4
	global_load_b32 v50, v[19:20], off
	global_load_b32 v51, v[13:14], off
	v_add_co_u32 v13, vcc_lo, s8, v21
	v_add_co_ci_u32_e32 v14, vcc_lo, s9, v22, vcc_lo
	global_load_b32 v52, v[13:14], off
	v_lshlrev_b64 v[19:20], 2, v[6:7]
	v_add_nc_u32_e32 v6, 11, v8
	s_delay_alu instid0(VALU_DEP_1) | instskip(SKIP_1) | instid1(VALU_DEP_4)
	v_lshlrev_b64 v[21:22], 2, v[6:7]
	v_add_nc_u32_e32 v6, -3, v4
	v_add_co_u32 v19, vcc_lo, s8, v19
	v_add_co_ci_u32_e32 v20, vcc_lo, s9, v20, vcc_lo
	s_delay_alu instid0(VALU_DEP_3)
	v_lshlrev_b64 v[13:14], 2, v[6:7]
	v_subrev_nc_u32_e32 v6, 17, v4
	global_load_b32 v53, v[19:20], off
	v_add_co_u32 v19, vcc_lo, s10, v21
	v_add_co_ci_u32_e32 v20, vcc_lo, s11, v22, vcc_lo
	v_lshlrev_b64 v[21:22], 2, v[6:7]
	v_add_nc_u32_e32 v6, 12, v8
	v_add_co_u32 v13, vcc_lo, s8, v13
	v_add_co_ci_u32_e32 v14, vcc_lo, s9, v14, vcc_lo
	global_load_b32 v54, v[19:20], off
	v_lshlrev_b64 v[19:20], 2, v[6:7]
	v_add_nc_u32_e32 v6, -2, v4
	global_load_b32 v55, v[13:14], off
	v_add_co_u32 v13, vcc_lo, s8, v21
	v_add_co_ci_u32_e32 v14, vcc_lo, s9, v22, vcc_lo
	v_lshlrev_b64 v[21:22], 2, v[6:7]
	v_add_nc_u32_e32 v6, -16, v4
	v_add_co_u32 v19, vcc_lo, s10, v19
	v_add_co_ci_u32_e32 v20, vcc_lo, s11, v20, vcc_lo
	global_load_b32 v56, v[13:14], off
	v_lshlrev_b64 v[13:14], 2, v[6:7]
	v_add_nc_u32_e32 v6, 13, v8
	global_load_b32 v57, v[19:20], off
	v_add_co_u32 v19, vcc_lo, s8, v21
	v_add_co_ci_u32_e32 v20, vcc_lo, s9, v22, vcc_lo
	v_add_co_u32 v13, vcc_lo, s8, v13
	v_lshlrev_b64 v[21:22], 2, v[6:7]
	v_add_nc_u32_e32 v6, -1, v4
	v_add_co_ci_u32_e32 v14, vcc_lo, s9, v14, vcc_lo
	s_clause 0x1
	global_load_b32 v58, v[19:20], off
	global_load_b32 v59, v[13:14], off
	v_lshlrev_b64 v[19:20], 2, v[6:7]
	v_add_nc_u32_e32 v6, -15, v4
	v_add_co_u32 v13, vcc_lo, s10, v21
	v_add_co_ci_u32_e32 v14, vcc_lo, s11, v22, vcc_lo
	s_delay_alu instid0(VALU_DEP_3) | instskip(SKIP_3) | instid1(VALU_DEP_3)
	v_lshlrev_b64 v[21:22], 2, v[6:7]
	v_add_nc_u32_e32 v6, 14, v8
	v_add_co_u32 v8, vcc_lo, s8, v19
	v_add_co_ci_u32_e32 v9, vcc_lo, s9, v20, vcc_lo
	v_lshlrev_b64 v[5:6], 2, v[6:7]
	global_load_b32 v13, v[13:14], off
	v_add_nc_u32_e32 v4, 0x1e0, v4
	global_load_b32 v14, v[8:9], off
	v_add_co_u32 v8, vcc_lo, s8, v21
	v_add_co_ci_u32_e32 v9, vcc_lo, s9, v22, vcc_lo
	v_add_co_u32 v5, vcc_lo, s10, v5
	v_add_co_ci_u32_e32 v6, vcc_lo, s11, v6, vcc_lo
	s_clause 0x1
	global_load_b32 v17, v[17:18], off
	global_load_b32 v8, v[8:9], off
	;; [unrolled: 1-line block ×3, first 2 shown]
	v_cmp_ge_i32_e32 vcc_lo, v2, v12
	s_or_b32 s2, vcc_lo, s2
	s_waitcnt vmcnt(33)
	v_fmac_f32_e32 v11, v31, v30
	s_waitcnt vmcnt(30)
	s_delay_alu instid0(VALU_DEP_1) | instskip(SKIP_1) | instid1(VALU_DEP_1)
	v_fmac_f32_e32 v11, v34, v33
	s_waitcnt vmcnt(27)
	v_dual_fmac_f32 v10, v26, v27 :: v_dual_fmac_f32 v11, v37, v36
	s_waitcnt vmcnt(24)
	s_delay_alu instid0(VALU_DEP_1) | instskip(SKIP_1) | instid1(VALU_DEP_1)
	v_dual_fmac_f32 v10, v29, v30 :: v_dual_fmac_f32 v11, v40, v39
	s_waitcnt vmcnt(21)
	v_fmac_f32_e32 v11, v43, v42
	s_waitcnt vmcnt(18)
	s_delay_alu instid0(VALU_DEP_1) | instskip(SKIP_1) | instid1(VALU_DEP_1)
	v_fmac_f32_e32 v11, v46, v45
	s_waitcnt vmcnt(15)
	v_dual_fmac_f32 v10, v32, v33 :: v_dual_fmac_f32 v11, v49, v48
	s_delay_alu instid0(VALU_DEP_1) | instskip(NEXT) | instid1(VALU_DEP_1)
	v_fmac_f32_e32 v10, v35, v36
	v_fmac_f32_e32 v10, v38, v39
	s_delay_alu instid0(VALU_DEP_1) | instskip(NEXT) | instid1(VALU_DEP_1)
	v_fmac_f32_e32 v10, v41, v42
	v_fmac_f32_e32 v10, v44, v45
	s_waitcnt vmcnt(12)
	s_delay_alu instid0(VALU_DEP_1) | instskip(NEXT) | instid1(VALU_DEP_1)
	v_dual_fmac_f32 v10, v47, v48 :: v_dual_fmac_f32 v11, v52, v51
	v_fmac_f32_e32 v10, v50, v51
	s_waitcnt vmcnt(10)
	s_delay_alu instid0(VALU_DEP_1) | instskip(SKIP_1) | instid1(VALU_DEP_1)
	v_fmac_f32_e32 v10, v53, v54
	s_waitcnt vmcnt(7)
	v_dual_fmac_f32 v11, v55, v54 :: v_dual_fmac_f32 v10, v56, v57
	s_waitcnt vmcnt(6)
	s_delay_alu instid0(VALU_DEP_1) | instskip(SKIP_1) | instid1(VALU_DEP_2)
	v_fmac_f32_e32 v11, v58, v57
	s_waitcnt vmcnt(4)
	v_fmac_f32_e32 v10, v59, v13
	s_waitcnt vmcnt(3)
	s_delay_alu instid0(VALU_DEP_2) | instskip(SKIP_1) | instid1(VALU_DEP_2)
	v_fmac_f32_e32 v11, v14, v13
	s_waitcnt vmcnt(0)
	v_fmac_f32_e32 v10, v8, v5
	s_delay_alu instid0(VALU_DEP_2)
	v_fmac_f32_e32 v11, v17, v5
	s_and_not1_b32 exec_lo, exec_lo, s2
	s_cbranch_execnz .LBB67_15
; %bb.16:
	s_or_b32 exec_lo, exec_lo, s2
.LBB67_17:
	s_delay_alu instid0(SALU_CYCLE_1)
	s_or_b32 exec_lo, exec_lo, s3
.LBB67_18:
	v_mbcnt_lo_u32_b32 v2, -1, 0
	s_mov_b32 s2, -1
	s_delay_alu instid0(VALU_DEP_1) | instskip(SKIP_2) | instid1(VALU_DEP_3)
	v_xor_b32_e32 v3, 8, v2
	v_xor_b32_e32 v5, 4, v2
	;; [unrolled: 1-line block ×3, first 2 shown]
	v_cmp_gt_i32_e32 vcc_lo, 32, v3
	v_cndmask_b32_e32 v3, v2, v3, vcc_lo
	s_delay_alu instid0(VALU_DEP_4) | instskip(NEXT) | instid1(VALU_DEP_2)
	v_cmp_gt_i32_e32 vcc_lo, 32, v5
	v_lshlrev_b32_e32 v3, 2, v3
	v_cndmask_b32_e32 v5, v2, v5, vcc_lo
	v_cmp_gt_i32_e32 vcc_lo, 32, v7
	ds_bpermute_b32 v4, v3, v10
	v_lshlrev_b32_e32 v5, 2, v5
	v_cndmask_b32_e32 v7, v2, v7, vcc_lo
	s_waitcnt lgkmcnt(0)
	s_delay_alu instid0(VALU_DEP_1)
	v_dual_add_f32 v4, v10, v4 :: v_dual_lshlrev_b32 v7, 2, v7
	ds_bpermute_b32 v3, v3, v11
	ds_bpermute_b32 v6, v5, v4
	s_waitcnt lgkmcnt(0)
	v_dual_add_f32 v4, v4, v6 :: v_dual_add_f32 v3, v11, v3
	ds_bpermute_b32 v5, v5, v3
	s_waitcnt lgkmcnt(0)
	v_add_f32_e32 v3, v3, v5
	ds_bpermute_b32 v5, v7, v4
	ds_bpermute_b32 v6, v7, v3
	v_xor_b32_e32 v7, 1, v2
	s_delay_alu instid0(VALU_DEP_1) | instskip(SKIP_3) | instid1(VALU_DEP_2)
	v_cmp_gt_i32_e32 vcc_lo, 32, v7
	v_cndmask_b32_e32 v2, v2, v7, vcc_lo
	v_cmp_eq_u32_e32 vcc_lo, 15, v0
	s_waitcnt lgkmcnt(1)
	v_dual_add_f32 v2, v4, v5 :: v_dual_lshlrev_b32 v7, 2, v2
	s_waitcnt lgkmcnt(0)
	v_add_f32_e32 v3, v3, v6
	ds_bpermute_b32 v4, v7, v2
	ds_bpermute_b32 v5, v7, v3
	s_and_b32 exec_lo, exec_lo, vcc_lo
	s_cbranch_execz .LBB67_23
; %bb.19:
	s_load_b64 s[0:1], s[0:1], 0x38
	s_waitcnt lgkmcnt(0)
	v_dual_add_f32 v0, v2, v4 :: v_dual_add_f32 v3, v3, v5
	v_cmp_eq_f32_e64 s3, s12, 0
	s_delay_alu instid0(VALU_DEP_2) | instskip(SKIP_1) | instid1(VALU_DEP_3)
	v_dual_mul_f32 v2, s16, v0 :: v_dual_mul_f32 v3, s16, v3
	v_lshlrev_b32_e32 v0, 1, v1
	s_and_b32 vcc_lo, exec_lo, s3
	s_cbranch_vccz .LBB67_21
; %bb.20:
	s_delay_alu instid0(VALU_DEP_1) | instskip(SKIP_1) | instid1(VALU_DEP_1)
	v_ashrrev_i32_e32 v1, 31, v0
	s_mov_b32 s2, 0
	v_lshlrev_b64 v[4:5], 2, v[0:1]
	s_delay_alu instid0(VALU_DEP_1) | instskip(NEXT) | instid1(VALU_DEP_2)
	v_add_co_u32 v4, vcc_lo, s0, v4
	v_add_co_ci_u32_e32 v5, vcc_lo, s1, v5, vcc_lo
	global_store_b64 v[4:5], v[2:3], off
.LBB67_21:
	s_and_not1_b32 vcc_lo, exec_lo, s2
	s_cbranch_vccnz .LBB67_23
; %bb.22:
	v_ashrrev_i32_e32 v1, 31, v0
	s_delay_alu instid0(VALU_DEP_1) | instskip(NEXT) | instid1(VALU_DEP_1)
	v_lshlrev_b64 v[0:1], 2, v[0:1]
	v_add_co_u32 v0, vcc_lo, s0, v0
	s_delay_alu instid0(VALU_DEP_2)
	v_add_co_ci_u32_e32 v1, vcc_lo, s1, v1, vcc_lo
	global_load_b64 v[4:5], v[0:1], off
	s_waitcnt vmcnt(0)
	v_dual_fmac_f32 v2, s12, v4 :: v_dual_fmac_f32 v3, s12, v5
	global_store_b64 v[0:1], v[2:3], off
.LBB67_23:
	s_nop 0
	s_sendmsg sendmsg(MSG_DEALLOC_VGPRS)
	s_endpgm
	.section	.rodata,"a",@progbits
	.p2align	6, 0x0
	.amdhsa_kernel _ZN9rocsparseL19gebsrmvn_2xn_kernelILj128ELj15ELj16EfEEvi20rocsparse_direction_NS_24const_host_device_scalarIT2_EEPKiS6_PKS3_S8_S4_PS3_21rocsparse_index_base_b
		.amdhsa_group_segment_fixed_size 0
		.amdhsa_private_segment_fixed_size 0
		.amdhsa_kernarg_size 72
		.amdhsa_user_sgpr_count 15
		.amdhsa_user_sgpr_dispatch_ptr 0
		.amdhsa_user_sgpr_queue_ptr 0
		.amdhsa_user_sgpr_kernarg_segment_ptr 1
		.amdhsa_user_sgpr_dispatch_id 0
		.amdhsa_user_sgpr_private_segment_size 0
		.amdhsa_wavefront_size32 1
		.amdhsa_uses_dynamic_stack 0
		.amdhsa_enable_private_segment 0
		.amdhsa_system_sgpr_workgroup_id_x 1
		.amdhsa_system_sgpr_workgroup_id_y 0
		.amdhsa_system_sgpr_workgroup_id_z 0
		.amdhsa_system_sgpr_workgroup_info 0
		.amdhsa_system_vgpr_workitem_id 0
		.amdhsa_next_free_vgpr 60
		.amdhsa_next_free_sgpr 20
		.amdhsa_reserve_vcc 1
		.amdhsa_float_round_mode_32 0
		.amdhsa_float_round_mode_16_64 0
		.amdhsa_float_denorm_mode_32 3
		.amdhsa_float_denorm_mode_16_64 3
		.amdhsa_dx10_clamp 1
		.amdhsa_ieee_mode 1
		.amdhsa_fp16_overflow 0
		.amdhsa_workgroup_processor_mode 1
		.amdhsa_memory_ordered 1
		.amdhsa_forward_progress 0
		.amdhsa_shared_vgpr_count 0
		.amdhsa_exception_fp_ieee_invalid_op 0
		.amdhsa_exception_fp_denorm_src 0
		.amdhsa_exception_fp_ieee_div_zero 0
		.amdhsa_exception_fp_ieee_overflow 0
		.amdhsa_exception_fp_ieee_underflow 0
		.amdhsa_exception_fp_ieee_inexact 0
		.amdhsa_exception_int_div_zero 0
	.end_amdhsa_kernel
	.section	.text._ZN9rocsparseL19gebsrmvn_2xn_kernelILj128ELj15ELj16EfEEvi20rocsparse_direction_NS_24const_host_device_scalarIT2_EEPKiS6_PKS3_S8_S4_PS3_21rocsparse_index_base_b,"axG",@progbits,_ZN9rocsparseL19gebsrmvn_2xn_kernelILj128ELj15ELj16EfEEvi20rocsparse_direction_NS_24const_host_device_scalarIT2_EEPKiS6_PKS3_S8_S4_PS3_21rocsparse_index_base_b,comdat
.Lfunc_end67:
	.size	_ZN9rocsparseL19gebsrmvn_2xn_kernelILj128ELj15ELj16EfEEvi20rocsparse_direction_NS_24const_host_device_scalarIT2_EEPKiS6_PKS3_S8_S4_PS3_21rocsparse_index_base_b, .Lfunc_end67-_ZN9rocsparseL19gebsrmvn_2xn_kernelILj128ELj15ELj16EfEEvi20rocsparse_direction_NS_24const_host_device_scalarIT2_EEPKiS6_PKS3_S8_S4_PS3_21rocsparse_index_base_b
                                        ; -- End function
	.section	.AMDGPU.csdata,"",@progbits
; Kernel info:
; codeLenInByte = 3960
; NumSgprs: 22
; NumVgprs: 60
; ScratchSize: 0
; MemoryBound: 0
; FloatMode: 240
; IeeeMode: 1
; LDSByteSize: 0 bytes/workgroup (compile time only)
; SGPRBlocks: 2
; VGPRBlocks: 7
; NumSGPRsForWavesPerEU: 22
; NumVGPRsForWavesPerEU: 60
; Occupancy: 16
; WaveLimiterHint : 1
; COMPUTE_PGM_RSRC2:SCRATCH_EN: 0
; COMPUTE_PGM_RSRC2:USER_SGPR: 15
; COMPUTE_PGM_RSRC2:TRAP_HANDLER: 0
; COMPUTE_PGM_RSRC2:TGID_X_EN: 1
; COMPUTE_PGM_RSRC2:TGID_Y_EN: 0
; COMPUTE_PGM_RSRC2:TGID_Z_EN: 0
; COMPUTE_PGM_RSRC2:TIDIG_COMP_CNT: 0
	.section	.text._ZN9rocsparseL19gebsrmvn_2xn_kernelILj128ELj15ELj32EfEEvi20rocsparse_direction_NS_24const_host_device_scalarIT2_EEPKiS6_PKS3_S8_S4_PS3_21rocsparse_index_base_b,"axG",@progbits,_ZN9rocsparseL19gebsrmvn_2xn_kernelILj128ELj15ELj32EfEEvi20rocsparse_direction_NS_24const_host_device_scalarIT2_EEPKiS6_PKS3_S8_S4_PS3_21rocsparse_index_base_b,comdat
	.globl	_ZN9rocsparseL19gebsrmvn_2xn_kernelILj128ELj15ELj32EfEEvi20rocsparse_direction_NS_24const_host_device_scalarIT2_EEPKiS6_PKS3_S8_S4_PS3_21rocsparse_index_base_b ; -- Begin function _ZN9rocsparseL19gebsrmvn_2xn_kernelILj128ELj15ELj32EfEEvi20rocsparse_direction_NS_24const_host_device_scalarIT2_EEPKiS6_PKS3_S8_S4_PS3_21rocsparse_index_base_b
	.p2align	8
	.type	_ZN9rocsparseL19gebsrmvn_2xn_kernelILj128ELj15ELj32EfEEvi20rocsparse_direction_NS_24const_host_device_scalarIT2_EEPKiS6_PKS3_S8_S4_PS3_21rocsparse_index_base_b,@function
_ZN9rocsparseL19gebsrmvn_2xn_kernelILj128ELj15ELj32EfEEvi20rocsparse_direction_NS_24const_host_device_scalarIT2_EEPKiS6_PKS3_S8_S4_PS3_21rocsparse_index_base_b: ; @_ZN9rocsparseL19gebsrmvn_2xn_kernelILj128ELj15ELj32EfEEvi20rocsparse_direction_NS_24const_host_device_scalarIT2_EEPKiS6_PKS3_S8_S4_PS3_21rocsparse_index_base_b
; %bb.0:
	s_clause 0x2
	s_load_b64 s[18:19], s[0:1], 0x40
	s_load_b64 s[16:17], s[0:1], 0x8
	;; [unrolled: 1-line block ×3, first 2 shown]
	s_waitcnt lgkmcnt(0)
	s_bitcmp1_b32 s19, 0
	s_cselect_b32 s2, -1, 0
	s_delay_alu instid0(SALU_CYCLE_1)
	s_and_b32 vcc_lo, exec_lo, s2
	s_xor_b32 s2, s2, -1
	s_cbranch_vccnz .LBB68_2
; %bb.1:
	s_load_b32 s16, s[16:17], 0x0
.LBB68_2:
	s_and_not1_b32 vcc_lo, exec_lo, s2
	s_cbranch_vccnz .LBB68_4
; %bb.3:
	s_load_b32 s12, s[12:13], 0x0
.LBB68_4:
	s_waitcnt lgkmcnt(0)
	v_cmp_eq_f32_e64 s2, s16, 0
	v_cmp_eq_f32_e64 s3, s12, 1.0
	s_delay_alu instid0(VALU_DEP_1) | instskip(NEXT) | instid1(SALU_CYCLE_1)
	s_and_b32 s2, s2, s3
	s_and_b32 vcc_lo, exec_lo, s2
	s_cbranch_vccnz .LBB68_23
; %bb.5:
	s_load_b64 s[2:3], s[0:1], 0x0
	v_lshrrev_b32_e32 v1, 5, v0
	s_delay_alu instid0(VALU_DEP_1) | instskip(SKIP_1) | instid1(VALU_DEP_1)
	v_lshl_or_b32 v1, s15, 2, v1
	s_waitcnt lgkmcnt(0)
	v_cmp_gt_i32_e32 vcc_lo, s2, v1
	s_and_saveexec_b32 s2, vcc_lo
	s_cbranch_execz .LBB68_23
; %bb.6:
	s_load_b256 s[4:11], s[0:1], 0x10
	v_ashrrev_i32_e32 v2, 31, v1
	v_and_b32_e32 v0, 31, v0
	s_cmp_lg_u32 s3, 0
	s_delay_alu instid0(VALU_DEP_2) | instskip(SKIP_1) | instid1(VALU_DEP_1)
	v_lshlrev_b64 v[2:3], 2, v[1:2]
	s_waitcnt lgkmcnt(0)
	v_add_co_u32 v2, vcc_lo, s4, v2
	s_delay_alu instid0(VALU_DEP_2) | instskip(SKIP_4) | instid1(VALU_DEP_2)
	v_add_co_ci_u32_e32 v3, vcc_lo, s5, v3, vcc_lo
	global_load_b64 v[2:3], v[2:3], off
	s_waitcnt vmcnt(0)
	v_subrev_nc_u32_e32 v2, s18, v2
	v_subrev_nc_u32_e32 v12, s18, v3
	v_add_nc_u32_e32 v2, v2, v0
	s_delay_alu instid0(VALU_DEP_1)
	v_cmp_lt_i32_e64 s2, v2, v12
	s_cbranch_scc0 .LBB68_12
; %bb.7:
	v_dual_mov_b32 v10, 0 :: v_dual_mov_b32 v11, 0
	s_mov_b32 s3, 0
	s_delay_alu instid0(VALU_DEP_2)
	s_and_saveexec_b32 s4, s2
	s_cbranch_execz .LBB68_11
; %bb.8:
	v_mad_u64_u32 v[3:4], null, v2, 30, 28
	v_dual_mov_b32 v6, 0 :: v_dual_mov_b32 v7, v2
	v_dual_mov_b32 v10, 0 :: v_dual_mov_b32 v11, 0
	s_mov_b32 s5, 0
.LBB68_9:                               ; =>This Inner Loop Header: Depth=1
	s_delay_alu instid0(VALU_DEP_2) | instskip(NEXT) | instid1(VALU_DEP_1)
	v_ashrrev_i32_e32 v8, 31, v7
	v_lshlrev_b64 v[4:5], 2, v[7:8]
	v_add_nc_u32_e32 v7, 32, v7
	s_delay_alu instid0(VALU_DEP_2) | instskip(NEXT) | instid1(VALU_DEP_3)
	v_add_co_u32 v4, vcc_lo, s6, v4
	v_add_co_ci_u32_e32 v5, vcc_lo, s7, v5, vcc_lo
	global_load_b32 v8, v[4:5], off
	v_subrev_nc_u32_e32 v5, 28, v3
	v_mov_b32_e32 v4, v6
	s_delay_alu instid0(VALU_DEP_2) | instskip(SKIP_1) | instid1(VALU_DEP_3)
	v_lshlrev_b64 v[13:14], 2, v[5:6]
	v_subrev_nc_u32_e32 v5, 26, v3
	v_lshlrev_b64 v[15:16], 2, v[3:4]
	s_delay_alu instid0(VALU_DEP_2) | instskip(NEXT) | instid1(VALU_DEP_4)
	v_lshlrev_b64 v[4:5], 2, v[5:6]
	v_add_co_u32 v13, vcc_lo, s8, v13
	v_add_co_ci_u32_e32 v14, vcc_lo, s9, v14, vcc_lo
	s_delay_alu instid0(VALU_DEP_4)
	v_add_co_u32 v15, vcc_lo, s8, v15
	v_add_co_ci_u32_e32 v16, vcc_lo, s9, v16, vcc_lo
	v_add_co_u32 v4, vcc_lo, s8, v4
	v_add_co_ci_u32_e32 v5, vcc_lo, s9, v5, vcc_lo
	s_clause 0x1
	global_load_b64 v[13:14], v[13:14], off
	global_load_b64 v[17:18], v[4:5], off
	v_mov_b32_e32 v9, v6
	s_waitcnt vmcnt(2)
	v_subrev_nc_u32_e32 v4, s18, v8
	s_delay_alu instid0(VALU_DEP_1) | instskip(NEXT) | instid1(VALU_DEP_1)
	v_mul_lo_u32 v8, v4, 15
	v_add_nc_u32_e32 v5, 1, v8
	v_lshlrev_b64 v[19:20], 2, v[8:9]
	s_delay_alu instid0(VALU_DEP_2) | instskip(SKIP_1) | instid1(VALU_DEP_3)
	v_lshlrev_b64 v[21:22], 2, v[5:6]
	v_subrev_nc_u32_e32 v5, 24, v3
	v_add_co_u32 v19, vcc_lo, s10, v19
	s_delay_alu instid0(VALU_DEP_4) | instskip(NEXT) | instid1(VALU_DEP_4)
	v_add_co_ci_u32_e32 v20, vcc_lo, s11, v20, vcc_lo
	v_add_co_u32 v21, vcc_lo, s10, v21
	v_add_co_ci_u32_e32 v22, vcc_lo, s11, v22, vcc_lo
	global_load_b32 v47, v[19:20], off
	v_lshlrev_b64 v[23:24], 2, v[5:6]
	global_load_b32 v48, v[21:22], off
	v_add_co_u32 v21, vcc_lo, s8, v23
	v_add_co_ci_u32_e32 v22, vcc_lo, s9, v24, vcc_lo
	global_load_b64 v[21:22], v[21:22], off
	s_waitcnt vmcnt(2)
	v_fmac_f32_e32 v10, v13, v47
	s_waitcnt vmcnt(1)
	s_delay_alu instid0(VALU_DEP_1) | instskip(SKIP_1) | instid1(VALU_DEP_2)
	v_dual_fmac_f32 v11, v14, v47 :: v_dual_fmac_f32 v10, v17, v48
	v_add_nc_u32_e32 v5, 2, v8
	v_fmac_f32_e32 v11, v18, v48
	s_delay_alu instid0(VALU_DEP_2) | instskip(SKIP_1) | instid1(VALU_DEP_1)
	v_lshlrev_b64 v[19:20], 2, v[5:6]
	v_subrev_nc_u32_e32 v5, 22, v3
	v_lshlrev_b64 v[23:24], 2, v[5:6]
	v_add_nc_u32_e32 v5, 3, v8
	s_delay_alu instid0(VALU_DEP_4) | instskip(SKIP_1) | instid1(VALU_DEP_3)
	v_add_co_u32 v19, vcc_lo, s10, v19
	v_add_co_ci_u32_e32 v20, vcc_lo, s11, v20, vcc_lo
	v_lshlrev_b64 v[25:26], 2, v[5:6]
	v_subrev_nc_u32_e32 v5, 20, v3
	global_load_b32 v49, v[19:20], off
	v_add_co_u32 v19, vcc_lo, s8, v23
	v_add_co_ci_u32_e32 v20, vcc_lo, s9, v24, vcc_lo
	v_lshlrev_b64 v[23:24], 2, v[5:6]
	v_add_co_u32 v25, vcc_lo, s10, v25
	v_add_co_ci_u32_e32 v26, vcc_lo, s11, v26, vcc_lo
	s_delay_alu instid0(VALU_DEP_3) | instskip(NEXT) | instid1(VALU_DEP_4)
	v_add_co_u32 v23, vcc_lo, s8, v23
	v_add_co_ci_u32_e32 v24, vcc_lo, s9, v24, vcc_lo
	global_load_b32 v50, v[25:26], off
	global_load_b64 v[23:24], v[23:24], off
	v_add_nc_u32_e32 v5, 4, v8
	global_load_b64 v[19:20], v[19:20], off
	v_lshlrev_b64 v[27:28], 2, v[5:6]
	v_subrev_nc_u32_e32 v5, 18, v3
	s_delay_alu instid0(VALU_DEP_2) | instskip(NEXT) | instid1(VALU_DEP_3)
	v_add_co_u32 v27, vcc_lo, s10, v27
	v_add_co_ci_u32_e32 v28, vcc_lo, s11, v28, vcc_lo
	global_load_b32 v51, v[27:28], off
	v_lshlrev_b64 v[25:26], 2, v[5:6]
	v_add_nc_u32_e32 v5, 5, v8
	s_delay_alu instid0(VALU_DEP_1) | instskip(NEXT) | instid1(VALU_DEP_3)
	v_lshlrev_b64 v[29:30], 2, v[5:6]
	v_add_co_u32 v25, vcc_lo, s8, v25
	s_delay_alu instid0(VALU_DEP_4) | instskip(NEXT) | instid1(VALU_DEP_3)
	v_add_co_ci_u32_e32 v26, vcc_lo, s9, v26, vcc_lo
	v_add_co_u32 v29, vcc_lo, s10, v29
	s_delay_alu instid0(VALU_DEP_4)
	v_add_co_ci_u32_e32 v30, vcc_lo, s11, v30, vcc_lo
	global_load_b64 v[25:26], v[25:26], off
	global_load_b32 v52, v[29:30], off
	s_waitcnt vmcnt(6)
	v_fmac_f32_e32 v10, v21, v49
	s_waitcnt vmcnt(3)
	s_delay_alu instid0(VALU_DEP_1) | instskip(SKIP_1) | instid1(VALU_DEP_1)
	v_dual_fmac_f32 v11, v22, v49 :: v_dual_fmac_f32 v10, v19, v50
	s_waitcnt vmcnt(2)
	v_dual_fmac_f32 v11, v20, v50 :: v_dual_fmac_f32 v10, v23, v51
	v_add_nc_u32_e32 v5, -16, v3
	s_delay_alu instid0(VALU_DEP_2) | instskip(NEXT) | instid1(VALU_DEP_2)
	v_fmac_f32_e32 v11, v24, v51
	v_lshlrev_b64 v[27:28], 2, v[5:6]
	v_add_nc_u32_e32 v5, 6, v8
	s_delay_alu instid0(VALU_DEP_1) | instskip(NEXT) | instid1(VALU_DEP_3)
	v_lshlrev_b64 v[31:32], 2, v[5:6]
	v_add_co_u32 v27, vcc_lo, s8, v27
	s_delay_alu instid0(VALU_DEP_4) | instskip(SKIP_1) | instid1(VALU_DEP_4)
	v_add_co_ci_u32_e32 v28, vcc_lo, s9, v28, vcc_lo
	v_add_nc_u32_e32 v5, -14, v3
	v_add_co_u32 v31, vcc_lo, s10, v31
	v_add_co_ci_u32_e32 v32, vcc_lo, s11, v32, vcc_lo
	global_load_b64 v[27:28], v[27:28], off
	global_load_b32 v53, v[31:32], off
	v_lshlrev_b64 v[29:30], 2, v[5:6]
	v_add_nc_u32_e32 v5, 7, v8
	s_waitcnt vmcnt(2)
	v_fmac_f32_e32 v10, v25, v52
	v_fmac_f32_e32 v11, v26, v52
	s_delay_alu instid0(VALU_DEP_3) | instskip(SKIP_3) | instid1(VALU_DEP_3)
	v_lshlrev_b64 v[33:34], 2, v[5:6]
	v_add_nc_u32_e32 v5, -12, v3
	v_add_co_u32 v29, vcc_lo, s8, v29
	v_add_co_ci_u32_e32 v30, vcc_lo, s9, v30, vcc_lo
	v_lshlrev_b64 v[31:32], 2, v[5:6]
	v_add_nc_u32_e32 v5, 8, v8
	v_add_co_u32 v33, vcc_lo, s10, v33
	v_add_co_ci_u32_e32 v34, vcc_lo, s11, v34, vcc_lo
	s_delay_alu instid0(VALU_DEP_3) | instskip(SKIP_3) | instid1(VALU_DEP_4)
	v_lshlrev_b64 v[35:36], 2, v[5:6]
	v_add_co_u32 v31, vcc_lo, s8, v31
	v_add_co_ci_u32_e32 v32, vcc_lo, s9, v32, vcc_lo
	v_add_nc_u32_e32 v5, -10, v3
	v_add_co_u32 v35, vcc_lo, s10, v35
	v_add_co_ci_u32_e32 v36, vcc_lo, s11, v36, vcc_lo
	global_load_b32 v54, v[33:34], off
	s_clause 0x1
	global_load_b64 v[29:30], v[29:30], off
	global_load_b64 v[31:32], v[31:32], off
	global_load_b32 v55, v[35:36], off
	v_lshlrev_b64 v[33:34], 2, v[5:6]
	v_add_nc_u32_e32 v5, 9, v8
	s_delay_alu instid0(VALU_DEP_1) | instskip(SKIP_1) | instid1(VALU_DEP_4)
	v_lshlrev_b64 v[37:38], 2, v[5:6]
	v_add_nc_u32_e32 v5, -8, v3
	v_add_co_u32 v33, vcc_lo, s8, v33
	v_add_co_ci_u32_e32 v34, vcc_lo, s9, v34, vcc_lo
	s_delay_alu instid0(VALU_DEP_3) | instskip(SKIP_3) | instid1(VALU_DEP_3)
	v_lshlrev_b64 v[35:36], 2, v[5:6]
	v_add_nc_u32_e32 v5, 10, v8
	v_add_co_u32 v37, vcc_lo, s10, v37
	v_add_co_ci_u32_e32 v38, vcc_lo, s11, v38, vcc_lo
	v_lshlrev_b64 v[39:40], 2, v[5:6]
	v_add_co_u32 v35, vcc_lo, s8, v35
	v_add_co_ci_u32_e32 v36, vcc_lo, s9, v36, vcc_lo
	v_add_nc_u32_e32 v5, -6, v3
	s_delay_alu instid0(VALU_DEP_4)
	v_add_co_u32 v39, vcc_lo, s10, v39
	v_add_co_ci_u32_e32 v40, vcc_lo, s11, v40, vcc_lo
	global_load_b32 v56, v[37:38], off
	s_clause 0x1
	global_load_b64 v[33:34], v[33:34], off
	global_load_b64 v[35:36], v[35:36], off
	global_load_b32 v57, v[39:40], off
	v_lshlrev_b64 v[37:38], 2, v[5:6]
	v_add_nc_u32_e32 v5, 11, v8
	s_delay_alu instid0(VALU_DEP_1) | instskip(SKIP_1) | instid1(VALU_DEP_4)
	v_lshlrev_b64 v[41:42], 2, v[5:6]
	v_add_nc_u32_e32 v5, -4, v3
	v_add_co_u32 v37, vcc_lo, s8, v37
	v_add_co_ci_u32_e32 v38, vcc_lo, s9, v38, vcc_lo
	s_delay_alu instid0(VALU_DEP_3) | instskip(SKIP_3) | instid1(VALU_DEP_3)
	v_lshlrev_b64 v[39:40], 2, v[5:6]
	v_add_nc_u32_e32 v5, 12, v8
	v_add_co_u32 v41, vcc_lo, s10, v41
	v_add_co_ci_u32_e32 v42, vcc_lo, s11, v42, vcc_lo
	v_lshlrev_b64 v[43:44], 2, v[5:6]
	v_add_co_u32 v39, vcc_lo, s8, v39
	v_add_co_ci_u32_e32 v40, vcc_lo, s9, v40, vcc_lo
	v_add_nc_u32_e32 v5, -2, v3
	s_delay_alu instid0(VALU_DEP_4)
	v_add_co_u32 v43, vcc_lo, s10, v43
	v_add_co_ci_u32_e32 v44, vcc_lo, s11, v44, vcc_lo
	global_load_b32 v58, v[41:42], off
	s_clause 0x1
	global_load_b64 v[37:38], v[37:38], off
	global_load_b64 v[39:40], v[39:40], off
	global_load_b32 v43, v[43:44], off
	v_lshlrev_b64 v[41:42], 2, v[5:6]
	v_add_nc_u32_e32 v5, 13, v8
	v_add_nc_u32_e32 v3, 0x3c0, v3
	s_delay_alu instid0(VALU_DEP_2) | instskip(SKIP_3) | instid1(VALU_DEP_3)
	v_lshlrev_b64 v[45:46], 2, v[5:6]
	v_add_nc_u32_e32 v5, 14, v8
	v_add_co_u32 v8, vcc_lo, s8, v41
	v_add_co_ci_u32_e32 v9, vcc_lo, s9, v42, vcc_lo
	v_lshlrev_b64 v[4:5], 2, v[5:6]
	v_add_co_u32 v41, vcc_lo, s10, v45
	v_add_co_ci_u32_e32 v42, vcc_lo, s11, v46, vcc_lo
	global_load_b64 v[8:9], v[8:9], off
	global_load_b32 v41, v[41:42], off
	v_add_co_u32 v4, vcc_lo, s10, v4
	v_add_co_ci_u32_e32 v5, vcc_lo, s11, v5, vcc_lo
	global_load_b64 v[15:16], v[15:16], off
	global_load_b32 v4, v[4:5], off
	v_cmp_ge_i32_e32 vcc_lo, v7, v12
	s_or_b32 s5, vcc_lo, s5
	s_waitcnt vmcnt(16)
	v_fmac_f32_e32 v10, v27, v53
	s_waitcnt vmcnt(14)
	s_delay_alu instid0(VALU_DEP_1) | instskip(SKIP_1) | instid1(VALU_DEP_1)
	v_dual_fmac_f32 v11, v28, v53 :: v_dual_fmac_f32 v10, v29, v54
	s_waitcnt vmcnt(12)
	v_dual_fmac_f32 v11, v30, v54 :: v_dual_fmac_f32 v10, v31, v55
	s_waitcnt vmcnt(10)
	s_delay_alu instid0(VALU_DEP_1) | instskip(SKIP_1) | instid1(VALU_DEP_1)
	v_dual_fmac_f32 v11, v32, v55 :: v_dual_fmac_f32 v10, v33, v56
	s_waitcnt vmcnt(8)
	v_dual_fmac_f32 v11, v34, v56 :: v_dual_fmac_f32 v10, v35, v57
	;; [unrolled: 5-line block ×3, first 2 shown]
	s_delay_alu instid0(VALU_DEP_1) | instskip(SKIP_1) | instid1(VALU_DEP_2)
	v_fmac_f32_e32 v11, v40, v43
	s_waitcnt vmcnt(2)
	v_fmac_f32_e32 v10, v8, v41
	s_waitcnt vmcnt(0)
	s_delay_alu instid0(VALU_DEP_1) | instskip(NEXT) | instid1(VALU_DEP_1)
	v_dual_fmac_f32 v11, v9, v41 :: v_dual_fmac_f32 v10, v15, v4
	v_fmac_f32_e32 v11, v16, v4
	s_and_not1_b32 exec_lo, exec_lo, s5
	s_cbranch_execnz .LBB68_9
; %bb.10:
	s_or_b32 exec_lo, exec_lo, s5
.LBB68_11:
	s_delay_alu instid0(SALU_CYCLE_1) | instskip(NEXT) | instid1(SALU_CYCLE_1)
	s_or_b32 exec_lo, exec_lo, s4
	s_and_not1_b32 vcc_lo, exec_lo, s3
	s_cbranch_vccz .LBB68_13
	s_branch .LBB68_18
.LBB68_12:
                                        ; implicit-def: $vgpr10
                                        ; implicit-def: $vgpr11
.LBB68_13:
	v_dual_mov_b32 v10, 0 :: v_dual_mov_b32 v11, 0
	s_delay_alu instid0(VALU_DEP_2)
	s_and_saveexec_b32 s3, s2
	s_cbranch_execz .LBB68_17
; %bb.14:
	v_mad_u64_u32 v[4:5], null, v2, 30, 29
	v_dual_mov_b32 v7, 0 :: v_dual_mov_b32 v10, 0
	v_mov_b32_e32 v11, 0
	s_mov_b32 s2, 0
.LBB68_15:                              ; =>This Inner Loop Header: Depth=1
	v_ashrrev_i32_e32 v3, 31, v2
	s_delay_alu instid0(VALU_DEP_3) | instskip(NEXT) | instid1(VALU_DEP_2)
	v_dual_mov_b32 v14, v7 :: v_dual_add_nc_u32 v13, -14, v4
	v_lshlrev_b64 v[5:6], 2, v[2:3]
	v_add_nc_u32_e32 v2, 32, v2
	s_delay_alu instid0(VALU_DEP_3) | instskip(NEXT) | instid1(VALU_DEP_3)
	v_lshlrev_b64 v[13:14], 2, v[13:14]
	v_add_co_u32 v5, vcc_lo, s6, v5
	s_delay_alu instid0(VALU_DEP_4) | instskip(SKIP_3) | instid1(VALU_DEP_2)
	v_add_co_ci_u32_e32 v6, vcc_lo, s7, v6, vcc_lo
	global_load_b32 v3, v[5:6], off
	v_subrev_nc_u32_e32 v6, 29, v4
	v_mov_b32_e32 v5, v7
	v_lshlrev_b64 v[15:16], 2, v[6:7]
	s_delay_alu instid0(VALU_DEP_2) | instskip(NEXT) | instid1(VALU_DEP_2)
	v_lshlrev_b64 v[5:6], 2, v[4:5]
	v_add_co_u32 v15, vcc_lo, s8, v15
	s_delay_alu instid0(VALU_DEP_3)
	v_add_co_ci_u32_e32 v16, vcc_lo, s9, v16, vcc_lo
	v_add_co_u32 v13, vcc_lo, s8, v13
	v_add_co_ci_u32_e32 v14, vcc_lo, s9, v14, vcc_lo
	v_add_co_u32 v17, vcc_lo, s8, v5
	v_add_co_ci_u32_e32 v18, vcc_lo, s9, v6, vcc_lo
	s_clause 0x1
	global_load_b64 v[15:16], v[15:16], off
	global_load_b32 v23, v[13:14], off
	s_waitcnt vmcnt(2)
	v_subrev_nc_u32_e32 v3, s18, v3
	s_delay_alu instid0(VALU_DEP_1) | instskip(NEXT) | instid1(VALU_DEP_1)
	v_mul_lo_u32 v8, v3, 15
	v_dual_mov_b32 v9, v7 :: v_dual_add_nc_u32 v6, 1, v8
	s_delay_alu instid0(VALU_DEP_1) | instskip(NEXT) | instid1(VALU_DEP_2)
	v_lshlrev_b64 v[13:14], 2, v[8:9]
	v_lshlrev_b64 v[19:20], 2, v[6:7]
	v_add_nc_u32_e32 v6, -13, v4
	s_delay_alu instid0(VALU_DEP_3) | instskip(NEXT) | instid1(VALU_DEP_4)
	v_add_co_u32 v13, vcc_lo, s10, v13
	v_add_co_ci_u32_e32 v14, vcc_lo, s11, v14, vcc_lo
	s_delay_alu instid0(VALU_DEP_3)
	v_lshlrev_b64 v[21:22], 2, v[6:7]
	v_subrev_nc_u32_e32 v6, 27, v4
	global_load_b32 v3, v[13:14], off
	v_add_co_u32 v13, vcc_lo, s10, v19
	v_add_co_ci_u32_e32 v14, vcc_lo, s11, v20, vcc_lo
	v_add_co_u32 v21, vcc_lo, s8, v21
	v_add_co_ci_u32_e32 v22, vcc_lo, s9, v22, vcc_lo
	global_load_b32 v24, v[13:14], off
	v_lshlrev_b64 v[19:20], 2, v[6:7]
	v_add_nc_u32_e32 v6, 2, v8
	global_load_b32 v25, v[21:22], off
	v_add_co_u32 v19, vcc_lo, s8, v19
	v_add_co_ci_u32_e32 v20, vcc_lo, s9, v20, vcc_lo
	global_load_b32 v26, v[19:20], off
	s_waitcnt vmcnt(3)
	v_fmac_f32_e32 v11, v23, v3
	v_lshlrev_b64 v[13:14], 2, v[6:7]
	v_fmac_f32_e32 v10, v15, v3
	s_delay_alu instid0(VALU_DEP_2) | instskip(NEXT) | instid1(VALU_DEP_3)
	v_add_co_u32 v13, vcc_lo, s10, v13
	v_add_co_ci_u32_e32 v14, vcc_lo, s11, v14, vcc_lo
	s_waitcnt vmcnt(1)
	v_fmac_f32_e32 v11, v25, v24
	v_fmac_f32_e32 v10, v16, v24
	global_load_b32 v27, v[13:14], off
	v_add_nc_u32_e32 v6, -12, v4
	s_delay_alu instid0(VALU_DEP_1) | instskip(SKIP_1) | instid1(VALU_DEP_2)
	v_lshlrev_b64 v[21:22], 2, v[6:7]
	v_subrev_nc_u32_e32 v6, 26, v4
	v_add_co_u32 v13, vcc_lo, s8, v21
	s_delay_alu instid0(VALU_DEP_3) | instskip(SKIP_2) | instid1(VALU_DEP_1)
	v_add_co_ci_u32_e32 v14, vcc_lo, s9, v22, vcc_lo
	global_load_b32 v28, v[13:14], off
	v_lshlrev_b64 v[19:20], 2, v[6:7]
	v_add_co_u32 v19, vcc_lo, s8, v19
	s_delay_alu instid0(VALU_DEP_2) | instskip(SKIP_3) | instid1(VALU_DEP_1)
	v_add_co_ci_u32_e32 v20, vcc_lo, s9, v20, vcc_lo
	global_load_b32 v29, v[19:20], off
	s_waitcnt vmcnt(1)
	v_dual_fmac_f32 v11, v28, v27 :: v_dual_add_nc_u32 v6, 3, v8
	v_lshlrev_b64 v[21:22], 2, v[6:7]
	v_add_nc_u32_e32 v6, -11, v4
	s_delay_alu instid0(VALU_DEP_1) | instskip(SKIP_1) | instid1(VALU_DEP_4)
	v_lshlrev_b64 v[13:14], 2, v[6:7]
	v_subrev_nc_u32_e32 v6, 25, v4
	v_add_co_u32 v19, vcc_lo, s10, v21
	v_add_co_ci_u32_e32 v20, vcc_lo, s11, v22, vcc_lo
	s_delay_alu instid0(VALU_DEP_3)
	v_lshlrev_b64 v[21:22], 2, v[6:7]
	v_add_nc_u32_e32 v6, 4, v8
	v_add_co_u32 v13, vcc_lo, s8, v13
	v_add_co_ci_u32_e32 v14, vcc_lo, s9, v14, vcc_lo
	global_load_b32 v30, v[19:20], off
	v_lshlrev_b64 v[19:20], 2, v[6:7]
	v_add_nc_u32_e32 v6, -10, v4
	global_load_b32 v31, v[13:14], off
	v_add_co_u32 v13, vcc_lo, s8, v21
	v_add_co_ci_u32_e32 v14, vcc_lo, s9, v22, vcc_lo
	v_lshlrev_b64 v[21:22], 2, v[6:7]
	v_subrev_nc_u32_e32 v6, 24, v4
	v_add_co_u32 v19, vcc_lo, s10, v19
	v_add_co_ci_u32_e32 v20, vcc_lo, s11, v20, vcc_lo
	global_load_b32 v32, v[13:14], off
	v_lshlrev_b64 v[13:14], 2, v[6:7]
	v_add_nc_u32_e32 v6, 5, v8
	global_load_b32 v33, v[19:20], off
	v_add_co_u32 v19, vcc_lo, s8, v21
	v_add_co_ci_u32_e32 v20, vcc_lo, s9, v22, vcc_lo
	v_add_co_u32 v13, vcc_lo, s8, v13
	v_lshlrev_b64 v[21:22], 2, v[6:7]
	v_add_nc_u32_e32 v6, -9, v4
	v_add_co_ci_u32_e32 v14, vcc_lo, s9, v14, vcc_lo
	s_clause 0x1
	global_load_b32 v34, v[19:20], off
	global_load_b32 v35, v[13:14], off
	v_lshlrev_b64 v[19:20], 2, v[6:7]
	v_subrev_nc_u32_e32 v6, 23, v4
	v_add_co_u32 v13, vcc_lo, s10, v21
	v_add_co_ci_u32_e32 v14, vcc_lo, s11, v22, vcc_lo
	s_delay_alu instid0(VALU_DEP_3)
	v_lshlrev_b64 v[21:22], 2, v[6:7]
	v_add_nc_u32_e32 v6, 6, v8
	v_add_co_u32 v19, vcc_lo, s8, v19
	v_add_co_ci_u32_e32 v20, vcc_lo, s9, v20, vcc_lo
	global_load_b32 v36, v[13:14], off
	v_lshlrev_b64 v[13:14], 2, v[6:7]
	v_add_nc_u32_e32 v6, -8, v4
	global_load_b32 v37, v[19:20], off
	v_add_co_u32 v19, vcc_lo, s8, v21
	v_add_co_ci_u32_e32 v20, vcc_lo, s9, v22, vcc_lo
	v_add_co_u32 v13, vcc_lo, s10, v13
	v_lshlrev_b64 v[21:22], 2, v[6:7]
	v_add_co_ci_u32_e32 v14, vcc_lo, s11, v14, vcc_lo
	v_subrev_nc_u32_e32 v6, 22, v4
	global_load_b32 v38, v[19:20], off
	global_load_b32 v39, v[13:14], off
	v_add_co_u32 v13, vcc_lo, s8, v21
	v_add_co_ci_u32_e32 v14, vcc_lo, s9, v22, vcc_lo
	global_load_b32 v40, v[13:14], off
	v_lshlrev_b64 v[19:20], 2, v[6:7]
	v_add_nc_u32_e32 v6, 7, v8
	s_delay_alu instid0(VALU_DEP_1) | instskip(SKIP_1) | instid1(VALU_DEP_4)
	v_lshlrev_b64 v[21:22], 2, v[6:7]
	v_add_nc_u32_e32 v6, -7, v4
	v_add_co_u32 v19, vcc_lo, s8, v19
	v_add_co_ci_u32_e32 v20, vcc_lo, s9, v20, vcc_lo
	s_delay_alu instid0(VALU_DEP_3)
	v_lshlrev_b64 v[13:14], 2, v[6:7]
	v_subrev_nc_u32_e32 v6, 21, v4
	global_load_b32 v41, v[19:20], off
	v_add_co_u32 v19, vcc_lo, s10, v21
	v_add_co_ci_u32_e32 v20, vcc_lo, s11, v22, vcc_lo
	v_lshlrev_b64 v[21:22], 2, v[6:7]
	v_add_nc_u32_e32 v6, 8, v8
	v_add_co_u32 v13, vcc_lo, s8, v13
	v_add_co_ci_u32_e32 v14, vcc_lo, s9, v14, vcc_lo
	global_load_b32 v42, v[19:20], off
	v_lshlrev_b64 v[19:20], 2, v[6:7]
	v_add_nc_u32_e32 v6, -6, v4
	global_load_b32 v43, v[13:14], off
	v_add_co_u32 v13, vcc_lo, s8, v21
	v_add_co_ci_u32_e32 v14, vcc_lo, s9, v22, vcc_lo
	v_lshlrev_b64 v[21:22], 2, v[6:7]
	v_subrev_nc_u32_e32 v6, 20, v4
	v_add_co_u32 v19, vcc_lo, s10, v19
	v_add_co_ci_u32_e32 v20, vcc_lo, s11, v20, vcc_lo
	global_load_b32 v44, v[13:14], off
	v_lshlrev_b64 v[13:14], 2, v[6:7]
	v_add_nc_u32_e32 v6, 9, v8
	global_load_b32 v45, v[19:20], off
	v_add_co_u32 v19, vcc_lo, s8, v21
	v_add_co_ci_u32_e32 v20, vcc_lo, s9, v22, vcc_lo
	v_add_co_u32 v13, vcc_lo, s8, v13
	v_lshlrev_b64 v[21:22], 2, v[6:7]
	v_add_nc_u32_e32 v6, -5, v4
	v_add_co_ci_u32_e32 v14, vcc_lo, s9, v14, vcc_lo
	s_clause 0x1
	global_load_b32 v46, v[19:20], off
	global_load_b32 v47, v[13:14], off
	v_lshlrev_b64 v[19:20], 2, v[6:7]
	v_subrev_nc_u32_e32 v6, 19, v4
	v_add_co_u32 v13, vcc_lo, s10, v21
	v_add_co_ci_u32_e32 v14, vcc_lo, s11, v22, vcc_lo
	s_delay_alu instid0(VALU_DEP_3)
	v_lshlrev_b64 v[21:22], 2, v[6:7]
	v_add_nc_u32_e32 v6, 10, v8
	v_add_co_u32 v19, vcc_lo, s8, v19
	v_add_co_ci_u32_e32 v20, vcc_lo, s9, v20, vcc_lo
	global_load_b32 v48, v[13:14], off
	v_lshlrev_b64 v[13:14], 2, v[6:7]
	v_add_nc_u32_e32 v6, -4, v4
	global_load_b32 v49, v[19:20], off
	v_add_co_u32 v19, vcc_lo, s8, v21
	v_add_co_ci_u32_e32 v20, vcc_lo, s9, v22, vcc_lo
	v_add_co_u32 v13, vcc_lo, s10, v13
	v_lshlrev_b64 v[21:22], 2, v[6:7]
	v_add_co_ci_u32_e32 v14, vcc_lo, s11, v14, vcc_lo
	v_subrev_nc_u32_e32 v6, 18, v4
	global_load_b32 v50, v[19:20], off
	global_load_b32 v51, v[13:14], off
	v_add_co_u32 v13, vcc_lo, s8, v21
	v_add_co_ci_u32_e32 v14, vcc_lo, s9, v22, vcc_lo
	global_load_b32 v52, v[13:14], off
	v_lshlrev_b64 v[19:20], 2, v[6:7]
	v_add_nc_u32_e32 v6, 11, v8
	s_delay_alu instid0(VALU_DEP_1) | instskip(SKIP_1) | instid1(VALU_DEP_4)
	v_lshlrev_b64 v[21:22], 2, v[6:7]
	v_add_nc_u32_e32 v6, -3, v4
	v_add_co_u32 v19, vcc_lo, s8, v19
	v_add_co_ci_u32_e32 v20, vcc_lo, s9, v20, vcc_lo
	s_delay_alu instid0(VALU_DEP_3)
	v_lshlrev_b64 v[13:14], 2, v[6:7]
	v_subrev_nc_u32_e32 v6, 17, v4
	global_load_b32 v53, v[19:20], off
	v_add_co_u32 v19, vcc_lo, s10, v21
	v_add_co_ci_u32_e32 v20, vcc_lo, s11, v22, vcc_lo
	v_lshlrev_b64 v[21:22], 2, v[6:7]
	v_add_nc_u32_e32 v6, 12, v8
	v_add_co_u32 v13, vcc_lo, s8, v13
	v_add_co_ci_u32_e32 v14, vcc_lo, s9, v14, vcc_lo
	global_load_b32 v54, v[19:20], off
	v_lshlrev_b64 v[19:20], 2, v[6:7]
	v_add_nc_u32_e32 v6, -2, v4
	global_load_b32 v55, v[13:14], off
	v_add_co_u32 v13, vcc_lo, s8, v21
	v_add_co_ci_u32_e32 v14, vcc_lo, s9, v22, vcc_lo
	v_lshlrev_b64 v[21:22], 2, v[6:7]
	v_add_nc_u32_e32 v6, -16, v4
	v_add_co_u32 v19, vcc_lo, s10, v19
	v_add_co_ci_u32_e32 v20, vcc_lo, s11, v20, vcc_lo
	global_load_b32 v56, v[13:14], off
	v_lshlrev_b64 v[13:14], 2, v[6:7]
	v_add_nc_u32_e32 v6, 13, v8
	global_load_b32 v57, v[19:20], off
	v_add_co_u32 v19, vcc_lo, s8, v21
	v_add_co_ci_u32_e32 v20, vcc_lo, s9, v22, vcc_lo
	v_add_co_u32 v13, vcc_lo, s8, v13
	v_lshlrev_b64 v[21:22], 2, v[6:7]
	v_add_nc_u32_e32 v6, -1, v4
	v_add_co_ci_u32_e32 v14, vcc_lo, s9, v14, vcc_lo
	s_clause 0x1
	global_load_b32 v58, v[19:20], off
	global_load_b32 v59, v[13:14], off
	v_lshlrev_b64 v[19:20], 2, v[6:7]
	v_add_nc_u32_e32 v6, -15, v4
	v_add_co_u32 v13, vcc_lo, s10, v21
	v_add_co_ci_u32_e32 v14, vcc_lo, s11, v22, vcc_lo
	s_delay_alu instid0(VALU_DEP_3) | instskip(SKIP_3) | instid1(VALU_DEP_3)
	v_lshlrev_b64 v[21:22], 2, v[6:7]
	v_add_nc_u32_e32 v6, 14, v8
	v_add_co_u32 v8, vcc_lo, s8, v19
	v_add_co_ci_u32_e32 v9, vcc_lo, s9, v20, vcc_lo
	v_lshlrev_b64 v[5:6], 2, v[6:7]
	global_load_b32 v13, v[13:14], off
	v_add_nc_u32_e32 v4, 0x3c0, v4
	global_load_b32 v14, v[8:9], off
	v_add_co_u32 v8, vcc_lo, s8, v21
	v_add_co_ci_u32_e32 v9, vcc_lo, s9, v22, vcc_lo
	v_add_co_u32 v5, vcc_lo, s10, v5
	v_add_co_ci_u32_e32 v6, vcc_lo, s11, v6, vcc_lo
	s_clause 0x1
	global_load_b32 v17, v[17:18], off
	global_load_b32 v8, v[8:9], off
	;; [unrolled: 1-line block ×3, first 2 shown]
	v_cmp_ge_i32_e32 vcc_lo, v2, v12
	s_or_b32 s2, vcc_lo, s2
	s_waitcnt vmcnt(33)
	v_fmac_f32_e32 v11, v31, v30
	s_waitcnt vmcnt(30)
	s_delay_alu instid0(VALU_DEP_1) | instskip(SKIP_1) | instid1(VALU_DEP_1)
	v_fmac_f32_e32 v11, v34, v33
	s_waitcnt vmcnt(27)
	v_dual_fmac_f32 v10, v26, v27 :: v_dual_fmac_f32 v11, v37, v36
	s_waitcnt vmcnt(24)
	s_delay_alu instid0(VALU_DEP_1) | instskip(SKIP_1) | instid1(VALU_DEP_1)
	v_dual_fmac_f32 v10, v29, v30 :: v_dual_fmac_f32 v11, v40, v39
	s_waitcnt vmcnt(21)
	v_fmac_f32_e32 v11, v43, v42
	s_waitcnt vmcnt(18)
	s_delay_alu instid0(VALU_DEP_1) | instskip(SKIP_1) | instid1(VALU_DEP_1)
	v_fmac_f32_e32 v11, v46, v45
	s_waitcnt vmcnt(15)
	v_dual_fmac_f32 v10, v32, v33 :: v_dual_fmac_f32 v11, v49, v48
	s_delay_alu instid0(VALU_DEP_1) | instskip(NEXT) | instid1(VALU_DEP_1)
	v_fmac_f32_e32 v10, v35, v36
	v_fmac_f32_e32 v10, v38, v39
	s_delay_alu instid0(VALU_DEP_1) | instskip(NEXT) | instid1(VALU_DEP_1)
	v_fmac_f32_e32 v10, v41, v42
	v_fmac_f32_e32 v10, v44, v45
	s_waitcnt vmcnt(12)
	s_delay_alu instid0(VALU_DEP_1) | instskip(NEXT) | instid1(VALU_DEP_1)
	v_dual_fmac_f32 v10, v47, v48 :: v_dual_fmac_f32 v11, v52, v51
	v_fmac_f32_e32 v10, v50, v51
	s_waitcnt vmcnt(10)
	s_delay_alu instid0(VALU_DEP_1) | instskip(SKIP_1) | instid1(VALU_DEP_1)
	v_fmac_f32_e32 v10, v53, v54
	s_waitcnt vmcnt(7)
	v_dual_fmac_f32 v11, v55, v54 :: v_dual_fmac_f32 v10, v56, v57
	s_waitcnt vmcnt(6)
	s_delay_alu instid0(VALU_DEP_1) | instskip(SKIP_1) | instid1(VALU_DEP_2)
	v_fmac_f32_e32 v11, v58, v57
	s_waitcnt vmcnt(4)
	v_fmac_f32_e32 v10, v59, v13
	s_waitcnt vmcnt(3)
	s_delay_alu instid0(VALU_DEP_2) | instskip(SKIP_1) | instid1(VALU_DEP_2)
	v_fmac_f32_e32 v11, v14, v13
	s_waitcnt vmcnt(0)
	v_fmac_f32_e32 v10, v8, v5
	s_delay_alu instid0(VALU_DEP_2)
	v_fmac_f32_e32 v11, v17, v5
	s_and_not1_b32 exec_lo, exec_lo, s2
	s_cbranch_execnz .LBB68_15
; %bb.16:
	s_or_b32 exec_lo, exec_lo, s2
.LBB68_17:
	s_delay_alu instid0(SALU_CYCLE_1)
	s_or_b32 exec_lo, exec_lo, s3
.LBB68_18:
	v_mbcnt_lo_u32_b32 v2, -1, 0
	s_mov_b32 s2, -1
	s_delay_alu instid0(VALU_DEP_1) | instskip(SKIP_2) | instid1(VALU_DEP_3)
	v_xor_b32_e32 v3, 16, v2
	v_xor_b32_e32 v5, 8, v2
	;; [unrolled: 1-line block ×3, first 2 shown]
	v_cmp_gt_i32_e32 vcc_lo, 32, v3
	v_cndmask_b32_e32 v3, v2, v3, vcc_lo
	s_delay_alu instid0(VALU_DEP_4) | instskip(NEXT) | instid1(VALU_DEP_2)
	v_cmp_gt_i32_e32 vcc_lo, 32, v5
	v_lshlrev_b32_e32 v3, 2, v3
	v_cndmask_b32_e32 v5, v2, v5, vcc_lo
	v_cmp_gt_i32_e32 vcc_lo, 32, v7
	ds_bpermute_b32 v4, v3, v10
	v_lshlrev_b32_e32 v5, 2, v5
	v_cndmask_b32_e32 v7, v2, v7, vcc_lo
	s_waitcnt lgkmcnt(0)
	s_delay_alu instid0(VALU_DEP_1)
	v_dual_add_f32 v4, v10, v4 :: v_dual_lshlrev_b32 v7, 2, v7
	ds_bpermute_b32 v3, v3, v11
	ds_bpermute_b32 v6, v5, v4
	s_waitcnt lgkmcnt(0)
	v_dual_add_f32 v4, v4, v6 :: v_dual_add_f32 v3, v11, v3
	ds_bpermute_b32 v5, v5, v3
	s_waitcnt lgkmcnt(0)
	v_add_f32_e32 v3, v3, v5
	ds_bpermute_b32 v5, v7, v4
	ds_bpermute_b32 v6, v7, v3
	v_xor_b32_e32 v7, 2, v2
	s_delay_alu instid0(VALU_DEP_1) | instskip(SKIP_2) | instid1(VALU_DEP_1)
	v_cmp_gt_i32_e32 vcc_lo, 32, v7
	s_waitcnt lgkmcnt(1)
	v_dual_cndmask_b32 v7, v2, v7 :: v_dual_add_f32 v4, v4, v5
	v_lshlrev_b32_e32 v7, 2, v7
	s_waitcnt lgkmcnt(0)
	v_add_f32_e32 v3, v3, v6
	ds_bpermute_b32 v5, v7, v4
	ds_bpermute_b32 v6, v7, v3
	v_xor_b32_e32 v7, 1, v2
	s_delay_alu instid0(VALU_DEP_1) | instskip(SKIP_3) | instid1(VALU_DEP_2)
	v_cmp_gt_i32_e32 vcc_lo, 32, v7
	v_cndmask_b32_e32 v2, v2, v7, vcc_lo
	v_cmp_eq_u32_e32 vcc_lo, 31, v0
	s_waitcnt lgkmcnt(1)
	v_dual_add_f32 v2, v4, v5 :: v_dual_lshlrev_b32 v7, 2, v2
	s_waitcnt lgkmcnt(0)
	v_add_f32_e32 v3, v3, v6
	ds_bpermute_b32 v4, v7, v2
	ds_bpermute_b32 v5, v7, v3
	s_and_b32 exec_lo, exec_lo, vcc_lo
	s_cbranch_execz .LBB68_23
; %bb.19:
	s_load_b64 s[0:1], s[0:1], 0x38
	s_waitcnt lgkmcnt(0)
	v_dual_add_f32 v0, v2, v4 :: v_dual_add_f32 v3, v3, v5
	v_cmp_eq_f32_e64 s3, s12, 0
	s_delay_alu instid0(VALU_DEP_2) | instskip(SKIP_1) | instid1(VALU_DEP_3)
	v_dual_mul_f32 v2, s16, v0 :: v_dual_mul_f32 v3, s16, v3
	v_lshlrev_b32_e32 v0, 1, v1
	s_and_b32 vcc_lo, exec_lo, s3
	s_cbranch_vccz .LBB68_21
; %bb.20:
	s_delay_alu instid0(VALU_DEP_1) | instskip(SKIP_1) | instid1(VALU_DEP_1)
	v_ashrrev_i32_e32 v1, 31, v0
	s_mov_b32 s2, 0
	v_lshlrev_b64 v[4:5], 2, v[0:1]
	s_delay_alu instid0(VALU_DEP_1) | instskip(NEXT) | instid1(VALU_DEP_2)
	v_add_co_u32 v4, vcc_lo, s0, v4
	v_add_co_ci_u32_e32 v5, vcc_lo, s1, v5, vcc_lo
	global_store_b64 v[4:5], v[2:3], off
.LBB68_21:
	s_and_not1_b32 vcc_lo, exec_lo, s2
	s_cbranch_vccnz .LBB68_23
; %bb.22:
	v_ashrrev_i32_e32 v1, 31, v0
	s_delay_alu instid0(VALU_DEP_1) | instskip(NEXT) | instid1(VALU_DEP_1)
	v_lshlrev_b64 v[0:1], 2, v[0:1]
	v_add_co_u32 v0, vcc_lo, s0, v0
	s_delay_alu instid0(VALU_DEP_2)
	v_add_co_ci_u32_e32 v1, vcc_lo, s1, v1, vcc_lo
	global_load_b64 v[4:5], v[0:1], off
	s_waitcnt vmcnt(0)
	v_dual_fmac_f32 v2, s12, v4 :: v_dual_fmac_f32 v3, s12, v5
	global_store_b64 v[0:1], v[2:3], off
.LBB68_23:
	s_nop 0
	s_sendmsg sendmsg(MSG_DEALLOC_VGPRS)
	s_endpgm
	.section	.rodata,"a",@progbits
	.p2align	6, 0x0
	.amdhsa_kernel _ZN9rocsparseL19gebsrmvn_2xn_kernelILj128ELj15ELj32EfEEvi20rocsparse_direction_NS_24const_host_device_scalarIT2_EEPKiS6_PKS3_S8_S4_PS3_21rocsparse_index_base_b
		.amdhsa_group_segment_fixed_size 0
		.amdhsa_private_segment_fixed_size 0
		.amdhsa_kernarg_size 72
		.amdhsa_user_sgpr_count 15
		.amdhsa_user_sgpr_dispatch_ptr 0
		.amdhsa_user_sgpr_queue_ptr 0
		.amdhsa_user_sgpr_kernarg_segment_ptr 1
		.amdhsa_user_sgpr_dispatch_id 0
		.amdhsa_user_sgpr_private_segment_size 0
		.amdhsa_wavefront_size32 1
		.amdhsa_uses_dynamic_stack 0
		.amdhsa_enable_private_segment 0
		.amdhsa_system_sgpr_workgroup_id_x 1
		.amdhsa_system_sgpr_workgroup_id_y 0
		.amdhsa_system_sgpr_workgroup_id_z 0
		.amdhsa_system_sgpr_workgroup_info 0
		.amdhsa_system_vgpr_workitem_id 0
		.amdhsa_next_free_vgpr 60
		.amdhsa_next_free_sgpr 20
		.amdhsa_reserve_vcc 1
		.amdhsa_float_round_mode_32 0
		.amdhsa_float_round_mode_16_64 0
		.amdhsa_float_denorm_mode_32 3
		.amdhsa_float_denorm_mode_16_64 3
		.amdhsa_dx10_clamp 1
		.amdhsa_ieee_mode 1
		.amdhsa_fp16_overflow 0
		.amdhsa_workgroup_processor_mode 1
		.amdhsa_memory_ordered 1
		.amdhsa_forward_progress 0
		.amdhsa_shared_vgpr_count 0
		.amdhsa_exception_fp_ieee_invalid_op 0
		.amdhsa_exception_fp_denorm_src 0
		.amdhsa_exception_fp_ieee_div_zero 0
		.amdhsa_exception_fp_ieee_overflow 0
		.amdhsa_exception_fp_ieee_underflow 0
		.amdhsa_exception_fp_ieee_inexact 0
		.amdhsa_exception_int_div_zero 0
	.end_amdhsa_kernel
	.section	.text._ZN9rocsparseL19gebsrmvn_2xn_kernelILj128ELj15ELj32EfEEvi20rocsparse_direction_NS_24const_host_device_scalarIT2_EEPKiS6_PKS3_S8_S4_PS3_21rocsparse_index_base_b,"axG",@progbits,_ZN9rocsparseL19gebsrmvn_2xn_kernelILj128ELj15ELj32EfEEvi20rocsparse_direction_NS_24const_host_device_scalarIT2_EEPKiS6_PKS3_S8_S4_PS3_21rocsparse_index_base_b,comdat
.Lfunc_end68:
	.size	_ZN9rocsparseL19gebsrmvn_2xn_kernelILj128ELj15ELj32EfEEvi20rocsparse_direction_NS_24const_host_device_scalarIT2_EEPKiS6_PKS3_S8_S4_PS3_21rocsparse_index_base_b, .Lfunc_end68-_ZN9rocsparseL19gebsrmvn_2xn_kernelILj128ELj15ELj32EfEEvi20rocsparse_direction_NS_24const_host_device_scalarIT2_EEPKiS6_PKS3_S8_S4_PS3_21rocsparse_index_base_b
                                        ; -- End function
	.section	.AMDGPU.csdata,"",@progbits
; Kernel info:
; codeLenInByte = 4012
; NumSgprs: 22
; NumVgprs: 60
; ScratchSize: 0
; MemoryBound: 0
; FloatMode: 240
; IeeeMode: 1
; LDSByteSize: 0 bytes/workgroup (compile time only)
; SGPRBlocks: 2
; VGPRBlocks: 7
; NumSGPRsForWavesPerEU: 22
; NumVGPRsForWavesPerEU: 60
; Occupancy: 16
; WaveLimiterHint : 1
; COMPUTE_PGM_RSRC2:SCRATCH_EN: 0
; COMPUTE_PGM_RSRC2:USER_SGPR: 15
; COMPUTE_PGM_RSRC2:TRAP_HANDLER: 0
; COMPUTE_PGM_RSRC2:TGID_X_EN: 1
; COMPUTE_PGM_RSRC2:TGID_Y_EN: 0
; COMPUTE_PGM_RSRC2:TGID_Z_EN: 0
; COMPUTE_PGM_RSRC2:TIDIG_COMP_CNT: 0
	.section	.text._ZN9rocsparseL19gebsrmvn_2xn_kernelILj128ELj15ELj64EfEEvi20rocsparse_direction_NS_24const_host_device_scalarIT2_EEPKiS6_PKS3_S8_S4_PS3_21rocsparse_index_base_b,"axG",@progbits,_ZN9rocsparseL19gebsrmvn_2xn_kernelILj128ELj15ELj64EfEEvi20rocsparse_direction_NS_24const_host_device_scalarIT2_EEPKiS6_PKS3_S8_S4_PS3_21rocsparse_index_base_b,comdat
	.globl	_ZN9rocsparseL19gebsrmvn_2xn_kernelILj128ELj15ELj64EfEEvi20rocsparse_direction_NS_24const_host_device_scalarIT2_EEPKiS6_PKS3_S8_S4_PS3_21rocsparse_index_base_b ; -- Begin function _ZN9rocsparseL19gebsrmvn_2xn_kernelILj128ELj15ELj64EfEEvi20rocsparse_direction_NS_24const_host_device_scalarIT2_EEPKiS6_PKS3_S8_S4_PS3_21rocsparse_index_base_b
	.p2align	8
	.type	_ZN9rocsparseL19gebsrmvn_2xn_kernelILj128ELj15ELj64EfEEvi20rocsparse_direction_NS_24const_host_device_scalarIT2_EEPKiS6_PKS3_S8_S4_PS3_21rocsparse_index_base_b,@function
_ZN9rocsparseL19gebsrmvn_2xn_kernelILj128ELj15ELj64EfEEvi20rocsparse_direction_NS_24const_host_device_scalarIT2_EEPKiS6_PKS3_S8_S4_PS3_21rocsparse_index_base_b: ; @_ZN9rocsparseL19gebsrmvn_2xn_kernelILj128ELj15ELj64EfEEvi20rocsparse_direction_NS_24const_host_device_scalarIT2_EEPKiS6_PKS3_S8_S4_PS3_21rocsparse_index_base_b
; %bb.0:
	s_clause 0x2
	s_load_b64 s[18:19], s[0:1], 0x40
	s_load_b64 s[16:17], s[0:1], 0x8
	;; [unrolled: 1-line block ×3, first 2 shown]
	s_waitcnt lgkmcnt(0)
	s_bitcmp1_b32 s19, 0
	s_cselect_b32 s2, -1, 0
	s_delay_alu instid0(SALU_CYCLE_1)
	s_and_b32 vcc_lo, exec_lo, s2
	s_xor_b32 s2, s2, -1
	s_cbranch_vccnz .LBB69_2
; %bb.1:
	s_load_b32 s16, s[16:17], 0x0
.LBB69_2:
	s_and_not1_b32 vcc_lo, exec_lo, s2
	s_cbranch_vccnz .LBB69_4
; %bb.3:
	s_load_b32 s12, s[12:13], 0x0
.LBB69_4:
	s_waitcnt lgkmcnt(0)
	v_cmp_eq_f32_e64 s2, s16, 0
	v_cmp_eq_f32_e64 s3, s12, 1.0
	s_delay_alu instid0(VALU_DEP_1) | instskip(NEXT) | instid1(SALU_CYCLE_1)
	s_and_b32 s2, s2, s3
	s_and_b32 vcc_lo, exec_lo, s2
	s_cbranch_vccnz .LBB69_23
; %bb.5:
	s_load_b64 s[2:3], s[0:1], 0x0
	v_lshrrev_b32_e32 v1, 6, v0
	s_delay_alu instid0(VALU_DEP_1) | instskip(SKIP_1) | instid1(VALU_DEP_1)
	v_lshl_or_b32 v1, s15, 1, v1
	s_waitcnt lgkmcnt(0)
	v_cmp_gt_i32_e32 vcc_lo, s2, v1
	s_and_saveexec_b32 s2, vcc_lo
	s_cbranch_execz .LBB69_23
; %bb.6:
	s_load_b256 s[4:11], s[0:1], 0x10
	v_ashrrev_i32_e32 v2, 31, v1
	v_and_b32_e32 v0, 63, v0
	s_cmp_lg_u32 s3, 0
	s_delay_alu instid0(VALU_DEP_2) | instskip(SKIP_1) | instid1(VALU_DEP_1)
	v_lshlrev_b64 v[2:3], 2, v[1:2]
	s_waitcnt lgkmcnt(0)
	v_add_co_u32 v2, vcc_lo, s4, v2
	s_delay_alu instid0(VALU_DEP_2) | instskip(SKIP_4) | instid1(VALU_DEP_2)
	v_add_co_ci_u32_e32 v3, vcc_lo, s5, v3, vcc_lo
	global_load_b64 v[2:3], v[2:3], off
	s_waitcnt vmcnt(0)
	v_subrev_nc_u32_e32 v2, s18, v2
	v_subrev_nc_u32_e32 v12, s18, v3
	v_add_nc_u32_e32 v2, v2, v0
	s_delay_alu instid0(VALU_DEP_1)
	v_cmp_lt_i32_e64 s2, v2, v12
	s_cbranch_scc0 .LBB69_12
; %bb.7:
	v_dual_mov_b32 v10, 0 :: v_dual_mov_b32 v11, 0
	s_mov_b32 s3, 0
	s_delay_alu instid0(VALU_DEP_2)
	s_and_saveexec_b32 s4, s2
	s_cbranch_execz .LBB69_11
; %bb.8:
	v_mad_u64_u32 v[3:4], null, v2, 30, 28
	v_dual_mov_b32 v6, 0 :: v_dual_mov_b32 v7, v2
	v_dual_mov_b32 v10, 0 :: v_dual_mov_b32 v11, 0
	s_mov_b32 s5, 0
.LBB69_9:                               ; =>This Inner Loop Header: Depth=1
	s_delay_alu instid0(VALU_DEP_2) | instskip(NEXT) | instid1(VALU_DEP_1)
	v_ashrrev_i32_e32 v8, 31, v7
	v_lshlrev_b64 v[4:5], 2, v[7:8]
	v_add_nc_u32_e32 v7, 64, v7
	s_delay_alu instid0(VALU_DEP_2) | instskip(NEXT) | instid1(VALU_DEP_3)
	v_add_co_u32 v4, vcc_lo, s6, v4
	v_add_co_ci_u32_e32 v5, vcc_lo, s7, v5, vcc_lo
	global_load_b32 v8, v[4:5], off
	v_subrev_nc_u32_e32 v5, 28, v3
	v_mov_b32_e32 v4, v6
	s_delay_alu instid0(VALU_DEP_2) | instskip(SKIP_1) | instid1(VALU_DEP_3)
	v_lshlrev_b64 v[13:14], 2, v[5:6]
	v_subrev_nc_u32_e32 v5, 26, v3
	v_lshlrev_b64 v[15:16], 2, v[3:4]
	s_delay_alu instid0(VALU_DEP_2) | instskip(NEXT) | instid1(VALU_DEP_4)
	v_lshlrev_b64 v[4:5], 2, v[5:6]
	v_add_co_u32 v13, vcc_lo, s8, v13
	v_add_co_ci_u32_e32 v14, vcc_lo, s9, v14, vcc_lo
	s_delay_alu instid0(VALU_DEP_4)
	v_add_co_u32 v15, vcc_lo, s8, v15
	v_add_co_ci_u32_e32 v16, vcc_lo, s9, v16, vcc_lo
	v_add_co_u32 v4, vcc_lo, s8, v4
	v_add_co_ci_u32_e32 v5, vcc_lo, s9, v5, vcc_lo
	s_clause 0x1
	global_load_b64 v[13:14], v[13:14], off
	global_load_b64 v[17:18], v[4:5], off
	v_mov_b32_e32 v9, v6
	s_waitcnt vmcnt(2)
	v_subrev_nc_u32_e32 v4, s18, v8
	s_delay_alu instid0(VALU_DEP_1) | instskip(NEXT) | instid1(VALU_DEP_1)
	v_mul_lo_u32 v8, v4, 15
	v_add_nc_u32_e32 v5, 1, v8
	v_lshlrev_b64 v[19:20], 2, v[8:9]
	s_delay_alu instid0(VALU_DEP_2) | instskip(SKIP_1) | instid1(VALU_DEP_3)
	v_lshlrev_b64 v[21:22], 2, v[5:6]
	v_subrev_nc_u32_e32 v5, 24, v3
	v_add_co_u32 v19, vcc_lo, s10, v19
	s_delay_alu instid0(VALU_DEP_4) | instskip(NEXT) | instid1(VALU_DEP_4)
	v_add_co_ci_u32_e32 v20, vcc_lo, s11, v20, vcc_lo
	v_add_co_u32 v21, vcc_lo, s10, v21
	v_add_co_ci_u32_e32 v22, vcc_lo, s11, v22, vcc_lo
	global_load_b32 v47, v[19:20], off
	v_lshlrev_b64 v[23:24], 2, v[5:6]
	global_load_b32 v48, v[21:22], off
	v_add_co_u32 v21, vcc_lo, s8, v23
	v_add_co_ci_u32_e32 v22, vcc_lo, s9, v24, vcc_lo
	global_load_b64 v[21:22], v[21:22], off
	s_waitcnt vmcnt(2)
	v_fmac_f32_e32 v10, v13, v47
	s_waitcnt vmcnt(1)
	s_delay_alu instid0(VALU_DEP_1) | instskip(SKIP_1) | instid1(VALU_DEP_2)
	v_dual_fmac_f32 v11, v14, v47 :: v_dual_fmac_f32 v10, v17, v48
	v_add_nc_u32_e32 v5, 2, v8
	v_fmac_f32_e32 v11, v18, v48
	s_delay_alu instid0(VALU_DEP_2) | instskip(SKIP_1) | instid1(VALU_DEP_1)
	v_lshlrev_b64 v[19:20], 2, v[5:6]
	v_subrev_nc_u32_e32 v5, 22, v3
	v_lshlrev_b64 v[23:24], 2, v[5:6]
	v_add_nc_u32_e32 v5, 3, v8
	s_delay_alu instid0(VALU_DEP_4) | instskip(SKIP_1) | instid1(VALU_DEP_3)
	v_add_co_u32 v19, vcc_lo, s10, v19
	v_add_co_ci_u32_e32 v20, vcc_lo, s11, v20, vcc_lo
	v_lshlrev_b64 v[25:26], 2, v[5:6]
	v_subrev_nc_u32_e32 v5, 20, v3
	global_load_b32 v49, v[19:20], off
	v_add_co_u32 v19, vcc_lo, s8, v23
	v_add_co_ci_u32_e32 v20, vcc_lo, s9, v24, vcc_lo
	v_lshlrev_b64 v[23:24], 2, v[5:6]
	v_add_co_u32 v25, vcc_lo, s10, v25
	v_add_co_ci_u32_e32 v26, vcc_lo, s11, v26, vcc_lo
	s_delay_alu instid0(VALU_DEP_3) | instskip(NEXT) | instid1(VALU_DEP_4)
	v_add_co_u32 v23, vcc_lo, s8, v23
	v_add_co_ci_u32_e32 v24, vcc_lo, s9, v24, vcc_lo
	global_load_b32 v50, v[25:26], off
	global_load_b64 v[23:24], v[23:24], off
	v_add_nc_u32_e32 v5, 4, v8
	global_load_b64 v[19:20], v[19:20], off
	v_lshlrev_b64 v[27:28], 2, v[5:6]
	v_subrev_nc_u32_e32 v5, 18, v3
	s_delay_alu instid0(VALU_DEP_2) | instskip(NEXT) | instid1(VALU_DEP_3)
	v_add_co_u32 v27, vcc_lo, s10, v27
	v_add_co_ci_u32_e32 v28, vcc_lo, s11, v28, vcc_lo
	global_load_b32 v51, v[27:28], off
	v_lshlrev_b64 v[25:26], 2, v[5:6]
	v_add_nc_u32_e32 v5, 5, v8
	s_delay_alu instid0(VALU_DEP_1) | instskip(NEXT) | instid1(VALU_DEP_3)
	v_lshlrev_b64 v[29:30], 2, v[5:6]
	v_add_co_u32 v25, vcc_lo, s8, v25
	s_delay_alu instid0(VALU_DEP_4) | instskip(NEXT) | instid1(VALU_DEP_3)
	v_add_co_ci_u32_e32 v26, vcc_lo, s9, v26, vcc_lo
	v_add_co_u32 v29, vcc_lo, s10, v29
	s_delay_alu instid0(VALU_DEP_4)
	v_add_co_ci_u32_e32 v30, vcc_lo, s11, v30, vcc_lo
	global_load_b64 v[25:26], v[25:26], off
	global_load_b32 v52, v[29:30], off
	s_waitcnt vmcnt(6)
	v_fmac_f32_e32 v10, v21, v49
	s_waitcnt vmcnt(3)
	s_delay_alu instid0(VALU_DEP_1) | instskip(SKIP_1) | instid1(VALU_DEP_1)
	v_dual_fmac_f32 v11, v22, v49 :: v_dual_fmac_f32 v10, v19, v50
	s_waitcnt vmcnt(2)
	v_dual_fmac_f32 v11, v20, v50 :: v_dual_fmac_f32 v10, v23, v51
	v_add_nc_u32_e32 v5, -16, v3
	s_delay_alu instid0(VALU_DEP_2) | instskip(NEXT) | instid1(VALU_DEP_2)
	v_fmac_f32_e32 v11, v24, v51
	v_lshlrev_b64 v[27:28], 2, v[5:6]
	v_add_nc_u32_e32 v5, 6, v8
	s_delay_alu instid0(VALU_DEP_1) | instskip(NEXT) | instid1(VALU_DEP_3)
	v_lshlrev_b64 v[31:32], 2, v[5:6]
	v_add_co_u32 v27, vcc_lo, s8, v27
	s_delay_alu instid0(VALU_DEP_4) | instskip(SKIP_1) | instid1(VALU_DEP_4)
	v_add_co_ci_u32_e32 v28, vcc_lo, s9, v28, vcc_lo
	v_add_nc_u32_e32 v5, -14, v3
	v_add_co_u32 v31, vcc_lo, s10, v31
	v_add_co_ci_u32_e32 v32, vcc_lo, s11, v32, vcc_lo
	global_load_b64 v[27:28], v[27:28], off
	global_load_b32 v53, v[31:32], off
	v_lshlrev_b64 v[29:30], 2, v[5:6]
	v_add_nc_u32_e32 v5, 7, v8
	s_waitcnt vmcnt(2)
	v_fmac_f32_e32 v10, v25, v52
	v_fmac_f32_e32 v11, v26, v52
	s_delay_alu instid0(VALU_DEP_3) | instskip(SKIP_3) | instid1(VALU_DEP_3)
	v_lshlrev_b64 v[33:34], 2, v[5:6]
	v_add_nc_u32_e32 v5, -12, v3
	v_add_co_u32 v29, vcc_lo, s8, v29
	v_add_co_ci_u32_e32 v30, vcc_lo, s9, v30, vcc_lo
	v_lshlrev_b64 v[31:32], 2, v[5:6]
	v_add_nc_u32_e32 v5, 8, v8
	v_add_co_u32 v33, vcc_lo, s10, v33
	v_add_co_ci_u32_e32 v34, vcc_lo, s11, v34, vcc_lo
	s_delay_alu instid0(VALU_DEP_3) | instskip(SKIP_3) | instid1(VALU_DEP_4)
	v_lshlrev_b64 v[35:36], 2, v[5:6]
	v_add_co_u32 v31, vcc_lo, s8, v31
	v_add_co_ci_u32_e32 v32, vcc_lo, s9, v32, vcc_lo
	v_add_nc_u32_e32 v5, -10, v3
	v_add_co_u32 v35, vcc_lo, s10, v35
	v_add_co_ci_u32_e32 v36, vcc_lo, s11, v36, vcc_lo
	global_load_b32 v54, v[33:34], off
	s_clause 0x1
	global_load_b64 v[29:30], v[29:30], off
	global_load_b64 v[31:32], v[31:32], off
	global_load_b32 v55, v[35:36], off
	v_lshlrev_b64 v[33:34], 2, v[5:6]
	v_add_nc_u32_e32 v5, 9, v8
	s_delay_alu instid0(VALU_DEP_1) | instskip(SKIP_1) | instid1(VALU_DEP_4)
	v_lshlrev_b64 v[37:38], 2, v[5:6]
	v_add_nc_u32_e32 v5, -8, v3
	v_add_co_u32 v33, vcc_lo, s8, v33
	v_add_co_ci_u32_e32 v34, vcc_lo, s9, v34, vcc_lo
	s_delay_alu instid0(VALU_DEP_3) | instskip(SKIP_3) | instid1(VALU_DEP_3)
	v_lshlrev_b64 v[35:36], 2, v[5:6]
	v_add_nc_u32_e32 v5, 10, v8
	v_add_co_u32 v37, vcc_lo, s10, v37
	v_add_co_ci_u32_e32 v38, vcc_lo, s11, v38, vcc_lo
	v_lshlrev_b64 v[39:40], 2, v[5:6]
	v_add_co_u32 v35, vcc_lo, s8, v35
	v_add_co_ci_u32_e32 v36, vcc_lo, s9, v36, vcc_lo
	v_add_nc_u32_e32 v5, -6, v3
	s_delay_alu instid0(VALU_DEP_4)
	v_add_co_u32 v39, vcc_lo, s10, v39
	v_add_co_ci_u32_e32 v40, vcc_lo, s11, v40, vcc_lo
	global_load_b32 v56, v[37:38], off
	s_clause 0x1
	global_load_b64 v[33:34], v[33:34], off
	global_load_b64 v[35:36], v[35:36], off
	global_load_b32 v57, v[39:40], off
	v_lshlrev_b64 v[37:38], 2, v[5:6]
	v_add_nc_u32_e32 v5, 11, v8
	s_delay_alu instid0(VALU_DEP_1) | instskip(SKIP_1) | instid1(VALU_DEP_4)
	v_lshlrev_b64 v[41:42], 2, v[5:6]
	v_add_nc_u32_e32 v5, -4, v3
	v_add_co_u32 v37, vcc_lo, s8, v37
	v_add_co_ci_u32_e32 v38, vcc_lo, s9, v38, vcc_lo
	s_delay_alu instid0(VALU_DEP_3) | instskip(SKIP_3) | instid1(VALU_DEP_3)
	v_lshlrev_b64 v[39:40], 2, v[5:6]
	v_add_nc_u32_e32 v5, 12, v8
	v_add_co_u32 v41, vcc_lo, s10, v41
	v_add_co_ci_u32_e32 v42, vcc_lo, s11, v42, vcc_lo
	v_lshlrev_b64 v[43:44], 2, v[5:6]
	v_add_co_u32 v39, vcc_lo, s8, v39
	v_add_co_ci_u32_e32 v40, vcc_lo, s9, v40, vcc_lo
	v_add_nc_u32_e32 v5, -2, v3
	s_delay_alu instid0(VALU_DEP_4)
	v_add_co_u32 v43, vcc_lo, s10, v43
	v_add_co_ci_u32_e32 v44, vcc_lo, s11, v44, vcc_lo
	global_load_b32 v58, v[41:42], off
	s_clause 0x1
	global_load_b64 v[37:38], v[37:38], off
	global_load_b64 v[39:40], v[39:40], off
	global_load_b32 v43, v[43:44], off
	v_lshlrev_b64 v[41:42], 2, v[5:6]
	v_add_nc_u32_e32 v5, 13, v8
	v_add_nc_u32_e32 v3, 0x780, v3
	s_delay_alu instid0(VALU_DEP_2) | instskip(SKIP_3) | instid1(VALU_DEP_3)
	v_lshlrev_b64 v[45:46], 2, v[5:6]
	v_add_nc_u32_e32 v5, 14, v8
	v_add_co_u32 v8, vcc_lo, s8, v41
	v_add_co_ci_u32_e32 v9, vcc_lo, s9, v42, vcc_lo
	v_lshlrev_b64 v[4:5], 2, v[5:6]
	v_add_co_u32 v41, vcc_lo, s10, v45
	v_add_co_ci_u32_e32 v42, vcc_lo, s11, v46, vcc_lo
	global_load_b64 v[8:9], v[8:9], off
	global_load_b32 v41, v[41:42], off
	v_add_co_u32 v4, vcc_lo, s10, v4
	v_add_co_ci_u32_e32 v5, vcc_lo, s11, v5, vcc_lo
	global_load_b64 v[15:16], v[15:16], off
	global_load_b32 v4, v[4:5], off
	v_cmp_ge_i32_e32 vcc_lo, v7, v12
	s_or_b32 s5, vcc_lo, s5
	s_waitcnt vmcnt(16)
	v_fmac_f32_e32 v10, v27, v53
	s_waitcnt vmcnt(14)
	s_delay_alu instid0(VALU_DEP_1) | instskip(SKIP_1) | instid1(VALU_DEP_1)
	v_dual_fmac_f32 v11, v28, v53 :: v_dual_fmac_f32 v10, v29, v54
	s_waitcnt vmcnt(12)
	v_dual_fmac_f32 v11, v30, v54 :: v_dual_fmac_f32 v10, v31, v55
	s_waitcnt vmcnt(10)
	s_delay_alu instid0(VALU_DEP_1) | instskip(SKIP_1) | instid1(VALU_DEP_1)
	v_dual_fmac_f32 v11, v32, v55 :: v_dual_fmac_f32 v10, v33, v56
	s_waitcnt vmcnt(8)
	v_dual_fmac_f32 v11, v34, v56 :: v_dual_fmac_f32 v10, v35, v57
	s_waitcnt vmcnt(6)
	s_delay_alu instid0(VALU_DEP_1) | instskip(SKIP_1) | instid1(VALU_DEP_1)
	v_dual_fmac_f32 v11, v36, v57 :: v_dual_fmac_f32 v10, v37, v58
	s_waitcnt vmcnt(4)
	v_dual_fmac_f32 v11, v38, v58 :: v_dual_fmac_f32 v10, v39, v43
	s_delay_alu instid0(VALU_DEP_1) | instskip(SKIP_1) | instid1(VALU_DEP_2)
	v_fmac_f32_e32 v11, v40, v43
	s_waitcnt vmcnt(2)
	v_fmac_f32_e32 v10, v8, v41
	s_waitcnt vmcnt(0)
	s_delay_alu instid0(VALU_DEP_1) | instskip(NEXT) | instid1(VALU_DEP_1)
	v_dual_fmac_f32 v11, v9, v41 :: v_dual_fmac_f32 v10, v15, v4
	v_fmac_f32_e32 v11, v16, v4
	s_and_not1_b32 exec_lo, exec_lo, s5
	s_cbranch_execnz .LBB69_9
; %bb.10:
	s_or_b32 exec_lo, exec_lo, s5
.LBB69_11:
	s_delay_alu instid0(SALU_CYCLE_1) | instskip(NEXT) | instid1(SALU_CYCLE_1)
	s_or_b32 exec_lo, exec_lo, s4
	s_and_not1_b32 vcc_lo, exec_lo, s3
	s_cbranch_vccz .LBB69_13
	s_branch .LBB69_18
.LBB69_12:
                                        ; implicit-def: $vgpr10
                                        ; implicit-def: $vgpr11
.LBB69_13:
	v_dual_mov_b32 v10, 0 :: v_dual_mov_b32 v11, 0
	s_delay_alu instid0(VALU_DEP_2)
	s_and_saveexec_b32 s3, s2
	s_cbranch_execz .LBB69_17
; %bb.14:
	v_mad_u64_u32 v[4:5], null, v2, 30, 29
	v_dual_mov_b32 v7, 0 :: v_dual_mov_b32 v10, 0
	v_mov_b32_e32 v11, 0
	s_mov_b32 s2, 0
.LBB69_15:                              ; =>This Inner Loop Header: Depth=1
	v_ashrrev_i32_e32 v3, 31, v2
	s_delay_alu instid0(VALU_DEP_3) | instskip(NEXT) | instid1(VALU_DEP_2)
	v_dual_mov_b32 v14, v7 :: v_dual_add_nc_u32 v13, -14, v4
	v_lshlrev_b64 v[5:6], 2, v[2:3]
	v_add_nc_u32_e32 v2, 64, v2
	s_delay_alu instid0(VALU_DEP_3) | instskip(NEXT) | instid1(VALU_DEP_3)
	v_lshlrev_b64 v[13:14], 2, v[13:14]
	v_add_co_u32 v5, vcc_lo, s6, v5
	s_delay_alu instid0(VALU_DEP_4) | instskip(SKIP_3) | instid1(VALU_DEP_2)
	v_add_co_ci_u32_e32 v6, vcc_lo, s7, v6, vcc_lo
	global_load_b32 v3, v[5:6], off
	v_subrev_nc_u32_e32 v6, 29, v4
	v_mov_b32_e32 v5, v7
	v_lshlrev_b64 v[15:16], 2, v[6:7]
	s_delay_alu instid0(VALU_DEP_2) | instskip(NEXT) | instid1(VALU_DEP_2)
	v_lshlrev_b64 v[5:6], 2, v[4:5]
	v_add_co_u32 v15, vcc_lo, s8, v15
	s_delay_alu instid0(VALU_DEP_3)
	v_add_co_ci_u32_e32 v16, vcc_lo, s9, v16, vcc_lo
	v_add_co_u32 v13, vcc_lo, s8, v13
	v_add_co_ci_u32_e32 v14, vcc_lo, s9, v14, vcc_lo
	v_add_co_u32 v17, vcc_lo, s8, v5
	v_add_co_ci_u32_e32 v18, vcc_lo, s9, v6, vcc_lo
	s_clause 0x1
	global_load_b64 v[15:16], v[15:16], off
	global_load_b32 v23, v[13:14], off
	s_waitcnt vmcnt(2)
	v_subrev_nc_u32_e32 v3, s18, v3
	s_delay_alu instid0(VALU_DEP_1) | instskip(NEXT) | instid1(VALU_DEP_1)
	v_mul_lo_u32 v8, v3, 15
	v_dual_mov_b32 v9, v7 :: v_dual_add_nc_u32 v6, 1, v8
	s_delay_alu instid0(VALU_DEP_1) | instskip(NEXT) | instid1(VALU_DEP_2)
	v_lshlrev_b64 v[13:14], 2, v[8:9]
	v_lshlrev_b64 v[19:20], 2, v[6:7]
	v_add_nc_u32_e32 v6, -13, v4
	s_delay_alu instid0(VALU_DEP_3) | instskip(NEXT) | instid1(VALU_DEP_4)
	v_add_co_u32 v13, vcc_lo, s10, v13
	v_add_co_ci_u32_e32 v14, vcc_lo, s11, v14, vcc_lo
	s_delay_alu instid0(VALU_DEP_3)
	v_lshlrev_b64 v[21:22], 2, v[6:7]
	v_subrev_nc_u32_e32 v6, 27, v4
	global_load_b32 v3, v[13:14], off
	v_add_co_u32 v13, vcc_lo, s10, v19
	v_add_co_ci_u32_e32 v14, vcc_lo, s11, v20, vcc_lo
	v_add_co_u32 v21, vcc_lo, s8, v21
	v_add_co_ci_u32_e32 v22, vcc_lo, s9, v22, vcc_lo
	global_load_b32 v24, v[13:14], off
	v_lshlrev_b64 v[19:20], 2, v[6:7]
	v_add_nc_u32_e32 v6, 2, v8
	global_load_b32 v25, v[21:22], off
	v_add_co_u32 v19, vcc_lo, s8, v19
	v_add_co_ci_u32_e32 v20, vcc_lo, s9, v20, vcc_lo
	global_load_b32 v26, v[19:20], off
	s_waitcnt vmcnt(3)
	v_fmac_f32_e32 v11, v23, v3
	v_lshlrev_b64 v[13:14], 2, v[6:7]
	v_fmac_f32_e32 v10, v15, v3
	s_delay_alu instid0(VALU_DEP_2) | instskip(NEXT) | instid1(VALU_DEP_3)
	v_add_co_u32 v13, vcc_lo, s10, v13
	v_add_co_ci_u32_e32 v14, vcc_lo, s11, v14, vcc_lo
	s_waitcnt vmcnt(1)
	v_fmac_f32_e32 v11, v25, v24
	v_fmac_f32_e32 v10, v16, v24
	global_load_b32 v27, v[13:14], off
	v_add_nc_u32_e32 v6, -12, v4
	s_delay_alu instid0(VALU_DEP_1) | instskip(SKIP_1) | instid1(VALU_DEP_2)
	v_lshlrev_b64 v[21:22], 2, v[6:7]
	v_subrev_nc_u32_e32 v6, 26, v4
	v_add_co_u32 v13, vcc_lo, s8, v21
	s_delay_alu instid0(VALU_DEP_3) | instskip(SKIP_2) | instid1(VALU_DEP_1)
	v_add_co_ci_u32_e32 v14, vcc_lo, s9, v22, vcc_lo
	global_load_b32 v28, v[13:14], off
	v_lshlrev_b64 v[19:20], 2, v[6:7]
	v_add_co_u32 v19, vcc_lo, s8, v19
	s_delay_alu instid0(VALU_DEP_2) | instskip(SKIP_3) | instid1(VALU_DEP_1)
	v_add_co_ci_u32_e32 v20, vcc_lo, s9, v20, vcc_lo
	global_load_b32 v29, v[19:20], off
	s_waitcnt vmcnt(1)
	v_dual_fmac_f32 v11, v28, v27 :: v_dual_add_nc_u32 v6, 3, v8
	v_lshlrev_b64 v[21:22], 2, v[6:7]
	v_add_nc_u32_e32 v6, -11, v4
	s_delay_alu instid0(VALU_DEP_1) | instskip(SKIP_1) | instid1(VALU_DEP_4)
	v_lshlrev_b64 v[13:14], 2, v[6:7]
	v_subrev_nc_u32_e32 v6, 25, v4
	v_add_co_u32 v19, vcc_lo, s10, v21
	v_add_co_ci_u32_e32 v20, vcc_lo, s11, v22, vcc_lo
	s_delay_alu instid0(VALU_DEP_3)
	v_lshlrev_b64 v[21:22], 2, v[6:7]
	v_add_nc_u32_e32 v6, 4, v8
	v_add_co_u32 v13, vcc_lo, s8, v13
	v_add_co_ci_u32_e32 v14, vcc_lo, s9, v14, vcc_lo
	global_load_b32 v30, v[19:20], off
	v_lshlrev_b64 v[19:20], 2, v[6:7]
	v_add_nc_u32_e32 v6, -10, v4
	global_load_b32 v31, v[13:14], off
	v_add_co_u32 v13, vcc_lo, s8, v21
	v_add_co_ci_u32_e32 v14, vcc_lo, s9, v22, vcc_lo
	v_lshlrev_b64 v[21:22], 2, v[6:7]
	v_subrev_nc_u32_e32 v6, 24, v4
	v_add_co_u32 v19, vcc_lo, s10, v19
	v_add_co_ci_u32_e32 v20, vcc_lo, s11, v20, vcc_lo
	global_load_b32 v32, v[13:14], off
	v_lshlrev_b64 v[13:14], 2, v[6:7]
	v_add_nc_u32_e32 v6, 5, v8
	global_load_b32 v33, v[19:20], off
	v_add_co_u32 v19, vcc_lo, s8, v21
	v_add_co_ci_u32_e32 v20, vcc_lo, s9, v22, vcc_lo
	v_add_co_u32 v13, vcc_lo, s8, v13
	v_lshlrev_b64 v[21:22], 2, v[6:7]
	v_add_nc_u32_e32 v6, -9, v4
	v_add_co_ci_u32_e32 v14, vcc_lo, s9, v14, vcc_lo
	s_clause 0x1
	global_load_b32 v34, v[19:20], off
	global_load_b32 v35, v[13:14], off
	v_lshlrev_b64 v[19:20], 2, v[6:7]
	v_subrev_nc_u32_e32 v6, 23, v4
	v_add_co_u32 v13, vcc_lo, s10, v21
	v_add_co_ci_u32_e32 v14, vcc_lo, s11, v22, vcc_lo
	s_delay_alu instid0(VALU_DEP_3)
	v_lshlrev_b64 v[21:22], 2, v[6:7]
	v_add_nc_u32_e32 v6, 6, v8
	v_add_co_u32 v19, vcc_lo, s8, v19
	v_add_co_ci_u32_e32 v20, vcc_lo, s9, v20, vcc_lo
	global_load_b32 v36, v[13:14], off
	v_lshlrev_b64 v[13:14], 2, v[6:7]
	v_add_nc_u32_e32 v6, -8, v4
	global_load_b32 v37, v[19:20], off
	v_add_co_u32 v19, vcc_lo, s8, v21
	v_add_co_ci_u32_e32 v20, vcc_lo, s9, v22, vcc_lo
	v_add_co_u32 v13, vcc_lo, s10, v13
	v_lshlrev_b64 v[21:22], 2, v[6:7]
	v_add_co_ci_u32_e32 v14, vcc_lo, s11, v14, vcc_lo
	v_subrev_nc_u32_e32 v6, 22, v4
	global_load_b32 v38, v[19:20], off
	global_load_b32 v39, v[13:14], off
	v_add_co_u32 v13, vcc_lo, s8, v21
	v_add_co_ci_u32_e32 v14, vcc_lo, s9, v22, vcc_lo
	global_load_b32 v40, v[13:14], off
	v_lshlrev_b64 v[19:20], 2, v[6:7]
	v_add_nc_u32_e32 v6, 7, v8
	s_delay_alu instid0(VALU_DEP_1) | instskip(SKIP_1) | instid1(VALU_DEP_4)
	v_lshlrev_b64 v[21:22], 2, v[6:7]
	v_add_nc_u32_e32 v6, -7, v4
	v_add_co_u32 v19, vcc_lo, s8, v19
	v_add_co_ci_u32_e32 v20, vcc_lo, s9, v20, vcc_lo
	s_delay_alu instid0(VALU_DEP_3)
	v_lshlrev_b64 v[13:14], 2, v[6:7]
	v_subrev_nc_u32_e32 v6, 21, v4
	global_load_b32 v41, v[19:20], off
	v_add_co_u32 v19, vcc_lo, s10, v21
	v_add_co_ci_u32_e32 v20, vcc_lo, s11, v22, vcc_lo
	v_lshlrev_b64 v[21:22], 2, v[6:7]
	v_add_nc_u32_e32 v6, 8, v8
	v_add_co_u32 v13, vcc_lo, s8, v13
	v_add_co_ci_u32_e32 v14, vcc_lo, s9, v14, vcc_lo
	global_load_b32 v42, v[19:20], off
	v_lshlrev_b64 v[19:20], 2, v[6:7]
	v_add_nc_u32_e32 v6, -6, v4
	global_load_b32 v43, v[13:14], off
	v_add_co_u32 v13, vcc_lo, s8, v21
	v_add_co_ci_u32_e32 v14, vcc_lo, s9, v22, vcc_lo
	v_lshlrev_b64 v[21:22], 2, v[6:7]
	v_subrev_nc_u32_e32 v6, 20, v4
	v_add_co_u32 v19, vcc_lo, s10, v19
	v_add_co_ci_u32_e32 v20, vcc_lo, s11, v20, vcc_lo
	global_load_b32 v44, v[13:14], off
	v_lshlrev_b64 v[13:14], 2, v[6:7]
	v_add_nc_u32_e32 v6, 9, v8
	global_load_b32 v45, v[19:20], off
	v_add_co_u32 v19, vcc_lo, s8, v21
	v_add_co_ci_u32_e32 v20, vcc_lo, s9, v22, vcc_lo
	v_add_co_u32 v13, vcc_lo, s8, v13
	v_lshlrev_b64 v[21:22], 2, v[6:7]
	v_add_nc_u32_e32 v6, -5, v4
	v_add_co_ci_u32_e32 v14, vcc_lo, s9, v14, vcc_lo
	s_clause 0x1
	global_load_b32 v46, v[19:20], off
	global_load_b32 v47, v[13:14], off
	v_lshlrev_b64 v[19:20], 2, v[6:7]
	v_subrev_nc_u32_e32 v6, 19, v4
	v_add_co_u32 v13, vcc_lo, s10, v21
	v_add_co_ci_u32_e32 v14, vcc_lo, s11, v22, vcc_lo
	s_delay_alu instid0(VALU_DEP_3)
	v_lshlrev_b64 v[21:22], 2, v[6:7]
	v_add_nc_u32_e32 v6, 10, v8
	v_add_co_u32 v19, vcc_lo, s8, v19
	v_add_co_ci_u32_e32 v20, vcc_lo, s9, v20, vcc_lo
	global_load_b32 v48, v[13:14], off
	v_lshlrev_b64 v[13:14], 2, v[6:7]
	v_add_nc_u32_e32 v6, -4, v4
	global_load_b32 v49, v[19:20], off
	v_add_co_u32 v19, vcc_lo, s8, v21
	v_add_co_ci_u32_e32 v20, vcc_lo, s9, v22, vcc_lo
	v_add_co_u32 v13, vcc_lo, s10, v13
	v_lshlrev_b64 v[21:22], 2, v[6:7]
	v_add_co_ci_u32_e32 v14, vcc_lo, s11, v14, vcc_lo
	v_subrev_nc_u32_e32 v6, 18, v4
	global_load_b32 v50, v[19:20], off
	global_load_b32 v51, v[13:14], off
	v_add_co_u32 v13, vcc_lo, s8, v21
	v_add_co_ci_u32_e32 v14, vcc_lo, s9, v22, vcc_lo
	global_load_b32 v52, v[13:14], off
	v_lshlrev_b64 v[19:20], 2, v[6:7]
	v_add_nc_u32_e32 v6, 11, v8
	s_delay_alu instid0(VALU_DEP_1) | instskip(SKIP_1) | instid1(VALU_DEP_4)
	v_lshlrev_b64 v[21:22], 2, v[6:7]
	v_add_nc_u32_e32 v6, -3, v4
	v_add_co_u32 v19, vcc_lo, s8, v19
	v_add_co_ci_u32_e32 v20, vcc_lo, s9, v20, vcc_lo
	s_delay_alu instid0(VALU_DEP_3)
	v_lshlrev_b64 v[13:14], 2, v[6:7]
	v_subrev_nc_u32_e32 v6, 17, v4
	global_load_b32 v53, v[19:20], off
	v_add_co_u32 v19, vcc_lo, s10, v21
	v_add_co_ci_u32_e32 v20, vcc_lo, s11, v22, vcc_lo
	v_lshlrev_b64 v[21:22], 2, v[6:7]
	v_add_nc_u32_e32 v6, 12, v8
	v_add_co_u32 v13, vcc_lo, s8, v13
	v_add_co_ci_u32_e32 v14, vcc_lo, s9, v14, vcc_lo
	global_load_b32 v54, v[19:20], off
	v_lshlrev_b64 v[19:20], 2, v[6:7]
	v_add_nc_u32_e32 v6, -2, v4
	global_load_b32 v55, v[13:14], off
	v_add_co_u32 v13, vcc_lo, s8, v21
	v_add_co_ci_u32_e32 v14, vcc_lo, s9, v22, vcc_lo
	v_lshlrev_b64 v[21:22], 2, v[6:7]
	v_add_nc_u32_e32 v6, -16, v4
	v_add_co_u32 v19, vcc_lo, s10, v19
	v_add_co_ci_u32_e32 v20, vcc_lo, s11, v20, vcc_lo
	global_load_b32 v56, v[13:14], off
	v_lshlrev_b64 v[13:14], 2, v[6:7]
	v_add_nc_u32_e32 v6, 13, v8
	global_load_b32 v57, v[19:20], off
	v_add_co_u32 v19, vcc_lo, s8, v21
	v_add_co_ci_u32_e32 v20, vcc_lo, s9, v22, vcc_lo
	v_add_co_u32 v13, vcc_lo, s8, v13
	v_lshlrev_b64 v[21:22], 2, v[6:7]
	v_add_nc_u32_e32 v6, -1, v4
	v_add_co_ci_u32_e32 v14, vcc_lo, s9, v14, vcc_lo
	s_clause 0x1
	global_load_b32 v58, v[19:20], off
	global_load_b32 v59, v[13:14], off
	v_lshlrev_b64 v[19:20], 2, v[6:7]
	v_add_nc_u32_e32 v6, -15, v4
	v_add_co_u32 v13, vcc_lo, s10, v21
	v_add_co_ci_u32_e32 v14, vcc_lo, s11, v22, vcc_lo
	s_delay_alu instid0(VALU_DEP_3) | instskip(SKIP_3) | instid1(VALU_DEP_3)
	v_lshlrev_b64 v[21:22], 2, v[6:7]
	v_add_nc_u32_e32 v6, 14, v8
	v_add_co_u32 v8, vcc_lo, s8, v19
	v_add_co_ci_u32_e32 v9, vcc_lo, s9, v20, vcc_lo
	v_lshlrev_b64 v[5:6], 2, v[6:7]
	global_load_b32 v13, v[13:14], off
	v_add_nc_u32_e32 v4, 0x780, v4
	global_load_b32 v14, v[8:9], off
	v_add_co_u32 v8, vcc_lo, s8, v21
	v_add_co_ci_u32_e32 v9, vcc_lo, s9, v22, vcc_lo
	v_add_co_u32 v5, vcc_lo, s10, v5
	v_add_co_ci_u32_e32 v6, vcc_lo, s11, v6, vcc_lo
	s_clause 0x1
	global_load_b32 v17, v[17:18], off
	global_load_b32 v8, v[8:9], off
	;; [unrolled: 1-line block ×3, first 2 shown]
	v_cmp_ge_i32_e32 vcc_lo, v2, v12
	s_or_b32 s2, vcc_lo, s2
	s_waitcnt vmcnt(33)
	v_fmac_f32_e32 v11, v31, v30
	s_waitcnt vmcnt(30)
	s_delay_alu instid0(VALU_DEP_1) | instskip(SKIP_1) | instid1(VALU_DEP_1)
	v_fmac_f32_e32 v11, v34, v33
	s_waitcnt vmcnt(27)
	v_dual_fmac_f32 v10, v26, v27 :: v_dual_fmac_f32 v11, v37, v36
	s_waitcnt vmcnt(24)
	s_delay_alu instid0(VALU_DEP_1) | instskip(SKIP_1) | instid1(VALU_DEP_1)
	v_dual_fmac_f32 v10, v29, v30 :: v_dual_fmac_f32 v11, v40, v39
	s_waitcnt vmcnt(21)
	v_fmac_f32_e32 v11, v43, v42
	s_waitcnt vmcnt(18)
	s_delay_alu instid0(VALU_DEP_1) | instskip(SKIP_1) | instid1(VALU_DEP_1)
	v_fmac_f32_e32 v11, v46, v45
	s_waitcnt vmcnt(15)
	v_dual_fmac_f32 v10, v32, v33 :: v_dual_fmac_f32 v11, v49, v48
	s_delay_alu instid0(VALU_DEP_1) | instskip(NEXT) | instid1(VALU_DEP_1)
	v_fmac_f32_e32 v10, v35, v36
	v_fmac_f32_e32 v10, v38, v39
	s_delay_alu instid0(VALU_DEP_1) | instskip(NEXT) | instid1(VALU_DEP_1)
	v_fmac_f32_e32 v10, v41, v42
	v_fmac_f32_e32 v10, v44, v45
	s_waitcnt vmcnt(12)
	s_delay_alu instid0(VALU_DEP_1) | instskip(NEXT) | instid1(VALU_DEP_1)
	v_dual_fmac_f32 v10, v47, v48 :: v_dual_fmac_f32 v11, v52, v51
	v_fmac_f32_e32 v10, v50, v51
	s_waitcnt vmcnt(10)
	s_delay_alu instid0(VALU_DEP_1) | instskip(SKIP_1) | instid1(VALU_DEP_1)
	v_fmac_f32_e32 v10, v53, v54
	s_waitcnt vmcnt(7)
	v_dual_fmac_f32 v11, v55, v54 :: v_dual_fmac_f32 v10, v56, v57
	s_waitcnt vmcnt(6)
	s_delay_alu instid0(VALU_DEP_1) | instskip(SKIP_1) | instid1(VALU_DEP_2)
	v_fmac_f32_e32 v11, v58, v57
	s_waitcnt vmcnt(4)
	v_fmac_f32_e32 v10, v59, v13
	s_waitcnt vmcnt(3)
	s_delay_alu instid0(VALU_DEP_2) | instskip(SKIP_1) | instid1(VALU_DEP_2)
	v_fmac_f32_e32 v11, v14, v13
	s_waitcnt vmcnt(0)
	v_fmac_f32_e32 v10, v8, v5
	s_delay_alu instid0(VALU_DEP_2)
	v_fmac_f32_e32 v11, v17, v5
	s_and_not1_b32 exec_lo, exec_lo, s2
	s_cbranch_execnz .LBB69_15
; %bb.16:
	s_or_b32 exec_lo, exec_lo, s2
.LBB69_17:
	s_delay_alu instid0(SALU_CYCLE_1)
	s_or_b32 exec_lo, exec_lo, s3
.LBB69_18:
	v_mbcnt_lo_u32_b32 v2, -1, 0
	s_mov_b32 s2, -1
	s_delay_alu instid0(VALU_DEP_1) | instskip(SKIP_2) | instid1(VALU_DEP_3)
	v_or_b32_e32 v3, 32, v2
	v_xor_b32_e32 v5, 16, v2
	v_xor_b32_e32 v7, 8, v2
	v_cmp_gt_i32_e32 vcc_lo, 32, v3
	v_cndmask_b32_e32 v3, v2, v3, vcc_lo
	s_delay_alu instid0(VALU_DEP_4) | instskip(NEXT) | instid1(VALU_DEP_2)
	v_cmp_gt_i32_e32 vcc_lo, 32, v5
	v_lshlrev_b32_e32 v3, 2, v3
	v_cndmask_b32_e32 v5, v2, v5, vcc_lo
	v_cmp_gt_i32_e32 vcc_lo, 32, v7
	ds_bpermute_b32 v4, v3, v10
	v_lshlrev_b32_e32 v5, 2, v5
	v_cndmask_b32_e32 v7, v2, v7, vcc_lo
	s_waitcnt lgkmcnt(0)
	s_delay_alu instid0(VALU_DEP_1)
	v_dual_add_f32 v4, v10, v4 :: v_dual_lshlrev_b32 v7, 2, v7
	ds_bpermute_b32 v3, v3, v11
	ds_bpermute_b32 v6, v5, v4
	s_waitcnt lgkmcnt(0)
	v_dual_add_f32 v4, v4, v6 :: v_dual_add_f32 v3, v11, v3
	ds_bpermute_b32 v5, v5, v3
	s_waitcnt lgkmcnt(0)
	v_add_f32_e32 v3, v3, v5
	ds_bpermute_b32 v5, v7, v4
	ds_bpermute_b32 v6, v7, v3
	v_xor_b32_e32 v7, 4, v2
	s_delay_alu instid0(VALU_DEP_1) | instskip(SKIP_2) | instid1(VALU_DEP_1)
	v_cmp_gt_i32_e32 vcc_lo, 32, v7
	s_waitcnt lgkmcnt(1)
	v_dual_cndmask_b32 v7, v2, v7 :: v_dual_add_f32 v4, v4, v5
	v_lshlrev_b32_e32 v7, 2, v7
	s_waitcnt lgkmcnt(0)
	v_add_f32_e32 v3, v3, v6
	ds_bpermute_b32 v5, v7, v4
	ds_bpermute_b32 v6, v7, v3
	v_xor_b32_e32 v7, 2, v2
	s_delay_alu instid0(VALU_DEP_1) | instskip(SKIP_2) | instid1(VALU_DEP_1)
	v_cmp_gt_i32_e32 vcc_lo, 32, v7
	v_cndmask_b32_e32 v7, v2, v7, vcc_lo
	s_waitcnt lgkmcnt(1)
	v_dual_add_f32 v4, v4, v5 :: v_dual_lshlrev_b32 v7, 2, v7
	s_waitcnt lgkmcnt(0)
	v_add_f32_e32 v3, v3, v6
	ds_bpermute_b32 v5, v7, v4
	ds_bpermute_b32 v6, v7, v3
	v_xor_b32_e32 v7, 1, v2
	s_delay_alu instid0(VALU_DEP_1) | instskip(SKIP_3) | instid1(VALU_DEP_2)
	v_cmp_gt_i32_e32 vcc_lo, 32, v7
	v_cndmask_b32_e32 v2, v2, v7, vcc_lo
	v_cmp_eq_u32_e32 vcc_lo, 63, v0
	s_waitcnt lgkmcnt(1)
	v_dual_add_f32 v2, v4, v5 :: v_dual_lshlrev_b32 v7, 2, v2
	s_waitcnt lgkmcnt(0)
	v_add_f32_e32 v3, v3, v6
	ds_bpermute_b32 v4, v7, v2
	ds_bpermute_b32 v5, v7, v3
	s_and_b32 exec_lo, exec_lo, vcc_lo
	s_cbranch_execz .LBB69_23
; %bb.19:
	s_load_b64 s[0:1], s[0:1], 0x38
	s_waitcnt lgkmcnt(0)
	v_dual_add_f32 v0, v2, v4 :: v_dual_add_f32 v3, v3, v5
	v_cmp_eq_f32_e64 s3, s12, 0
	s_delay_alu instid0(VALU_DEP_2) | instskip(SKIP_1) | instid1(VALU_DEP_3)
	v_dual_mul_f32 v2, s16, v0 :: v_dual_mul_f32 v3, s16, v3
	v_lshlrev_b32_e32 v0, 1, v1
	s_and_b32 vcc_lo, exec_lo, s3
	s_cbranch_vccz .LBB69_21
; %bb.20:
	s_delay_alu instid0(VALU_DEP_1) | instskip(SKIP_1) | instid1(VALU_DEP_1)
	v_ashrrev_i32_e32 v1, 31, v0
	s_mov_b32 s2, 0
	v_lshlrev_b64 v[4:5], 2, v[0:1]
	s_delay_alu instid0(VALU_DEP_1) | instskip(NEXT) | instid1(VALU_DEP_2)
	v_add_co_u32 v4, vcc_lo, s0, v4
	v_add_co_ci_u32_e32 v5, vcc_lo, s1, v5, vcc_lo
	global_store_b64 v[4:5], v[2:3], off
.LBB69_21:
	s_and_not1_b32 vcc_lo, exec_lo, s2
	s_cbranch_vccnz .LBB69_23
; %bb.22:
	v_ashrrev_i32_e32 v1, 31, v0
	s_delay_alu instid0(VALU_DEP_1) | instskip(NEXT) | instid1(VALU_DEP_1)
	v_lshlrev_b64 v[0:1], 2, v[0:1]
	v_add_co_u32 v0, vcc_lo, s0, v0
	s_delay_alu instid0(VALU_DEP_2)
	v_add_co_ci_u32_e32 v1, vcc_lo, s1, v1, vcc_lo
	global_load_b64 v[4:5], v[0:1], off
	s_waitcnt vmcnt(0)
	v_dual_fmac_f32 v2, s12, v4 :: v_dual_fmac_f32 v3, s12, v5
	global_store_b64 v[0:1], v[2:3], off
.LBB69_23:
	s_nop 0
	s_sendmsg sendmsg(MSG_DEALLOC_VGPRS)
	s_endpgm
	.section	.rodata,"a",@progbits
	.p2align	6, 0x0
	.amdhsa_kernel _ZN9rocsparseL19gebsrmvn_2xn_kernelILj128ELj15ELj64EfEEvi20rocsparse_direction_NS_24const_host_device_scalarIT2_EEPKiS6_PKS3_S8_S4_PS3_21rocsparse_index_base_b
		.amdhsa_group_segment_fixed_size 0
		.amdhsa_private_segment_fixed_size 0
		.amdhsa_kernarg_size 72
		.amdhsa_user_sgpr_count 15
		.amdhsa_user_sgpr_dispatch_ptr 0
		.amdhsa_user_sgpr_queue_ptr 0
		.amdhsa_user_sgpr_kernarg_segment_ptr 1
		.amdhsa_user_sgpr_dispatch_id 0
		.amdhsa_user_sgpr_private_segment_size 0
		.amdhsa_wavefront_size32 1
		.amdhsa_uses_dynamic_stack 0
		.amdhsa_enable_private_segment 0
		.amdhsa_system_sgpr_workgroup_id_x 1
		.amdhsa_system_sgpr_workgroup_id_y 0
		.amdhsa_system_sgpr_workgroup_id_z 0
		.amdhsa_system_sgpr_workgroup_info 0
		.amdhsa_system_vgpr_workitem_id 0
		.amdhsa_next_free_vgpr 60
		.amdhsa_next_free_sgpr 20
		.amdhsa_reserve_vcc 1
		.amdhsa_float_round_mode_32 0
		.amdhsa_float_round_mode_16_64 0
		.amdhsa_float_denorm_mode_32 3
		.amdhsa_float_denorm_mode_16_64 3
		.amdhsa_dx10_clamp 1
		.amdhsa_ieee_mode 1
		.amdhsa_fp16_overflow 0
		.amdhsa_workgroup_processor_mode 1
		.amdhsa_memory_ordered 1
		.amdhsa_forward_progress 0
		.amdhsa_shared_vgpr_count 0
		.amdhsa_exception_fp_ieee_invalid_op 0
		.amdhsa_exception_fp_denorm_src 0
		.amdhsa_exception_fp_ieee_div_zero 0
		.amdhsa_exception_fp_ieee_overflow 0
		.amdhsa_exception_fp_ieee_underflow 0
		.amdhsa_exception_fp_ieee_inexact 0
		.amdhsa_exception_int_div_zero 0
	.end_amdhsa_kernel
	.section	.text._ZN9rocsparseL19gebsrmvn_2xn_kernelILj128ELj15ELj64EfEEvi20rocsparse_direction_NS_24const_host_device_scalarIT2_EEPKiS6_PKS3_S8_S4_PS3_21rocsparse_index_base_b,"axG",@progbits,_ZN9rocsparseL19gebsrmvn_2xn_kernelILj128ELj15ELj64EfEEvi20rocsparse_direction_NS_24const_host_device_scalarIT2_EEPKiS6_PKS3_S8_S4_PS3_21rocsparse_index_base_b,comdat
.Lfunc_end69:
	.size	_ZN9rocsparseL19gebsrmvn_2xn_kernelILj128ELj15ELj64EfEEvi20rocsparse_direction_NS_24const_host_device_scalarIT2_EEPKiS6_PKS3_S8_S4_PS3_21rocsparse_index_base_b, .Lfunc_end69-_ZN9rocsparseL19gebsrmvn_2xn_kernelILj128ELj15ELj64EfEEvi20rocsparse_direction_NS_24const_host_device_scalarIT2_EEPKiS6_PKS3_S8_S4_PS3_21rocsparse_index_base_b
                                        ; -- End function
	.section	.AMDGPU.csdata,"",@progbits
; Kernel info:
; codeLenInByte = 4064
; NumSgprs: 22
; NumVgprs: 60
; ScratchSize: 0
; MemoryBound: 0
; FloatMode: 240
; IeeeMode: 1
; LDSByteSize: 0 bytes/workgroup (compile time only)
; SGPRBlocks: 2
; VGPRBlocks: 7
; NumSGPRsForWavesPerEU: 22
; NumVGPRsForWavesPerEU: 60
; Occupancy: 16
; WaveLimiterHint : 1
; COMPUTE_PGM_RSRC2:SCRATCH_EN: 0
; COMPUTE_PGM_RSRC2:USER_SGPR: 15
; COMPUTE_PGM_RSRC2:TRAP_HANDLER: 0
; COMPUTE_PGM_RSRC2:TGID_X_EN: 1
; COMPUTE_PGM_RSRC2:TGID_Y_EN: 0
; COMPUTE_PGM_RSRC2:TGID_Z_EN: 0
; COMPUTE_PGM_RSRC2:TIDIG_COMP_CNT: 0
	.section	.text._ZN9rocsparseL19gebsrmvn_2xn_kernelILj128ELj16ELj4EfEEvi20rocsparse_direction_NS_24const_host_device_scalarIT2_EEPKiS6_PKS3_S8_S4_PS3_21rocsparse_index_base_b,"axG",@progbits,_ZN9rocsparseL19gebsrmvn_2xn_kernelILj128ELj16ELj4EfEEvi20rocsparse_direction_NS_24const_host_device_scalarIT2_EEPKiS6_PKS3_S8_S4_PS3_21rocsparse_index_base_b,comdat
	.globl	_ZN9rocsparseL19gebsrmvn_2xn_kernelILj128ELj16ELj4EfEEvi20rocsparse_direction_NS_24const_host_device_scalarIT2_EEPKiS6_PKS3_S8_S4_PS3_21rocsparse_index_base_b ; -- Begin function _ZN9rocsparseL19gebsrmvn_2xn_kernelILj128ELj16ELj4EfEEvi20rocsparse_direction_NS_24const_host_device_scalarIT2_EEPKiS6_PKS3_S8_S4_PS3_21rocsparse_index_base_b
	.p2align	8
	.type	_ZN9rocsparseL19gebsrmvn_2xn_kernelILj128ELj16ELj4EfEEvi20rocsparse_direction_NS_24const_host_device_scalarIT2_EEPKiS6_PKS3_S8_S4_PS3_21rocsparse_index_base_b,@function
_ZN9rocsparseL19gebsrmvn_2xn_kernelILj128ELj16ELj4EfEEvi20rocsparse_direction_NS_24const_host_device_scalarIT2_EEPKiS6_PKS3_S8_S4_PS3_21rocsparse_index_base_b: ; @_ZN9rocsparseL19gebsrmvn_2xn_kernelILj128ELj16ELj4EfEEvi20rocsparse_direction_NS_24const_host_device_scalarIT2_EEPKiS6_PKS3_S8_S4_PS3_21rocsparse_index_base_b
; %bb.0:
	s_clause 0x2
	s_load_b64 s[18:19], s[0:1], 0x40
	s_load_b64 s[16:17], s[0:1], 0x8
	s_load_b64 s[12:13], s[0:1], 0x30
	s_waitcnt lgkmcnt(0)
	s_bitcmp1_b32 s19, 0
	s_cselect_b32 s2, -1, 0
	s_delay_alu instid0(SALU_CYCLE_1)
	s_and_b32 vcc_lo, exec_lo, s2
	s_xor_b32 s2, s2, -1
	s_cbranch_vccnz .LBB70_2
; %bb.1:
	s_load_b32 s16, s[16:17], 0x0
.LBB70_2:
	s_and_not1_b32 vcc_lo, exec_lo, s2
	s_cbranch_vccnz .LBB70_4
; %bb.3:
	s_load_b32 s12, s[12:13], 0x0
.LBB70_4:
	s_waitcnt lgkmcnt(0)
	v_cmp_eq_f32_e64 s2, s16, 0
	v_cmp_eq_f32_e64 s3, s12, 1.0
	s_delay_alu instid0(VALU_DEP_1) | instskip(NEXT) | instid1(SALU_CYCLE_1)
	s_and_b32 s2, s2, s3
	s_and_b32 vcc_lo, exec_lo, s2
	s_cbranch_vccnz .LBB70_23
; %bb.5:
	s_load_b64 s[2:3], s[0:1], 0x0
	v_lshrrev_b32_e32 v1, 2, v0
	s_delay_alu instid0(VALU_DEP_1) | instskip(SKIP_1) | instid1(VALU_DEP_1)
	v_lshl_or_b32 v1, s15, 5, v1
	s_waitcnt lgkmcnt(0)
	v_cmp_gt_i32_e32 vcc_lo, s2, v1
	s_and_saveexec_b32 s2, vcc_lo
	s_cbranch_execz .LBB70_23
; %bb.6:
	s_load_b256 s[4:11], s[0:1], 0x10
	v_ashrrev_i32_e32 v2, 31, v1
	v_and_b32_e32 v0, 3, v0
	s_cmp_lg_u32 s3, 0
	s_delay_alu instid0(VALU_DEP_2) | instskip(SKIP_1) | instid1(VALU_DEP_1)
	v_lshlrev_b64 v[2:3], 2, v[1:2]
	s_waitcnt lgkmcnt(0)
	v_add_co_u32 v2, vcc_lo, s4, v2
	s_delay_alu instid0(VALU_DEP_2) | instskip(SKIP_4) | instid1(VALU_DEP_2)
	v_add_co_ci_u32_e32 v3, vcc_lo, s5, v3, vcc_lo
	global_load_b64 v[2:3], v[2:3], off
	s_waitcnt vmcnt(0)
	v_subrev_nc_u32_e32 v2, s18, v2
	v_subrev_nc_u32_e32 v8, s18, v3
	v_add_nc_u32_e32 v2, v2, v0
	s_delay_alu instid0(VALU_DEP_1)
	v_cmp_lt_i32_e64 s2, v2, v8
	s_cbranch_scc0 .LBB70_12
; %bb.7:
	v_mov_b32_e32 v7, 0
	v_mov_b32_e32 v9, 0
	s_mov_b32 s3, 0
	s_and_saveexec_b32 s4, s2
	s_cbranch_execz .LBB70_11
; %bb.8:
	v_dual_mov_b32 v4, 0 :: v_dual_lshlrev_b32 v3, 5, v2
	v_mov_b32_e32 v5, v2
	s_mov_b32 s5, 0
	s_delay_alu instid0(VALU_DEP_2)
	v_mov_b32_e32 v7, v4
	v_mov_b32_e32 v9, v4
.LBB70_9:                               ; =>This Inner Loop Header: Depth=1
	s_delay_alu instid0(VALU_DEP_3) | instskip(NEXT) | instid1(VALU_DEP_1)
	v_ashrrev_i32_e32 v6, 31, v5
	v_lshlrev_b64 v[10:11], 2, v[5:6]
	v_add_nc_u32_e32 v5, 4, v5
	s_delay_alu instid0(VALU_DEP_2) | instskip(NEXT) | instid1(VALU_DEP_3)
	v_add_co_u32 v10, vcc_lo, s6, v10
	v_add_co_ci_u32_e32 v11, vcc_lo, s7, v11, vcc_lo
	global_load_b32 v6, v[10:11], off
	v_lshlrev_b64 v[10:11], 2, v[3:4]
	v_add_nc_u32_e32 v3, 0x80, v3
	s_delay_alu instid0(VALU_DEP_2) | instskip(NEXT) | instid1(VALU_DEP_3)
	v_add_co_u32 v54, vcc_lo, s8, v10
	v_add_co_ci_u32_e32 v55, vcc_lo, s9, v11, vcc_lo
	s_waitcnt vmcnt(0)
	v_subrev_nc_u32_e32 v6, s18, v6
	s_delay_alu instid0(VALU_DEP_1) | instskip(NEXT) | instid1(VALU_DEP_1)
	v_dual_mov_b32 v13, v4 :: v_dual_lshlrev_b32 v12, 4, v6
	v_lshlrev_b64 v[12:13], 2, v[12:13]
	s_delay_alu instid0(VALU_DEP_1) | instskip(NEXT) | instid1(VALU_DEP_2)
	v_add_co_u32 v46, vcc_lo, s10, v12
	v_add_co_ci_u32_e32 v47, vcc_lo, s11, v13, vcc_lo
	v_cmp_ge_i32_e32 vcc_lo, v5, v8
	s_clause 0x1
	global_load_b128 v[10:13], v[54:55], off offset:16
	global_load_b128 v[14:17], v[54:55], off
	s_clause 0x1
	global_load_b128 v[18:21], v[46:47], off
	global_load_b128 v[22:25], v[46:47], off offset:16
	s_clause 0x3
	global_load_b128 v[26:29], v[54:55], off offset:32
	global_load_b128 v[30:33], v[54:55], off offset:48
	;; [unrolled: 1-line block ×4, first 2 shown]
	s_clause 0x1
	global_load_b128 v[42:45], v[46:47], off offset:32
	global_load_b128 v[46:49], v[46:47], off offset:48
	s_clause 0x1
	global_load_b128 v[50:53], v[54:55], off offset:96
	global_load_b128 v[54:57], v[54:55], off offset:112
	s_or_b32 s5, vcc_lo, s5
	s_waitcnt vmcnt(9)
	v_fmac_f32_e32 v7, v14, v18
	v_fmac_f32_e32 v9, v15, v18
	s_delay_alu instid0(VALU_DEP_2) | instskip(NEXT) | instid1(VALU_DEP_2)
	v_fmac_f32_e32 v7, v16, v19
	v_fmac_f32_e32 v9, v17, v19
	s_delay_alu instid0(VALU_DEP_2) | instskip(NEXT) | instid1(VALU_DEP_2)
	;; [unrolled: 3-line block ×3, first 2 shown]
	v_fmac_f32_e32 v7, v12, v21
	v_fmac_f32_e32 v9, v13, v21
	s_waitcnt vmcnt(7)
	s_delay_alu instid0(VALU_DEP_2) | instskip(NEXT) | instid1(VALU_DEP_2)
	v_fmac_f32_e32 v7, v26, v22
	v_fmac_f32_e32 v9, v27, v22
	s_delay_alu instid0(VALU_DEP_2) | instskip(NEXT) | instid1(VALU_DEP_2)
	v_fmac_f32_e32 v7, v28, v23
	v_fmac_f32_e32 v9, v29, v23
	s_waitcnt vmcnt(6)
	s_delay_alu instid0(VALU_DEP_2) | instskip(NEXT) | instid1(VALU_DEP_2)
	v_fmac_f32_e32 v7, v30, v24
	v_fmac_f32_e32 v9, v31, v24
	s_delay_alu instid0(VALU_DEP_2) | instskip(NEXT) | instid1(VALU_DEP_2)
	;; [unrolled: 7-line block ×3, first 2 shown]
	v_fmac_f32_e32 v7, v40, v43
	v_fmac_f32_e32 v9, v41, v43
	s_delay_alu instid0(VALU_DEP_2) | instskip(NEXT) | instid1(VALU_DEP_2)
	v_fmac_f32_e32 v7, v34, v44
	v_fmac_f32_e32 v9, v35, v44
	s_delay_alu instid0(VALU_DEP_2) | instskip(NEXT) | instid1(VALU_DEP_2)
	v_fmac_f32_e32 v7, v36, v45
	v_fmac_f32_e32 v9, v37, v45
	s_waitcnt vmcnt(1)
	s_delay_alu instid0(VALU_DEP_2) | instskip(NEXT) | instid1(VALU_DEP_2)
	v_fmac_f32_e32 v7, v50, v46
	v_fmac_f32_e32 v9, v51, v46
	s_delay_alu instid0(VALU_DEP_2) | instskip(NEXT) | instid1(VALU_DEP_2)
	v_fmac_f32_e32 v7, v52, v47
	v_fmac_f32_e32 v9, v53, v47
	s_waitcnt vmcnt(0)
	s_delay_alu instid0(VALU_DEP_2) | instskip(NEXT) | instid1(VALU_DEP_2)
	v_fmac_f32_e32 v7, v54, v48
	v_fmac_f32_e32 v9, v55, v48
	s_delay_alu instid0(VALU_DEP_2) | instskip(NEXT) | instid1(VALU_DEP_2)
	v_fmac_f32_e32 v7, v56, v49
	v_fmac_f32_e32 v9, v57, v49
	s_and_not1_b32 exec_lo, exec_lo, s5
	s_cbranch_execnz .LBB70_9
; %bb.10:
	s_or_b32 exec_lo, exec_lo, s5
.LBB70_11:
	s_delay_alu instid0(SALU_CYCLE_1) | instskip(NEXT) | instid1(SALU_CYCLE_1)
	s_or_b32 exec_lo, exec_lo, s4
	s_and_not1_b32 vcc_lo, exec_lo, s3
	s_cbranch_vccz .LBB70_13
	s_branch .LBB70_18
.LBB70_12:
                                        ; implicit-def: $vgpr7
                                        ; implicit-def: $vgpr9
.LBB70_13:
	v_mov_b32_e32 v7, 0
	v_mov_b32_e32 v9, 0
	s_delay_alu instid0(VALU_DEP_3)
	s_and_saveexec_b32 s3, s2
	s_cbranch_execz .LBB70_17
; %bb.14:
	v_dual_mov_b32 v5, 0 :: v_dual_lshlrev_b32 v4, 5, v2
	s_mov_b32 s2, 0
	s_delay_alu instid0(VALU_DEP_1)
	v_mov_b32_e32 v7, v5
	v_mov_b32_e32 v9, v5
.LBB70_15:                              ; =>This Inner Loop Header: Depth=1
	v_ashrrev_i32_e32 v3, 31, v2
	s_delay_alu instid0(VALU_DEP_1) | instskip(SKIP_1) | instid1(VALU_DEP_2)
	v_lshlrev_b64 v[10:11], 2, v[2:3]
	v_add_nc_u32_e32 v2, 4, v2
	v_add_co_u32 v10, vcc_lo, s6, v10
	s_delay_alu instid0(VALU_DEP_3) | instskip(SKIP_3) | instid1(VALU_DEP_2)
	v_add_co_ci_u32_e32 v11, vcc_lo, s7, v11, vcc_lo
	global_load_b32 v3, v[10:11], off
	v_lshlrev_b64 v[10:11], 2, v[4:5]
	v_add_nc_u32_e32 v4, 0x80, v4
	v_add_co_u32 v46, vcc_lo, s8, v10
	s_delay_alu instid0(VALU_DEP_3) | instskip(SKIP_2) | instid1(VALU_DEP_1)
	v_add_co_ci_u32_e32 v47, vcc_lo, s9, v11, vcc_lo
	s_waitcnt vmcnt(0)
	v_subrev_nc_u32_e32 v3, s18, v3
	v_dual_mov_b32 v13, v5 :: v_dual_lshlrev_b32 v12, 4, v3
	s_delay_alu instid0(VALU_DEP_1)
	v_lshlrev_b64 v[14:15], 2, v[12:13]
	global_load_b128 v[10:13], v[46:47], off offset:16
	v_add_co_u32 v54, vcc_lo, s10, v14
	v_add_co_ci_u32_e32 v55, vcc_lo, s11, v15, vcc_lo
	s_clause 0x2
	global_load_b128 v[14:17], v[46:47], off
	global_load_b128 v[18:21], v[46:47], off offset:80
	global_load_b128 v[22:25], v[46:47], off offset:64
	s_clause 0x1
	global_load_b128 v[26:29], v[54:55], off
	global_load_b128 v[30:33], v[54:55], off offset:16
	s_clause 0x3
	global_load_b128 v[34:37], v[46:47], off offset:48
	global_load_b128 v[38:41], v[46:47], off offset:32
	;; [unrolled: 1-line block ×4, first 2 shown]
	s_clause 0x1
	global_load_b128 v[50:53], v[54:55], off offset:32
	global_load_b128 v[54:57], v[54:55], off offset:48
	v_cmp_ge_i32_e32 vcc_lo, v2, v8
	s_or_b32 s2, vcc_lo, s2
	s_waitcnt vmcnt(7)
	v_fmac_f32_e32 v7, v14, v26
	v_fmac_f32_e32 v9, v22, v26
	s_delay_alu instid0(VALU_DEP_2) | instskip(NEXT) | instid1(VALU_DEP_2)
	v_fmac_f32_e32 v7, v15, v27
	v_fmac_f32_e32 v9, v23, v27
	s_delay_alu instid0(VALU_DEP_2) | instskip(NEXT) | instid1(VALU_DEP_2)
	v_fmac_f32_e32 v7, v16, v28
	v_fmac_f32_e32 v9, v24, v28
	s_delay_alu instid0(VALU_DEP_2) | instskip(NEXT) | instid1(VALU_DEP_2)
	v_fmac_f32_e32 v7, v17, v29
	v_fmac_f32_e32 v9, v25, v29
	s_waitcnt vmcnt(6)
	s_delay_alu instid0(VALU_DEP_2) | instskip(NEXT) | instid1(VALU_DEP_2)
	v_fmac_f32_e32 v7, v10, v30
	v_fmac_f32_e32 v9, v18, v30
	s_delay_alu instid0(VALU_DEP_2) | instskip(NEXT) | instid1(VALU_DEP_2)
	v_fmac_f32_e32 v7, v11, v31
	v_fmac_f32_e32 v9, v19, v31
	s_delay_alu instid0(VALU_DEP_2) | instskip(NEXT) | instid1(VALU_DEP_2)
	v_fmac_f32_e32 v7, v12, v32
	v_fmac_f32_e32 v9, v20, v32
	s_delay_alu instid0(VALU_DEP_2) | instskip(NEXT) | instid1(VALU_DEP_2)
	v_fmac_f32_e32 v7, v13, v33
	v_fmac_f32_e32 v9, v21, v33
	s_waitcnt vmcnt(1)
	s_delay_alu instid0(VALU_DEP_2) | instskip(NEXT) | instid1(VALU_DEP_2)
	;; [unrolled: 13-line block ×3, first 2 shown]
	v_fmac_f32_e32 v7, v34, v54
	v_fmac_f32_e32 v9, v42, v54
	s_delay_alu instid0(VALU_DEP_2) | instskip(NEXT) | instid1(VALU_DEP_2)
	v_fmac_f32_e32 v7, v35, v55
	v_fmac_f32_e32 v9, v43, v55
	s_delay_alu instid0(VALU_DEP_2) | instskip(NEXT) | instid1(VALU_DEP_2)
	;; [unrolled: 3-line block ×3, first 2 shown]
	v_fmac_f32_e32 v7, v37, v57
	v_fmac_f32_e32 v9, v45, v57
	s_and_not1_b32 exec_lo, exec_lo, s2
	s_cbranch_execnz .LBB70_15
; %bb.16:
	s_or_b32 exec_lo, exec_lo, s2
.LBB70_17:
	s_delay_alu instid0(SALU_CYCLE_1)
	s_or_b32 exec_lo, exec_lo, s3
.LBB70_18:
	v_mbcnt_lo_u32_b32 v2, -1, 0
	s_mov_b32 s2, -1
	s_delay_alu instid0(VALU_DEP_1) | instskip(SKIP_1) | instid1(VALU_DEP_2)
	v_xor_b32_e32 v3, 2, v2
	v_xor_b32_e32 v5, 1, v2
	v_cmp_gt_i32_e32 vcc_lo, 32, v3
	v_cndmask_b32_e32 v3, v2, v3, vcc_lo
	s_delay_alu instid0(VALU_DEP_3) | instskip(NEXT) | instid1(VALU_DEP_2)
	v_cmp_gt_i32_e32 vcc_lo, 32, v5
	v_dual_cndmask_b32 v2, v2, v5 :: v_dual_lshlrev_b32 v3, 2, v3
	v_cmp_eq_u32_e32 vcc_lo, 3, v0
	ds_bpermute_b32 v4, v3, v7
	ds_bpermute_b32 v3, v3, v9
	s_waitcnt lgkmcnt(1)
	v_dual_add_f32 v2, v7, v4 :: v_dual_lshlrev_b32 v5, 2, v2
	s_waitcnt lgkmcnt(0)
	v_add_f32_e32 v3, v9, v3
	ds_bpermute_b32 v4, v5, v2
	ds_bpermute_b32 v5, v5, v3
	s_and_b32 exec_lo, exec_lo, vcc_lo
	s_cbranch_execz .LBB70_23
; %bb.19:
	s_load_b64 s[0:1], s[0:1], 0x38
	s_waitcnt lgkmcnt(0)
	v_dual_add_f32 v0, v2, v4 :: v_dual_add_f32 v3, v3, v5
	v_cmp_eq_f32_e64 s3, s12, 0
	s_delay_alu instid0(VALU_DEP_2) | instskip(SKIP_1) | instid1(VALU_DEP_3)
	v_dual_mul_f32 v2, s16, v0 :: v_dual_mul_f32 v3, s16, v3
	v_lshlrev_b32_e32 v0, 1, v1
	s_and_b32 vcc_lo, exec_lo, s3
	s_cbranch_vccz .LBB70_21
; %bb.20:
	s_delay_alu instid0(VALU_DEP_1) | instskip(SKIP_1) | instid1(VALU_DEP_1)
	v_ashrrev_i32_e32 v1, 31, v0
	s_mov_b32 s2, 0
	v_lshlrev_b64 v[4:5], 2, v[0:1]
	s_delay_alu instid0(VALU_DEP_1) | instskip(NEXT) | instid1(VALU_DEP_2)
	v_add_co_u32 v4, vcc_lo, s0, v4
	v_add_co_ci_u32_e32 v5, vcc_lo, s1, v5, vcc_lo
	global_store_b64 v[4:5], v[2:3], off
.LBB70_21:
	s_and_not1_b32 vcc_lo, exec_lo, s2
	s_cbranch_vccnz .LBB70_23
; %bb.22:
	v_ashrrev_i32_e32 v1, 31, v0
	s_delay_alu instid0(VALU_DEP_1) | instskip(NEXT) | instid1(VALU_DEP_1)
	v_lshlrev_b64 v[0:1], 2, v[0:1]
	v_add_co_u32 v0, vcc_lo, s0, v0
	s_delay_alu instid0(VALU_DEP_2)
	v_add_co_ci_u32_e32 v1, vcc_lo, s1, v1, vcc_lo
	global_load_b64 v[4:5], v[0:1], off
	s_waitcnt vmcnt(0)
	v_dual_fmac_f32 v2, s12, v4 :: v_dual_fmac_f32 v3, s12, v5
	global_store_b64 v[0:1], v[2:3], off
.LBB70_23:
	s_nop 0
	s_sendmsg sendmsg(MSG_DEALLOC_VGPRS)
	s_endpgm
	.section	.rodata,"a",@progbits
	.p2align	6, 0x0
	.amdhsa_kernel _ZN9rocsparseL19gebsrmvn_2xn_kernelILj128ELj16ELj4EfEEvi20rocsparse_direction_NS_24const_host_device_scalarIT2_EEPKiS6_PKS3_S8_S4_PS3_21rocsparse_index_base_b
		.amdhsa_group_segment_fixed_size 0
		.amdhsa_private_segment_fixed_size 0
		.amdhsa_kernarg_size 72
		.amdhsa_user_sgpr_count 15
		.amdhsa_user_sgpr_dispatch_ptr 0
		.amdhsa_user_sgpr_queue_ptr 0
		.amdhsa_user_sgpr_kernarg_segment_ptr 1
		.amdhsa_user_sgpr_dispatch_id 0
		.amdhsa_user_sgpr_private_segment_size 0
		.amdhsa_wavefront_size32 1
		.amdhsa_uses_dynamic_stack 0
		.amdhsa_enable_private_segment 0
		.amdhsa_system_sgpr_workgroup_id_x 1
		.amdhsa_system_sgpr_workgroup_id_y 0
		.amdhsa_system_sgpr_workgroup_id_z 0
		.amdhsa_system_sgpr_workgroup_info 0
		.amdhsa_system_vgpr_workitem_id 0
		.amdhsa_next_free_vgpr 58
		.amdhsa_next_free_sgpr 20
		.amdhsa_reserve_vcc 1
		.amdhsa_float_round_mode_32 0
		.amdhsa_float_round_mode_16_64 0
		.amdhsa_float_denorm_mode_32 3
		.amdhsa_float_denorm_mode_16_64 3
		.amdhsa_dx10_clamp 1
		.amdhsa_ieee_mode 1
		.amdhsa_fp16_overflow 0
		.amdhsa_workgroup_processor_mode 1
		.amdhsa_memory_ordered 1
		.amdhsa_forward_progress 0
		.amdhsa_shared_vgpr_count 0
		.amdhsa_exception_fp_ieee_invalid_op 0
		.amdhsa_exception_fp_denorm_src 0
		.amdhsa_exception_fp_ieee_div_zero 0
		.amdhsa_exception_fp_ieee_overflow 0
		.amdhsa_exception_fp_ieee_underflow 0
		.amdhsa_exception_fp_ieee_inexact 0
		.amdhsa_exception_int_div_zero 0
	.end_amdhsa_kernel
	.section	.text._ZN9rocsparseL19gebsrmvn_2xn_kernelILj128ELj16ELj4EfEEvi20rocsparse_direction_NS_24const_host_device_scalarIT2_EEPKiS6_PKS3_S8_S4_PS3_21rocsparse_index_base_b,"axG",@progbits,_ZN9rocsparseL19gebsrmvn_2xn_kernelILj128ELj16ELj4EfEEvi20rocsparse_direction_NS_24const_host_device_scalarIT2_EEPKiS6_PKS3_S8_S4_PS3_21rocsparse_index_base_b,comdat
.Lfunc_end70:
	.size	_ZN9rocsparseL19gebsrmvn_2xn_kernelILj128ELj16ELj4EfEEvi20rocsparse_direction_NS_24const_host_device_scalarIT2_EEPKiS6_PKS3_S8_S4_PS3_21rocsparse_index_base_b, .Lfunc_end70-_ZN9rocsparseL19gebsrmvn_2xn_kernelILj128ELj16ELj4EfEEvi20rocsparse_direction_NS_24const_host_device_scalarIT2_EEPKiS6_PKS3_S8_S4_PS3_21rocsparse_index_base_b
                                        ; -- End function
	.section	.AMDGPU.csdata,"",@progbits
; Kernel info:
; codeLenInByte = 1576
; NumSgprs: 22
; NumVgprs: 58
; ScratchSize: 0
; MemoryBound: 0
; FloatMode: 240
; IeeeMode: 1
; LDSByteSize: 0 bytes/workgroup (compile time only)
; SGPRBlocks: 2
; VGPRBlocks: 7
; NumSGPRsForWavesPerEU: 22
; NumVGPRsForWavesPerEU: 58
; Occupancy: 16
; WaveLimiterHint : 1
; COMPUTE_PGM_RSRC2:SCRATCH_EN: 0
; COMPUTE_PGM_RSRC2:USER_SGPR: 15
; COMPUTE_PGM_RSRC2:TRAP_HANDLER: 0
; COMPUTE_PGM_RSRC2:TGID_X_EN: 1
; COMPUTE_PGM_RSRC2:TGID_Y_EN: 0
; COMPUTE_PGM_RSRC2:TGID_Z_EN: 0
; COMPUTE_PGM_RSRC2:TIDIG_COMP_CNT: 0
	.section	.text._ZN9rocsparseL19gebsrmvn_2xn_kernelILj128ELj16ELj8EfEEvi20rocsparse_direction_NS_24const_host_device_scalarIT2_EEPKiS6_PKS3_S8_S4_PS3_21rocsparse_index_base_b,"axG",@progbits,_ZN9rocsparseL19gebsrmvn_2xn_kernelILj128ELj16ELj8EfEEvi20rocsparse_direction_NS_24const_host_device_scalarIT2_EEPKiS6_PKS3_S8_S4_PS3_21rocsparse_index_base_b,comdat
	.globl	_ZN9rocsparseL19gebsrmvn_2xn_kernelILj128ELj16ELj8EfEEvi20rocsparse_direction_NS_24const_host_device_scalarIT2_EEPKiS6_PKS3_S8_S4_PS3_21rocsparse_index_base_b ; -- Begin function _ZN9rocsparseL19gebsrmvn_2xn_kernelILj128ELj16ELj8EfEEvi20rocsparse_direction_NS_24const_host_device_scalarIT2_EEPKiS6_PKS3_S8_S4_PS3_21rocsparse_index_base_b
	.p2align	8
	.type	_ZN9rocsparseL19gebsrmvn_2xn_kernelILj128ELj16ELj8EfEEvi20rocsparse_direction_NS_24const_host_device_scalarIT2_EEPKiS6_PKS3_S8_S4_PS3_21rocsparse_index_base_b,@function
_ZN9rocsparseL19gebsrmvn_2xn_kernelILj128ELj16ELj8EfEEvi20rocsparse_direction_NS_24const_host_device_scalarIT2_EEPKiS6_PKS3_S8_S4_PS3_21rocsparse_index_base_b: ; @_ZN9rocsparseL19gebsrmvn_2xn_kernelILj128ELj16ELj8EfEEvi20rocsparse_direction_NS_24const_host_device_scalarIT2_EEPKiS6_PKS3_S8_S4_PS3_21rocsparse_index_base_b
; %bb.0:
	s_clause 0x2
	s_load_b64 s[18:19], s[0:1], 0x40
	s_load_b64 s[16:17], s[0:1], 0x8
	;; [unrolled: 1-line block ×3, first 2 shown]
	s_waitcnt lgkmcnt(0)
	s_bitcmp1_b32 s19, 0
	s_cselect_b32 s2, -1, 0
	s_delay_alu instid0(SALU_CYCLE_1)
	s_and_b32 vcc_lo, exec_lo, s2
	s_xor_b32 s2, s2, -1
	s_cbranch_vccnz .LBB71_2
; %bb.1:
	s_load_b32 s16, s[16:17], 0x0
.LBB71_2:
	s_and_not1_b32 vcc_lo, exec_lo, s2
	s_cbranch_vccnz .LBB71_4
; %bb.3:
	s_load_b32 s12, s[12:13], 0x0
.LBB71_4:
	s_waitcnt lgkmcnt(0)
	v_cmp_eq_f32_e64 s2, s16, 0
	v_cmp_eq_f32_e64 s3, s12, 1.0
	s_delay_alu instid0(VALU_DEP_1) | instskip(NEXT) | instid1(SALU_CYCLE_1)
	s_and_b32 s2, s2, s3
	s_and_b32 vcc_lo, exec_lo, s2
	s_cbranch_vccnz .LBB71_23
; %bb.5:
	s_load_b64 s[2:3], s[0:1], 0x0
	v_lshrrev_b32_e32 v1, 3, v0
	s_delay_alu instid0(VALU_DEP_1) | instskip(SKIP_1) | instid1(VALU_DEP_1)
	v_lshl_or_b32 v1, s15, 4, v1
	s_waitcnt lgkmcnt(0)
	v_cmp_gt_i32_e32 vcc_lo, s2, v1
	s_and_saveexec_b32 s2, vcc_lo
	s_cbranch_execz .LBB71_23
; %bb.6:
	s_load_b256 s[4:11], s[0:1], 0x10
	v_ashrrev_i32_e32 v2, 31, v1
	v_and_b32_e32 v0, 7, v0
	s_cmp_lg_u32 s3, 0
	s_delay_alu instid0(VALU_DEP_2) | instskip(SKIP_1) | instid1(VALU_DEP_1)
	v_lshlrev_b64 v[2:3], 2, v[1:2]
	s_waitcnt lgkmcnt(0)
	v_add_co_u32 v2, vcc_lo, s4, v2
	s_delay_alu instid0(VALU_DEP_2) | instskip(SKIP_4) | instid1(VALU_DEP_2)
	v_add_co_ci_u32_e32 v3, vcc_lo, s5, v3, vcc_lo
	global_load_b64 v[2:3], v[2:3], off
	s_waitcnt vmcnt(0)
	v_subrev_nc_u32_e32 v2, s18, v2
	v_subrev_nc_u32_e32 v9, s18, v3
	v_add_nc_u32_e32 v2, v2, v0
	s_delay_alu instid0(VALU_DEP_1)
	v_cmp_lt_i32_e64 s2, v2, v9
	s_cbranch_scc0 .LBB71_12
; %bb.7:
	v_dual_mov_b32 v7, 0 :: v_dual_mov_b32 v8, 0
	s_mov_b32 s3, 0
	s_delay_alu instid0(VALU_DEP_2)
	s_and_saveexec_b32 s4, s2
	s_cbranch_execz .LBB71_11
; %bb.8:
	v_dual_mov_b32 v4, 0 :: v_dual_lshlrev_b32 v3, 5, v2
	v_mov_b32_e32 v5, v2
	s_mov_b32 s5, 0
	s_delay_alu instid0(VALU_DEP_2)
	v_mov_b32_e32 v8, v4
	v_mov_b32_e32 v7, v4
.LBB71_9:                               ; =>This Inner Loop Header: Depth=1
	s_delay_alu instid0(VALU_DEP_3) | instskip(NEXT) | instid1(VALU_DEP_1)
	v_ashrrev_i32_e32 v6, 31, v5
	v_lshlrev_b64 v[10:11], 2, v[5:6]
	s_delay_alu instid0(VALU_DEP_1) | instskip(NEXT) | instid1(VALU_DEP_2)
	v_add_co_u32 v10, vcc_lo, s6, v10
	v_add_co_ci_u32_e32 v11, vcc_lo, s7, v11, vcc_lo
	global_load_b32 v6, v[10:11], off
	v_lshlrev_b64 v[10:11], 2, v[3:4]
	v_add_nc_u32_e32 v3, 0x100, v3
	s_delay_alu instid0(VALU_DEP_2) | instskip(NEXT) | instid1(VALU_DEP_3)
	v_add_co_u32 v54, vcc_lo, s8, v10
	v_add_co_ci_u32_e32 v55, vcc_lo, s9, v11, vcc_lo
	s_waitcnt vmcnt(0)
	v_subrev_nc_u32_e32 v6, s18, v6
	s_delay_alu instid0(VALU_DEP_1) | instskip(NEXT) | instid1(VALU_DEP_1)
	v_dual_mov_b32 v13, v4 :: v_dual_lshlrev_b32 v12, 4, v6
	v_lshlrev_b64 v[12:13], 2, v[12:13]
	s_delay_alu instid0(VALU_DEP_1) | instskip(NEXT) | instid1(VALU_DEP_2)
	v_add_co_u32 v46, vcc_lo, s10, v12
	v_add_co_ci_u32_e32 v47, vcc_lo, s11, v13, vcc_lo
	s_clause 0x1
	global_load_b128 v[10:13], v[54:55], off offset:16
	global_load_b128 v[14:17], v[54:55], off
	s_clause 0x1
	global_load_b128 v[18:21], v[46:47], off
	global_load_b128 v[22:25], v[46:47], off offset:16
	s_clause 0x3
	global_load_b128 v[26:29], v[54:55], off offset:32
	global_load_b128 v[30:33], v[54:55], off offset:48
	;; [unrolled: 1-line block ×4, first 2 shown]
	s_clause 0x1
	global_load_b128 v[42:45], v[46:47], off offset:32
	global_load_b128 v[46:49], v[46:47], off offset:48
	s_clause 0x1
	global_load_b128 v[50:53], v[54:55], off offset:96
	global_load_b128 v[54:57], v[54:55], off offset:112
	s_waitcnt vmcnt(9)
	v_fmac_f32_e32 v8, v15, v18
	s_delay_alu instid0(VALU_DEP_1) | instskip(NEXT) | instid1(VALU_DEP_1)
	v_dual_fmac_f32 v7, v14, v18 :: v_dual_fmac_f32 v8, v17, v19
	v_dual_fmac_f32 v7, v16, v19 :: v_dual_fmac_f32 v8, v11, v20
	s_delay_alu instid0(VALU_DEP_1) | instskip(SKIP_1) | instid1(VALU_DEP_1)
	v_dual_fmac_f32 v7, v10, v20 :: v_dual_fmac_f32 v8, v13, v21
	s_waitcnt vmcnt(7)
	v_dual_fmac_f32 v7, v12, v21 :: v_dual_fmac_f32 v8, v27, v22
	s_delay_alu instid0(VALU_DEP_1) | instskip(SKIP_1) | instid1(VALU_DEP_1)
	v_dual_fmac_f32 v7, v26, v22 :: v_dual_fmac_f32 v8, v29, v23
	s_waitcnt vmcnt(6)
	v_dual_fmac_f32 v7, v28, v23 :: v_dual_fmac_f32 v8, v31, v24
	s_delay_alu instid0(VALU_DEP_1) | instskip(SKIP_1) | instid1(VALU_DEP_1)
	v_dual_fmac_f32 v7, v30, v24 :: v_dual_fmac_f32 v8, v33, v25
	s_waitcnt vmcnt(3)
	v_dual_fmac_f32 v7, v32, v25 :: v_dual_fmac_f32 v8, v39, v42
	s_delay_alu instid0(VALU_DEP_1) | instskip(NEXT) | instid1(VALU_DEP_1)
	v_dual_fmac_f32 v7, v38, v42 :: v_dual_fmac_f32 v8, v41, v43
	v_dual_fmac_f32 v7, v40, v43 :: v_dual_fmac_f32 v8, v35, v44
	s_delay_alu instid0(VALU_DEP_1) | instskip(SKIP_1) | instid1(VALU_DEP_1)
	v_dual_fmac_f32 v7, v34, v44 :: v_dual_fmac_f32 v8, v37, v45
	s_waitcnt vmcnt(1)
	v_dual_fmac_f32 v7, v36, v45 :: v_dual_fmac_f32 v8, v51, v46
	s_delay_alu instid0(VALU_DEP_1) | instskip(NEXT) | instid1(VALU_DEP_1)
	v_dual_fmac_f32 v7, v50, v46 :: v_dual_fmac_f32 v8, v53, v47
	v_fmac_f32_e32 v7, v52, v47
	s_waitcnt vmcnt(0)
	s_delay_alu instid0(VALU_DEP_2) | instskip(NEXT) | instid1(VALU_DEP_2)
	v_dual_fmac_f32 v8, v55, v48 :: v_dual_add_nc_u32 v5, 8, v5
	v_fmac_f32_e32 v7, v54, v48
	s_delay_alu instid0(VALU_DEP_2) | instskip(NEXT) | instid1(VALU_DEP_3)
	v_cmp_ge_i32_e32 vcc_lo, v5, v9
	v_fmac_f32_e32 v8, v57, v49
	s_delay_alu instid0(VALU_DEP_3) | instskip(SKIP_1) | instid1(SALU_CYCLE_1)
	v_fmac_f32_e32 v7, v56, v49
	s_or_b32 s5, vcc_lo, s5
	s_and_not1_b32 exec_lo, exec_lo, s5
	s_cbranch_execnz .LBB71_9
; %bb.10:
	s_or_b32 exec_lo, exec_lo, s5
.LBB71_11:
	s_delay_alu instid0(SALU_CYCLE_1) | instskip(NEXT) | instid1(SALU_CYCLE_1)
	s_or_b32 exec_lo, exec_lo, s4
	s_and_not1_b32 vcc_lo, exec_lo, s3
	s_cbranch_vccz .LBB71_13
	s_branch .LBB71_18
.LBB71_12:
                                        ; implicit-def: $vgpr7
                                        ; implicit-def: $vgpr8
.LBB71_13:
	v_dual_mov_b32 v7, 0 :: v_dual_mov_b32 v8, 0
	s_delay_alu instid0(VALU_DEP_2)
	s_and_saveexec_b32 s3, s2
	s_cbranch_execz .LBB71_17
; %bb.14:
	v_dual_mov_b32 v5, 0 :: v_dual_lshlrev_b32 v4, 5, v2
	s_mov_b32 s2, 0
	s_delay_alu instid0(VALU_DEP_1)
	v_mov_b32_e32 v7, v5
	v_mov_b32_e32 v8, v5
.LBB71_15:                              ; =>This Inner Loop Header: Depth=1
	v_ashrrev_i32_e32 v3, 31, v2
	s_delay_alu instid0(VALU_DEP_1) | instskip(NEXT) | instid1(VALU_DEP_1)
	v_lshlrev_b64 v[10:11], 2, v[2:3]
	v_add_co_u32 v10, vcc_lo, s6, v10
	s_delay_alu instid0(VALU_DEP_2) | instskip(SKIP_3) | instid1(VALU_DEP_2)
	v_add_co_ci_u32_e32 v11, vcc_lo, s7, v11, vcc_lo
	global_load_b32 v3, v[10:11], off
	v_lshlrev_b64 v[10:11], 2, v[4:5]
	v_add_nc_u32_e32 v4, 0x100, v4
	v_add_co_u32 v46, vcc_lo, s8, v10
	s_delay_alu instid0(VALU_DEP_3) | instskip(SKIP_2) | instid1(VALU_DEP_1)
	v_add_co_ci_u32_e32 v47, vcc_lo, s9, v11, vcc_lo
	s_waitcnt vmcnt(0)
	v_subrev_nc_u32_e32 v3, s18, v3
	v_dual_mov_b32 v13, v5 :: v_dual_lshlrev_b32 v12, 4, v3
	s_delay_alu instid0(VALU_DEP_1)
	v_lshlrev_b64 v[14:15], 2, v[12:13]
	global_load_b128 v[10:13], v[46:47], off offset:16
	v_add_co_u32 v54, vcc_lo, s10, v14
	v_add_co_ci_u32_e32 v55, vcc_lo, s11, v15, vcc_lo
	s_clause 0x2
	global_load_b128 v[14:17], v[46:47], off
	global_load_b128 v[18:21], v[46:47], off offset:80
	global_load_b128 v[22:25], v[46:47], off offset:64
	s_clause 0x1
	global_load_b128 v[26:29], v[54:55], off
	global_load_b128 v[30:33], v[54:55], off offset:16
	s_clause 0x3
	global_load_b128 v[34:37], v[46:47], off offset:48
	global_load_b128 v[38:41], v[46:47], off offset:32
	global_load_b128 v[42:45], v[46:47], off offset:112
	global_load_b128 v[46:49], v[46:47], off offset:96
	s_clause 0x1
	global_load_b128 v[50:53], v[54:55], off offset:32
	global_load_b128 v[54:57], v[54:55], off offset:48
	s_waitcnt vmcnt(7)
	v_fmac_f32_e32 v8, v22, v26
	s_delay_alu instid0(VALU_DEP_1) | instskip(NEXT) | instid1(VALU_DEP_1)
	v_dual_fmac_f32 v7, v14, v26 :: v_dual_fmac_f32 v8, v23, v27
	v_dual_fmac_f32 v7, v15, v27 :: v_dual_fmac_f32 v8, v24, v28
	s_delay_alu instid0(VALU_DEP_1) | instskip(SKIP_1) | instid1(VALU_DEP_1)
	v_dual_fmac_f32 v7, v16, v28 :: v_dual_fmac_f32 v8, v25, v29
	s_waitcnt vmcnt(6)
	v_dual_fmac_f32 v7, v17, v29 :: v_dual_fmac_f32 v8, v18, v30
	s_delay_alu instid0(VALU_DEP_1) | instskip(NEXT) | instid1(VALU_DEP_1)
	v_dual_fmac_f32 v7, v10, v30 :: v_dual_fmac_f32 v8, v19, v31
	v_dual_fmac_f32 v7, v11, v31 :: v_dual_fmac_f32 v8, v20, v32
	s_delay_alu instid0(VALU_DEP_1) | instskip(SKIP_1) | instid1(VALU_DEP_1)
	v_dual_fmac_f32 v7, v12, v32 :: v_dual_fmac_f32 v8, v21, v33
	s_waitcnt vmcnt(1)
	v_dual_fmac_f32 v7, v13, v33 :: v_dual_fmac_f32 v8, v46, v50
	;; [unrolled: 7-line block ×3, first 2 shown]
	s_delay_alu instid0(VALU_DEP_1) | instskip(NEXT) | instid1(VALU_DEP_1)
	v_dual_fmac_f32 v7, v34, v54 :: v_dual_fmac_f32 v8, v43, v55
	v_dual_fmac_f32 v7, v35, v55 :: v_dual_add_nc_u32 v2, 8, v2
	s_delay_alu instid0(VALU_DEP_1) | instskip(NEXT) | instid1(VALU_DEP_3)
	v_fmac_f32_e32 v7, v36, v56
	v_fmac_f32_e32 v8, v44, v56
	s_delay_alu instid0(VALU_DEP_3) | instskip(NEXT) | instid1(VALU_DEP_3)
	v_cmp_ge_i32_e32 vcc_lo, v2, v9
	v_fmac_f32_e32 v7, v37, v57
	s_delay_alu instid0(VALU_DEP_3) | instskip(SKIP_1) | instid1(SALU_CYCLE_1)
	v_fmac_f32_e32 v8, v45, v57
	s_or_b32 s2, vcc_lo, s2
	s_and_not1_b32 exec_lo, exec_lo, s2
	s_cbranch_execnz .LBB71_15
; %bb.16:
	s_or_b32 exec_lo, exec_lo, s2
.LBB71_17:
	s_delay_alu instid0(SALU_CYCLE_1)
	s_or_b32 exec_lo, exec_lo, s3
.LBB71_18:
	v_mbcnt_lo_u32_b32 v2, -1, 0
	s_mov_b32 s2, -1
	s_delay_alu instid0(VALU_DEP_1) | instskip(SKIP_1) | instid1(VALU_DEP_2)
	v_xor_b32_e32 v3, 4, v2
	v_xor_b32_e32 v5, 2, v2
	v_cmp_gt_i32_e32 vcc_lo, 32, v3
	v_cndmask_b32_e32 v3, v2, v3, vcc_lo
	s_delay_alu instid0(VALU_DEP_3) | instskip(NEXT) | instid1(VALU_DEP_2)
	v_cmp_gt_i32_e32 vcc_lo, 32, v5
	v_lshlrev_b32_e32 v3, 2, v3
	v_cndmask_b32_e32 v5, v2, v5, vcc_lo
	ds_bpermute_b32 v4, v3, v7
	s_waitcnt lgkmcnt(0)
	v_add_f32_e32 v4, v7, v4
	v_xor_b32_e32 v7, 1, v2
	s_delay_alu instid0(VALU_DEP_1)
	v_cmp_gt_i32_e32 vcc_lo, 32, v7
	v_dual_cndmask_b32 v2, v2, v7 :: v_dual_lshlrev_b32 v5, 2, v5
	ds_bpermute_b32 v6, v5, v4
	v_cmp_eq_u32_e32 vcc_lo, 7, v0
	v_lshlrev_b32_e32 v7, 2, v2
	s_waitcnt lgkmcnt(0)
	v_add_f32_e32 v2, v4, v6
	ds_bpermute_b32 v3, v3, v8
	ds_bpermute_b32 v4, v7, v2
	s_waitcnt lgkmcnt(1)
	v_add_f32_e32 v3, v8, v3
	ds_bpermute_b32 v5, v5, v3
	s_waitcnt lgkmcnt(0)
	v_add_f32_e32 v3, v3, v5
	ds_bpermute_b32 v5, v7, v3
	s_and_b32 exec_lo, exec_lo, vcc_lo
	s_cbranch_execz .LBB71_23
; %bb.19:
	s_load_b64 s[0:1], s[0:1], 0x38
	s_waitcnt lgkmcnt(0)
	v_dual_add_f32 v0, v2, v4 :: v_dual_add_f32 v3, v3, v5
	v_cmp_eq_f32_e64 s3, s12, 0
	s_delay_alu instid0(VALU_DEP_2) | instskip(SKIP_1) | instid1(VALU_DEP_3)
	v_dual_mul_f32 v2, s16, v0 :: v_dual_mul_f32 v3, s16, v3
	v_lshlrev_b32_e32 v0, 1, v1
	s_and_b32 vcc_lo, exec_lo, s3
	s_cbranch_vccz .LBB71_21
; %bb.20:
	s_delay_alu instid0(VALU_DEP_1) | instskip(SKIP_1) | instid1(VALU_DEP_1)
	v_ashrrev_i32_e32 v1, 31, v0
	s_mov_b32 s2, 0
	v_lshlrev_b64 v[4:5], 2, v[0:1]
	s_delay_alu instid0(VALU_DEP_1) | instskip(NEXT) | instid1(VALU_DEP_2)
	v_add_co_u32 v4, vcc_lo, s0, v4
	v_add_co_ci_u32_e32 v5, vcc_lo, s1, v5, vcc_lo
	global_store_b64 v[4:5], v[2:3], off
.LBB71_21:
	s_and_not1_b32 vcc_lo, exec_lo, s2
	s_cbranch_vccnz .LBB71_23
; %bb.22:
	v_ashrrev_i32_e32 v1, 31, v0
	s_delay_alu instid0(VALU_DEP_1) | instskip(NEXT) | instid1(VALU_DEP_1)
	v_lshlrev_b64 v[0:1], 2, v[0:1]
	v_add_co_u32 v0, vcc_lo, s0, v0
	s_delay_alu instid0(VALU_DEP_2)
	v_add_co_ci_u32_e32 v1, vcc_lo, s1, v1, vcc_lo
	global_load_b64 v[4:5], v[0:1], off
	s_waitcnt vmcnt(0)
	v_dual_fmac_f32 v2, s12, v4 :: v_dual_fmac_f32 v3, s12, v5
	global_store_b64 v[0:1], v[2:3], off
.LBB71_23:
	s_nop 0
	s_sendmsg sendmsg(MSG_DEALLOC_VGPRS)
	s_endpgm
	.section	.rodata,"a",@progbits
	.p2align	6, 0x0
	.amdhsa_kernel _ZN9rocsparseL19gebsrmvn_2xn_kernelILj128ELj16ELj8EfEEvi20rocsparse_direction_NS_24const_host_device_scalarIT2_EEPKiS6_PKS3_S8_S4_PS3_21rocsparse_index_base_b
		.amdhsa_group_segment_fixed_size 0
		.amdhsa_private_segment_fixed_size 0
		.amdhsa_kernarg_size 72
		.amdhsa_user_sgpr_count 15
		.amdhsa_user_sgpr_dispatch_ptr 0
		.amdhsa_user_sgpr_queue_ptr 0
		.amdhsa_user_sgpr_kernarg_segment_ptr 1
		.amdhsa_user_sgpr_dispatch_id 0
		.amdhsa_user_sgpr_private_segment_size 0
		.amdhsa_wavefront_size32 1
		.amdhsa_uses_dynamic_stack 0
		.amdhsa_enable_private_segment 0
		.amdhsa_system_sgpr_workgroup_id_x 1
		.amdhsa_system_sgpr_workgroup_id_y 0
		.amdhsa_system_sgpr_workgroup_id_z 0
		.amdhsa_system_sgpr_workgroup_info 0
		.amdhsa_system_vgpr_workitem_id 0
		.amdhsa_next_free_vgpr 58
		.amdhsa_next_free_sgpr 20
		.amdhsa_reserve_vcc 1
		.amdhsa_float_round_mode_32 0
		.amdhsa_float_round_mode_16_64 0
		.amdhsa_float_denorm_mode_32 3
		.amdhsa_float_denorm_mode_16_64 3
		.amdhsa_dx10_clamp 1
		.amdhsa_ieee_mode 1
		.amdhsa_fp16_overflow 0
		.amdhsa_workgroup_processor_mode 1
		.amdhsa_memory_ordered 1
		.amdhsa_forward_progress 0
		.amdhsa_shared_vgpr_count 0
		.amdhsa_exception_fp_ieee_invalid_op 0
		.amdhsa_exception_fp_denorm_src 0
		.amdhsa_exception_fp_ieee_div_zero 0
		.amdhsa_exception_fp_ieee_overflow 0
		.amdhsa_exception_fp_ieee_underflow 0
		.amdhsa_exception_fp_ieee_inexact 0
		.amdhsa_exception_int_div_zero 0
	.end_amdhsa_kernel
	.section	.text._ZN9rocsparseL19gebsrmvn_2xn_kernelILj128ELj16ELj8EfEEvi20rocsparse_direction_NS_24const_host_device_scalarIT2_EEPKiS6_PKS3_S8_S4_PS3_21rocsparse_index_base_b,"axG",@progbits,_ZN9rocsparseL19gebsrmvn_2xn_kernelILj128ELj16ELj8EfEEvi20rocsparse_direction_NS_24const_host_device_scalarIT2_EEPKiS6_PKS3_S8_S4_PS3_21rocsparse_index_base_b,comdat
.Lfunc_end71:
	.size	_ZN9rocsparseL19gebsrmvn_2xn_kernelILj128ELj16ELj8EfEEvi20rocsparse_direction_NS_24const_host_device_scalarIT2_EEPKiS6_PKS3_S8_S4_PS3_21rocsparse_index_base_b, .Lfunc_end71-_ZN9rocsparseL19gebsrmvn_2xn_kernelILj128ELj16ELj8EfEEvi20rocsparse_direction_NS_24const_host_device_scalarIT2_EEPKiS6_PKS3_S8_S4_PS3_21rocsparse_index_base_b
                                        ; -- End function
	.section	.AMDGPU.csdata,"",@progbits
; Kernel info:
; codeLenInByte = 1592
; NumSgprs: 22
; NumVgprs: 58
; ScratchSize: 0
; MemoryBound: 0
; FloatMode: 240
; IeeeMode: 1
; LDSByteSize: 0 bytes/workgroup (compile time only)
; SGPRBlocks: 2
; VGPRBlocks: 7
; NumSGPRsForWavesPerEU: 22
; NumVGPRsForWavesPerEU: 58
; Occupancy: 16
; WaveLimiterHint : 1
; COMPUTE_PGM_RSRC2:SCRATCH_EN: 0
; COMPUTE_PGM_RSRC2:USER_SGPR: 15
; COMPUTE_PGM_RSRC2:TRAP_HANDLER: 0
; COMPUTE_PGM_RSRC2:TGID_X_EN: 1
; COMPUTE_PGM_RSRC2:TGID_Y_EN: 0
; COMPUTE_PGM_RSRC2:TGID_Z_EN: 0
; COMPUTE_PGM_RSRC2:TIDIG_COMP_CNT: 0
	.section	.text._ZN9rocsparseL19gebsrmvn_2xn_kernelILj128ELj16ELj16EfEEvi20rocsparse_direction_NS_24const_host_device_scalarIT2_EEPKiS6_PKS3_S8_S4_PS3_21rocsparse_index_base_b,"axG",@progbits,_ZN9rocsparseL19gebsrmvn_2xn_kernelILj128ELj16ELj16EfEEvi20rocsparse_direction_NS_24const_host_device_scalarIT2_EEPKiS6_PKS3_S8_S4_PS3_21rocsparse_index_base_b,comdat
	.globl	_ZN9rocsparseL19gebsrmvn_2xn_kernelILj128ELj16ELj16EfEEvi20rocsparse_direction_NS_24const_host_device_scalarIT2_EEPKiS6_PKS3_S8_S4_PS3_21rocsparse_index_base_b ; -- Begin function _ZN9rocsparseL19gebsrmvn_2xn_kernelILj128ELj16ELj16EfEEvi20rocsparse_direction_NS_24const_host_device_scalarIT2_EEPKiS6_PKS3_S8_S4_PS3_21rocsparse_index_base_b
	.p2align	8
	.type	_ZN9rocsparseL19gebsrmvn_2xn_kernelILj128ELj16ELj16EfEEvi20rocsparse_direction_NS_24const_host_device_scalarIT2_EEPKiS6_PKS3_S8_S4_PS3_21rocsparse_index_base_b,@function
_ZN9rocsparseL19gebsrmvn_2xn_kernelILj128ELj16ELj16EfEEvi20rocsparse_direction_NS_24const_host_device_scalarIT2_EEPKiS6_PKS3_S8_S4_PS3_21rocsparse_index_base_b: ; @_ZN9rocsparseL19gebsrmvn_2xn_kernelILj128ELj16ELj16EfEEvi20rocsparse_direction_NS_24const_host_device_scalarIT2_EEPKiS6_PKS3_S8_S4_PS3_21rocsparse_index_base_b
; %bb.0:
	s_clause 0x2
	s_load_b64 s[18:19], s[0:1], 0x40
	s_load_b64 s[16:17], s[0:1], 0x8
	;; [unrolled: 1-line block ×3, first 2 shown]
	s_waitcnt lgkmcnt(0)
	s_bitcmp1_b32 s19, 0
	s_cselect_b32 s2, -1, 0
	s_delay_alu instid0(SALU_CYCLE_1)
	s_and_b32 vcc_lo, exec_lo, s2
	s_xor_b32 s2, s2, -1
	s_cbranch_vccnz .LBB72_2
; %bb.1:
	s_load_b32 s16, s[16:17], 0x0
.LBB72_2:
	s_and_not1_b32 vcc_lo, exec_lo, s2
	s_cbranch_vccnz .LBB72_4
; %bb.3:
	s_load_b32 s12, s[12:13], 0x0
.LBB72_4:
	s_waitcnt lgkmcnt(0)
	v_cmp_eq_f32_e64 s2, s16, 0
	v_cmp_eq_f32_e64 s3, s12, 1.0
	s_delay_alu instid0(VALU_DEP_1) | instskip(NEXT) | instid1(SALU_CYCLE_1)
	s_and_b32 s2, s2, s3
	s_and_b32 vcc_lo, exec_lo, s2
	s_cbranch_vccnz .LBB72_23
; %bb.5:
	s_load_b64 s[2:3], s[0:1], 0x0
	v_lshrrev_b32_e32 v1, 4, v0
	s_delay_alu instid0(VALU_DEP_1) | instskip(SKIP_1) | instid1(VALU_DEP_1)
	v_lshl_or_b32 v1, s15, 3, v1
	s_waitcnt lgkmcnt(0)
	v_cmp_gt_i32_e32 vcc_lo, s2, v1
	s_and_saveexec_b32 s2, vcc_lo
	s_cbranch_execz .LBB72_23
; %bb.6:
	s_load_b256 s[4:11], s[0:1], 0x10
	v_ashrrev_i32_e32 v2, 31, v1
	v_and_b32_e32 v0, 15, v0
	s_cmp_lg_u32 s3, 0
	s_delay_alu instid0(VALU_DEP_2) | instskip(SKIP_1) | instid1(VALU_DEP_1)
	v_lshlrev_b64 v[2:3], 2, v[1:2]
	s_waitcnt lgkmcnt(0)
	v_add_co_u32 v2, vcc_lo, s4, v2
	s_delay_alu instid0(VALU_DEP_2) | instskip(SKIP_4) | instid1(VALU_DEP_2)
	v_add_co_ci_u32_e32 v3, vcc_lo, s5, v3, vcc_lo
	global_load_b64 v[2:3], v[2:3], off
	s_waitcnt vmcnt(0)
	v_subrev_nc_u32_e32 v2, s18, v2
	v_subrev_nc_u32_e32 v9, s18, v3
	v_add_nc_u32_e32 v2, v2, v0
	s_delay_alu instid0(VALU_DEP_1)
	v_cmp_lt_i32_e64 s2, v2, v9
	s_cbranch_scc0 .LBB72_12
; %bb.7:
	v_dual_mov_b32 v7, 0 :: v_dual_mov_b32 v8, 0
	s_mov_b32 s3, 0
	s_delay_alu instid0(VALU_DEP_2)
	s_and_saveexec_b32 s4, s2
	s_cbranch_execz .LBB72_11
; %bb.8:
	v_dual_mov_b32 v4, 0 :: v_dual_lshlrev_b32 v3, 5, v2
	v_mov_b32_e32 v5, v2
	s_mov_b32 s5, 0
	s_delay_alu instid0(VALU_DEP_2)
	v_mov_b32_e32 v8, v4
	v_mov_b32_e32 v7, v4
.LBB72_9:                               ; =>This Inner Loop Header: Depth=1
	s_delay_alu instid0(VALU_DEP_3) | instskip(NEXT) | instid1(VALU_DEP_1)
	v_ashrrev_i32_e32 v6, 31, v5
	v_lshlrev_b64 v[10:11], 2, v[5:6]
	s_delay_alu instid0(VALU_DEP_1) | instskip(NEXT) | instid1(VALU_DEP_2)
	v_add_co_u32 v10, vcc_lo, s6, v10
	v_add_co_ci_u32_e32 v11, vcc_lo, s7, v11, vcc_lo
	global_load_b32 v6, v[10:11], off
	v_lshlrev_b64 v[10:11], 2, v[3:4]
	v_add_nc_u32_e32 v3, 0x200, v3
	s_delay_alu instid0(VALU_DEP_2) | instskip(NEXT) | instid1(VALU_DEP_3)
	v_add_co_u32 v54, vcc_lo, s8, v10
	v_add_co_ci_u32_e32 v55, vcc_lo, s9, v11, vcc_lo
	s_waitcnt vmcnt(0)
	v_subrev_nc_u32_e32 v6, s18, v6
	s_delay_alu instid0(VALU_DEP_1) | instskip(NEXT) | instid1(VALU_DEP_1)
	v_dual_mov_b32 v13, v4 :: v_dual_lshlrev_b32 v12, 4, v6
	v_lshlrev_b64 v[12:13], 2, v[12:13]
	s_delay_alu instid0(VALU_DEP_1) | instskip(NEXT) | instid1(VALU_DEP_2)
	v_add_co_u32 v46, vcc_lo, s10, v12
	v_add_co_ci_u32_e32 v47, vcc_lo, s11, v13, vcc_lo
	s_clause 0x1
	global_load_b128 v[10:13], v[54:55], off offset:16
	global_load_b128 v[14:17], v[54:55], off
	s_clause 0x1
	global_load_b128 v[18:21], v[46:47], off
	global_load_b128 v[22:25], v[46:47], off offset:16
	s_clause 0x3
	global_load_b128 v[26:29], v[54:55], off offset:32
	global_load_b128 v[30:33], v[54:55], off offset:48
	;; [unrolled: 1-line block ×4, first 2 shown]
	s_clause 0x1
	global_load_b128 v[42:45], v[46:47], off offset:32
	global_load_b128 v[46:49], v[46:47], off offset:48
	s_clause 0x1
	global_load_b128 v[50:53], v[54:55], off offset:96
	global_load_b128 v[54:57], v[54:55], off offset:112
	s_waitcnt vmcnt(9)
	v_fmac_f32_e32 v8, v15, v18
	s_delay_alu instid0(VALU_DEP_1) | instskip(NEXT) | instid1(VALU_DEP_1)
	v_dual_fmac_f32 v7, v14, v18 :: v_dual_fmac_f32 v8, v17, v19
	v_dual_fmac_f32 v7, v16, v19 :: v_dual_fmac_f32 v8, v11, v20
	s_delay_alu instid0(VALU_DEP_1) | instskip(SKIP_1) | instid1(VALU_DEP_1)
	v_dual_fmac_f32 v7, v10, v20 :: v_dual_fmac_f32 v8, v13, v21
	s_waitcnt vmcnt(7)
	v_dual_fmac_f32 v7, v12, v21 :: v_dual_fmac_f32 v8, v27, v22
	s_delay_alu instid0(VALU_DEP_1) | instskip(SKIP_1) | instid1(VALU_DEP_1)
	v_dual_fmac_f32 v7, v26, v22 :: v_dual_fmac_f32 v8, v29, v23
	s_waitcnt vmcnt(6)
	;; [unrolled: 4-line block ×3, first 2 shown]
	v_dual_fmac_f32 v7, v32, v25 :: v_dual_fmac_f32 v8, v39, v42
	s_delay_alu instid0(VALU_DEP_1) | instskip(NEXT) | instid1(VALU_DEP_1)
	v_dual_fmac_f32 v7, v38, v42 :: v_dual_fmac_f32 v8, v41, v43
	v_dual_fmac_f32 v7, v40, v43 :: v_dual_fmac_f32 v8, v35, v44
	s_delay_alu instid0(VALU_DEP_1) | instskip(SKIP_1) | instid1(VALU_DEP_1)
	v_dual_fmac_f32 v7, v34, v44 :: v_dual_fmac_f32 v8, v37, v45
	s_waitcnt vmcnt(1)
	v_dual_fmac_f32 v7, v36, v45 :: v_dual_fmac_f32 v8, v51, v46
	s_delay_alu instid0(VALU_DEP_1) | instskip(NEXT) | instid1(VALU_DEP_1)
	v_dual_fmac_f32 v7, v50, v46 :: v_dual_fmac_f32 v8, v53, v47
	v_fmac_f32_e32 v7, v52, v47
	s_waitcnt vmcnt(0)
	s_delay_alu instid0(VALU_DEP_2) | instskip(NEXT) | instid1(VALU_DEP_2)
	v_dual_fmac_f32 v8, v55, v48 :: v_dual_add_nc_u32 v5, 16, v5
	v_fmac_f32_e32 v7, v54, v48
	s_delay_alu instid0(VALU_DEP_2) | instskip(NEXT) | instid1(VALU_DEP_3)
	v_cmp_ge_i32_e32 vcc_lo, v5, v9
	v_fmac_f32_e32 v8, v57, v49
	s_delay_alu instid0(VALU_DEP_3) | instskip(SKIP_1) | instid1(SALU_CYCLE_1)
	v_fmac_f32_e32 v7, v56, v49
	s_or_b32 s5, vcc_lo, s5
	s_and_not1_b32 exec_lo, exec_lo, s5
	s_cbranch_execnz .LBB72_9
; %bb.10:
	s_or_b32 exec_lo, exec_lo, s5
.LBB72_11:
	s_delay_alu instid0(SALU_CYCLE_1) | instskip(NEXT) | instid1(SALU_CYCLE_1)
	s_or_b32 exec_lo, exec_lo, s4
	s_and_not1_b32 vcc_lo, exec_lo, s3
	s_cbranch_vccz .LBB72_13
	s_branch .LBB72_18
.LBB72_12:
                                        ; implicit-def: $vgpr7
                                        ; implicit-def: $vgpr8
.LBB72_13:
	v_dual_mov_b32 v7, 0 :: v_dual_mov_b32 v8, 0
	s_delay_alu instid0(VALU_DEP_2)
	s_and_saveexec_b32 s3, s2
	s_cbranch_execz .LBB72_17
; %bb.14:
	v_dual_mov_b32 v5, 0 :: v_dual_lshlrev_b32 v4, 5, v2
	s_mov_b32 s2, 0
	s_delay_alu instid0(VALU_DEP_1)
	v_mov_b32_e32 v7, v5
	v_mov_b32_e32 v8, v5
.LBB72_15:                              ; =>This Inner Loop Header: Depth=1
	v_ashrrev_i32_e32 v3, 31, v2
	s_delay_alu instid0(VALU_DEP_1) | instskip(NEXT) | instid1(VALU_DEP_1)
	v_lshlrev_b64 v[10:11], 2, v[2:3]
	v_add_co_u32 v10, vcc_lo, s6, v10
	s_delay_alu instid0(VALU_DEP_2) | instskip(SKIP_3) | instid1(VALU_DEP_2)
	v_add_co_ci_u32_e32 v11, vcc_lo, s7, v11, vcc_lo
	global_load_b32 v3, v[10:11], off
	v_lshlrev_b64 v[10:11], 2, v[4:5]
	v_add_nc_u32_e32 v4, 0x200, v4
	v_add_co_u32 v46, vcc_lo, s8, v10
	s_delay_alu instid0(VALU_DEP_3) | instskip(SKIP_2) | instid1(VALU_DEP_1)
	v_add_co_ci_u32_e32 v47, vcc_lo, s9, v11, vcc_lo
	s_waitcnt vmcnt(0)
	v_subrev_nc_u32_e32 v3, s18, v3
	v_dual_mov_b32 v13, v5 :: v_dual_lshlrev_b32 v12, 4, v3
	s_delay_alu instid0(VALU_DEP_1)
	v_lshlrev_b64 v[14:15], 2, v[12:13]
	global_load_b128 v[10:13], v[46:47], off offset:16
	v_add_co_u32 v54, vcc_lo, s10, v14
	v_add_co_ci_u32_e32 v55, vcc_lo, s11, v15, vcc_lo
	s_clause 0x2
	global_load_b128 v[14:17], v[46:47], off
	global_load_b128 v[18:21], v[46:47], off offset:80
	global_load_b128 v[22:25], v[46:47], off offset:64
	s_clause 0x1
	global_load_b128 v[26:29], v[54:55], off
	global_load_b128 v[30:33], v[54:55], off offset:16
	s_clause 0x3
	global_load_b128 v[34:37], v[46:47], off offset:48
	global_load_b128 v[38:41], v[46:47], off offset:32
	;; [unrolled: 1-line block ×4, first 2 shown]
	s_clause 0x1
	global_load_b128 v[50:53], v[54:55], off offset:32
	global_load_b128 v[54:57], v[54:55], off offset:48
	s_waitcnt vmcnt(7)
	v_fmac_f32_e32 v8, v22, v26
	s_delay_alu instid0(VALU_DEP_1) | instskip(NEXT) | instid1(VALU_DEP_1)
	v_dual_fmac_f32 v7, v14, v26 :: v_dual_fmac_f32 v8, v23, v27
	v_dual_fmac_f32 v7, v15, v27 :: v_dual_fmac_f32 v8, v24, v28
	s_delay_alu instid0(VALU_DEP_1) | instskip(SKIP_1) | instid1(VALU_DEP_1)
	v_dual_fmac_f32 v7, v16, v28 :: v_dual_fmac_f32 v8, v25, v29
	s_waitcnt vmcnt(6)
	v_dual_fmac_f32 v7, v17, v29 :: v_dual_fmac_f32 v8, v18, v30
	s_delay_alu instid0(VALU_DEP_1) | instskip(NEXT) | instid1(VALU_DEP_1)
	v_dual_fmac_f32 v7, v10, v30 :: v_dual_fmac_f32 v8, v19, v31
	v_dual_fmac_f32 v7, v11, v31 :: v_dual_fmac_f32 v8, v20, v32
	s_delay_alu instid0(VALU_DEP_1) | instskip(SKIP_1) | instid1(VALU_DEP_1)
	v_dual_fmac_f32 v7, v12, v32 :: v_dual_fmac_f32 v8, v21, v33
	s_waitcnt vmcnt(1)
	v_dual_fmac_f32 v7, v13, v33 :: v_dual_fmac_f32 v8, v46, v50
	;; [unrolled: 7-line block ×3, first 2 shown]
	s_delay_alu instid0(VALU_DEP_1) | instskip(NEXT) | instid1(VALU_DEP_1)
	v_dual_fmac_f32 v7, v34, v54 :: v_dual_fmac_f32 v8, v43, v55
	v_dual_fmac_f32 v7, v35, v55 :: v_dual_add_nc_u32 v2, 16, v2
	s_delay_alu instid0(VALU_DEP_1) | instskip(NEXT) | instid1(VALU_DEP_3)
	v_fmac_f32_e32 v7, v36, v56
	v_fmac_f32_e32 v8, v44, v56
	s_delay_alu instid0(VALU_DEP_3) | instskip(NEXT) | instid1(VALU_DEP_3)
	v_cmp_ge_i32_e32 vcc_lo, v2, v9
	v_fmac_f32_e32 v7, v37, v57
	s_delay_alu instid0(VALU_DEP_3) | instskip(SKIP_1) | instid1(SALU_CYCLE_1)
	v_fmac_f32_e32 v8, v45, v57
	s_or_b32 s2, vcc_lo, s2
	s_and_not1_b32 exec_lo, exec_lo, s2
	s_cbranch_execnz .LBB72_15
; %bb.16:
	s_or_b32 exec_lo, exec_lo, s2
.LBB72_17:
	s_delay_alu instid0(SALU_CYCLE_1)
	s_or_b32 exec_lo, exec_lo, s3
.LBB72_18:
	v_mbcnt_lo_u32_b32 v2, -1, 0
	s_mov_b32 s2, -1
	s_delay_alu instid0(VALU_DEP_1) | instskip(SKIP_1) | instid1(VALU_DEP_2)
	v_xor_b32_e32 v3, 8, v2
	v_xor_b32_e32 v5, 4, v2
	v_cmp_gt_i32_e32 vcc_lo, 32, v3
	v_cndmask_b32_e32 v3, v2, v3, vcc_lo
	s_delay_alu instid0(VALU_DEP_3) | instskip(NEXT) | instid1(VALU_DEP_2)
	v_cmp_gt_i32_e32 vcc_lo, 32, v5
	v_lshlrev_b32_e32 v3, 2, v3
	v_cndmask_b32_e32 v5, v2, v5, vcc_lo
	ds_bpermute_b32 v4, v3, v7
	s_waitcnt lgkmcnt(0)
	v_dual_add_f32 v4, v7, v4 :: v_dual_lshlrev_b32 v5, 2, v5
	v_xor_b32_e32 v7, 2, v2
	ds_bpermute_b32 v6, v5, v4
	v_cmp_gt_i32_e32 vcc_lo, 32, v7
	s_waitcnt lgkmcnt(0)
	v_add_f32_e32 v4, v4, v6
	ds_bpermute_b32 v3, v3, v8
	v_cndmask_b32_e32 v7, v2, v7, vcc_lo
	s_delay_alu instid0(VALU_DEP_1)
	v_lshlrev_b32_e32 v7, 2, v7
	s_waitcnt lgkmcnt(0)
	v_add_f32_e32 v3, v8, v3
	ds_bpermute_b32 v5, v5, v3
	s_waitcnt lgkmcnt(0)
	v_add_f32_e32 v3, v3, v5
	ds_bpermute_b32 v5, v7, v4
	ds_bpermute_b32 v6, v7, v3
	v_xor_b32_e32 v7, 1, v2
	s_delay_alu instid0(VALU_DEP_1) | instskip(SKIP_3) | instid1(VALU_DEP_2)
	v_cmp_gt_i32_e32 vcc_lo, 32, v7
	v_cndmask_b32_e32 v2, v2, v7, vcc_lo
	v_cmp_eq_u32_e32 vcc_lo, 15, v0
	s_waitcnt lgkmcnt(1)
	v_dual_add_f32 v2, v4, v5 :: v_dual_lshlrev_b32 v7, 2, v2
	s_waitcnt lgkmcnt(0)
	v_add_f32_e32 v3, v3, v6
	ds_bpermute_b32 v4, v7, v2
	ds_bpermute_b32 v5, v7, v3
	s_and_b32 exec_lo, exec_lo, vcc_lo
	s_cbranch_execz .LBB72_23
; %bb.19:
	s_load_b64 s[0:1], s[0:1], 0x38
	s_waitcnt lgkmcnt(0)
	v_dual_add_f32 v0, v2, v4 :: v_dual_add_f32 v3, v3, v5
	v_cmp_eq_f32_e64 s3, s12, 0
	s_delay_alu instid0(VALU_DEP_2) | instskip(SKIP_1) | instid1(VALU_DEP_3)
	v_dual_mul_f32 v2, s16, v0 :: v_dual_mul_f32 v3, s16, v3
	v_lshlrev_b32_e32 v0, 1, v1
	s_and_b32 vcc_lo, exec_lo, s3
	s_cbranch_vccz .LBB72_21
; %bb.20:
	s_delay_alu instid0(VALU_DEP_1) | instskip(SKIP_1) | instid1(VALU_DEP_1)
	v_ashrrev_i32_e32 v1, 31, v0
	s_mov_b32 s2, 0
	v_lshlrev_b64 v[4:5], 2, v[0:1]
	s_delay_alu instid0(VALU_DEP_1) | instskip(NEXT) | instid1(VALU_DEP_2)
	v_add_co_u32 v4, vcc_lo, s0, v4
	v_add_co_ci_u32_e32 v5, vcc_lo, s1, v5, vcc_lo
	global_store_b64 v[4:5], v[2:3], off
.LBB72_21:
	s_and_not1_b32 vcc_lo, exec_lo, s2
	s_cbranch_vccnz .LBB72_23
; %bb.22:
	v_ashrrev_i32_e32 v1, 31, v0
	s_delay_alu instid0(VALU_DEP_1) | instskip(NEXT) | instid1(VALU_DEP_1)
	v_lshlrev_b64 v[0:1], 2, v[0:1]
	v_add_co_u32 v0, vcc_lo, s0, v0
	s_delay_alu instid0(VALU_DEP_2)
	v_add_co_ci_u32_e32 v1, vcc_lo, s1, v1, vcc_lo
	global_load_b64 v[4:5], v[0:1], off
	s_waitcnt vmcnt(0)
	v_dual_fmac_f32 v2, s12, v4 :: v_dual_fmac_f32 v3, s12, v5
	global_store_b64 v[0:1], v[2:3], off
.LBB72_23:
	s_nop 0
	s_sendmsg sendmsg(MSG_DEALLOC_VGPRS)
	s_endpgm
	.section	.rodata,"a",@progbits
	.p2align	6, 0x0
	.amdhsa_kernel _ZN9rocsparseL19gebsrmvn_2xn_kernelILj128ELj16ELj16EfEEvi20rocsparse_direction_NS_24const_host_device_scalarIT2_EEPKiS6_PKS3_S8_S4_PS3_21rocsparse_index_base_b
		.amdhsa_group_segment_fixed_size 0
		.amdhsa_private_segment_fixed_size 0
		.amdhsa_kernarg_size 72
		.amdhsa_user_sgpr_count 15
		.amdhsa_user_sgpr_dispatch_ptr 0
		.amdhsa_user_sgpr_queue_ptr 0
		.amdhsa_user_sgpr_kernarg_segment_ptr 1
		.amdhsa_user_sgpr_dispatch_id 0
		.amdhsa_user_sgpr_private_segment_size 0
		.amdhsa_wavefront_size32 1
		.amdhsa_uses_dynamic_stack 0
		.amdhsa_enable_private_segment 0
		.amdhsa_system_sgpr_workgroup_id_x 1
		.amdhsa_system_sgpr_workgroup_id_y 0
		.amdhsa_system_sgpr_workgroup_id_z 0
		.amdhsa_system_sgpr_workgroup_info 0
		.amdhsa_system_vgpr_workitem_id 0
		.amdhsa_next_free_vgpr 58
		.amdhsa_next_free_sgpr 20
		.amdhsa_reserve_vcc 1
		.amdhsa_float_round_mode_32 0
		.amdhsa_float_round_mode_16_64 0
		.amdhsa_float_denorm_mode_32 3
		.amdhsa_float_denorm_mode_16_64 3
		.amdhsa_dx10_clamp 1
		.amdhsa_ieee_mode 1
		.amdhsa_fp16_overflow 0
		.amdhsa_workgroup_processor_mode 1
		.amdhsa_memory_ordered 1
		.amdhsa_forward_progress 0
		.amdhsa_shared_vgpr_count 0
		.amdhsa_exception_fp_ieee_invalid_op 0
		.amdhsa_exception_fp_denorm_src 0
		.amdhsa_exception_fp_ieee_div_zero 0
		.amdhsa_exception_fp_ieee_overflow 0
		.amdhsa_exception_fp_ieee_underflow 0
		.amdhsa_exception_fp_ieee_inexact 0
		.amdhsa_exception_int_div_zero 0
	.end_amdhsa_kernel
	.section	.text._ZN9rocsparseL19gebsrmvn_2xn_kernelILj128ELj16ELj16EfEEvi20rocsparse_direction_NS_24const_host_device_scalarIT2_EEPKiS6_PKS3_S8_S4_PS3_21rocsparse_index_base_b,"axG",@progbits,_ZN9rocsparseL19gebsrmvn_2xn_kernelILj128ELj16ELj16EfEEvi20rocsparse_direction_NS_24const_host_device_scalarIT2_EEPKiS6_PKS3_S8_S4_PS3_21rocsparse_index_base_b,comdat
.Lfunc_end72:
	.size	_ZN9rocsparseL19gebsrmvn_2xn_kernelILj128ELj16ELj16EfEEvi20rocsparse_direction_NS_24const_host_device_scalarIT2_EEPKiS6_PKS3_S8_S4_PS3_21rocsparse_index_base_b, .Lfunc_end72-_ZN9rocsparseL19gebsrmvn_2xn_kernelILj128ELj16ELj16EfEEvi20rocsparse_direction_NS_24const_host_device_scalarIT2_EEPKiS6_PKS3_S8_S4_PS3_21rocsparse_index_base_b
                                        ; -- End function
	.section	.AMDGPU.csdata,"",@progbits
; Kernel info:
; codeLenInByte = 1644
; NumSgprs: 22
; NumVgprs: 58
; ScratchSize: 0
; MemoryBound: 0
; FloatMode: 240
; IeeeMode: 1
; LDSByteSize: 0 bytes/workgroup (compile time only)
; SGPRBlocks: 2
; VGPRBlocks: 7
; NumSGPRsForWavesPerEU: 22
; NumVGPRsForWavesPerEU: 58
; Occupancy: 16
; WaveLimiterHint : 1
; COMPUTE_PGM_RSRC2:SCRATCH_EN: 0
; COMPUTE_PGM_RSRC2:USER_SGPR: 15
; COMPUTE_PGM_RSRC2:TRAP_HANDLER: 0
; COMPUTE_PGM_RSRC2:TGID_X_EN: 1
; COMPUTE_PGM_RSRC2:TGID_Y_EN: 0
; COMPUTE_PGM_RSRC2:TGID_Z_EN: 0
; COMPUTE_PGM_RSRC2:TIDIG_COMP_CNT: 0
	.section	.text._ZN9rocsparseL19gebsrmvn_2xn_kernelILj128ELj16ELj32EfEEvi20rocsparse_direction_NS_24const_host_device_scalarIT2_EEPKiS6_PKS3_S8_S4_PS3_21rocsparse_index_base_b,"axG",@progbits,_ZN9rocsparseL19gebsrmvn_2xn_kernelILj128ELj16ELj32EfEEvi20rocsparse_direction_NS_24const_host_device_scalarIT2_EEPKiS6_PKS3_S8_S4_PS3_21rocsparse_index_base_b,comdat
	.globl	_ZN9rocsparseL19gebsrmvn_2xn_kernelILj128ELj16ELj32EfEEvi20rocsparse_direction_NS_24const_host_device_scalarIT2_EEPKiS6_PKS3_S8_S4_PS3_21rocsparse_index_base_b ; -- Begin function _ZN9rocsparseL19gebsrmvn_2xn_kernelILj128ELj16ELj32EfEEvi20rocsparse_direction_NS_24const_host_device_scalarIT2_EEPKiS6_PKS3_S8_S4_PS3_21rocsparse_index_base_b
	.p2align	8
	.type	_ZN9rocsparseL19gebsrmvn_2xn_kernelILj128ELj16ELj32EfEEvi20rocsparse_direction_NS_24const_host_device_scalarIT2_EEPKiS6_PKS3_S8_S4_PS3_21rocsparse_index_base_b,@function
_ZN9rocsparseL19gebsrmvn_2xn_kernelILj128ELj16ELj32EfEEvi20rocsparse_direction_NS_24const_host_device_scalarIT2_EEPKiS6_PKS3_S8_S4_PS3_21rocsparse_index_base_b: ; @_ZN9rocsparseL19gebsrmvn_2xn_kernelILj128ELj16ELj32EfEEvi20rocsparse_direction_NS_24const_host_device_scalarIT2_EEPKiS6_PKS3_S8_S4_PS3_21rocsparse_index_base_b
; %bb.0:
	s_clause 0x2
	s_load_b64 s[18:19], s[0:1], 0x40
	s_load_b64 s[16:17], s[0:1], 0x8
	;; [unrolled: 1-line block ×3, first 2 shown]
	s_waitcnt lgkmcnt(0)
	s_bitcmp1_b32 s19, 0
	s_cselect_b32 s2, -1, 0
	s_delay_alu instid0(SALU_CYCLE_1)
	s_and_b32 vcc_lo, exec_lo, s2
	s_xor_b32 s2, s2, -1
	s_cbranch_vccnz .LBB73_2
; %bb.1:
	s_load_b32 s16, s[16:17], 0x0
.LBB73_2:
	s_and_not1_b32 vcc_lo, exec_lo, s2
	s_cbranch_vccnz .LBB73_4
; %bb.3:
	s_load_b32 s12, s[12:13], 0x0
.LBB73_4:
	s_waitcnt lgkmcnt(0)
	v_cmp_eq_f32_e64 s2, s16, 0
	v_cmp_eq_f32_e64 s3, s12, 1.0
	s_delay_alu instid0(VALU_DEP_1) | instskip(NEXT) | instid1(SALU_CYCLE_1)
	s_and_b32 s2, s2, s3
	s_and_b32 vcc_lo, exec_lo, s2
	s_cbranch_vccnz .LBB73_23
; %bb.5:
	s_load_b64 s[2:3], s[0:1], 0x0
	v_lshrrev_b32_e32 v1, 5, v0
	s_delay_alu instid0(VALU_DEP_1) | instskip(SKIP_1) | instid1(VALU_DEP_1)
	v_lshl_or_b32 v1, s15, 2, v1
	s_waitcnt lgkmcnt(0)
	v_cmp_gt_i32_e32 vcc_lo, s2, v1
	s_and_saveexec_b32 s2, vcc_lo
	s_cbranch_execz .LBB73_23
; %bb.6:
	s_load_b256 s[4:11], s[0:1], 0x10
	v_ashrrev_i32_e32 v2, 31, v1
	v_and_b32_e32 v0, 31, v0
	s_cmp_lg_u32 s3, 0
	s_delay_alu instid0(VALU_DEP_2) | instskip(SKIP_1) | instid1(VALU_DEP_1)
	v_lshlrev_b64 v[2:3], 2, v[1:2]
	s_waitcnt lgkmcnt(0)
	v_add_co_u32 v2, vcc_lo, s4, v2
	s_delay_alu instid0(VALU_DEP_2) | instskip(SKIP_4) | instid1(VALU_DEP_2)
	v_add_co_ci_u32_e32 v3, vcc_lo, s5, v3, vcc_lo
	global_load_b64 v[2:3], v[2:3], off
	s_waitcnt vmcnt(0)
	v_subrev_nc_u32_e32 v2, s18, v2
	v_subrev_nc_u32_e32 v9, s18, v3
	v_add_nc_u32_e32 v2, v2, v0
	s_delay_alu instid0(VALU_DEP_1)
	v_cmp_lt_i32_e64 s2, v2, v9
	s_cbranch_scc0 .LBB73_12
; %bb.7:
	v_dual_mov_b32 v7, 0 :: v_dual_mov_b32 v8, 0
	s_mov_b32 s3, 0
	s_delay_alu instid0(VALU_DEP_2)
	s_and_saveexec_b32 s4, s2
	s_cbranch_execz .LBB73_11
; %bb.8:
	v_dual_mov_b32 v4, 0 :: v_dual_lshlrev_b32 v3, 5, v2
	v_mov_b32_e32 v5, v2
	s_mov_b32 s5, 0
	s_delay_alu instid0(VALU_DEP_2)
	v_mov_b32_e32 v8, v4
	v_mov_b32_e32 v7, v4
.LBB73_9:                               ; =>This Inner Loop Header: Depth=1
	s_delay_alu instid0(VALU_DEP_3) | instskip(NEXT) | instid1(VALU_DEP_1)
	v_ashrrev_i32_e32 v6, 31, v5
	v_lshlrev_b64 v[10:11], 2, v[5:6]
	s_delay_alu instid0(VALU_DEP_1) | instskip(NEXT) | instid1(VALU_DEP_2)
	v_add_co_u32 v10, vcc_lo, s6, v10
	v_add_co_ci_u32_e32 v11, vcc_lo, s7, v11, vcc_lo
	global_load_b32 v6, v[10:11], off
	v_lshlrev_b64 v[10:11], 2, v[3:4]
	v_add_nc_u32_e32 v3, 0x400, v3
	s_delay_alu instid0(VALU_DEP_2) | instskip(NEXT) | instid1(VALU_DEP_3)
	v_add_co_u32 v54, vcc_lo, s8, v10
	v_add_co_ci_u32_e32 v55, vcc_lo, s9, v11, vcc_lo
	s_waitcnt vmcnt(0)
	v_subrev_nc_u32_e32 v6, s18, v6
	s_delay_alu instid0(VALU_DEP_1) | instskip(NEXT) | instid1(VALU_DEP_1)
	v_dual_mov_b32 v13, v4 :: v_dual_lshlrev_b32 v12, 4, v6
	v_lshlrev_b64 v[12:13], 2, v[12:13]
	s_delay_alu instid0(VALU_DEP_1) | instskip(NEXT) | instid1(VALU_DEP_2)
	v_add_co_u32 v46, vcc_lo, s10, v12
	v_add_co_ci_u32_e32 v47, vcc_lo, s11, v13, vcc_lo
	s_clause 0x1
	global_load_b128 v[10:13], v[54:55], off offset:16
	global_load_b128 v[14:17], v[54:55], off
	s_clause 0x1
	global_load_b128 v[18:21], v[46:47], off
	global_load_b128 v[22:25], v[46:47], off offset:16
	s_clause 0x3
	global_load_b128 v[26:29], v[54:55], off offset:32
	global_load_b128 v[30:33], v[54:55], off offset:48
	;; [unrolled: 1-line block ×4, first 2 shown]
	s_clause 0x1
	global_load_b128 v[42:45], v[46:47], off offset:32
	global_load_b128 v[46:49], v[46:47], off offset:48
	s_clause 0x1
	global_load_b128 v[50:53], v[54:55], off offset:96
	global_load_b128 v[54:57], v[54:55], off offset:112
	s_waitcnt vmcnt(9)
	v_fmac_f32_e32 v8, v15, v18
	s_delay_alu instid0(VALU_DEP_1) | instskip(NEXT) | instid1(VALU_DEP_1)
	v_dual_fmac_f32 v7, v14, v18 :: v_dual_fmac_f32 v8, v17, v19
	v_dual_fmac_f32 v7, v16, v19 :: v_dual_fmac_f32 v8, v11, v20
	s_delay_alu instid0(VALU_DEP_1) | instskip(SKIP_1) | instid1(VALU_DEP_1)
	v_dual_fmac_f32 v7, v10, v20 :: v_dual_fmac_f32 v8, v13, v21
	s_waitcnt vmcnt(7)
	v_dual_fmac_f32 v7, v12, v21 :: v_dual_fmac_f32 v8, v27, v22
	s_delay_alu instid0(VALU_DEP_1) | instskip(SKIP_1) | instid1(VALU_DEP_1)
	v_dual_fmac_f32 v7, v26, v22 :: v_dual_fmac_f32 v8, v29, v23
	s_waitcnt vmcnt(6)
	;; [unrolled: 4-line block ×3, first 2 shown]
	v_dual_fmac_f32 v7, v32, v25 :: v_dual_fmac_f32 v8, v39, v42
	s_delay_alu instid0(VALU_DEP_1) | instskip(NEXT) | instid1(VALU_DEP_1)
	v_dual_fmac_f32 v7, v38, v42 :: v_dual_fmac_f32 v8, v41, v43
	v_dual_fmac_f32 v7, v40, v43 :: v_dual_fmac_f32 v8, v35, v44
	s_delay_alu instid0(VALU_DEP_1) | instskip(SKIP_1) | instid1(VALU_DEP_1)
	v_dual_fmac_f32 v7, v34, v44 :: v_dual_fmac_f32 v8, v37, v45
	s_waitcnt vmcnt(1)
	v_dual_fmac_f32 v7, v36, v45 :: v_dual_fmac_f32 v8, v51, v46
	s_delay_alu instid0(VALU_DEP_1) | instskip(NEXT) | instid1(VALU_DEP_1)
	v_dual_fmac_f32 v7, v50, v46 :: v_dual_fmac_f32 v8, v53, v47
	v_fmac_f32_e32 v7, v52, v47
	s_waitcnt vmcnt(0)
	s_delay_alu instid0(VALU_DEP_2) | instskip(NEXT) | instid1(VALU_DEP_2)
	v_dual_fmac_f32 v8, v55, v48 :: v_dual_add_nc_u32 v5, 32, v5
	v_fmac_f32_e32 v7, v54, v48
	s_delay_alu instid0(VALU_DEP_2) | instskip(NEXT) | instid1(VALU_DEP_3)
	v_cmp_ge_i32_e32 vcc_lo, v5, v9
	v_fmac_f32_e32 v8, v57, v49
	s_delay_alu instid0(VALU_DEP_3) | instskip(SKIP_1) | instid1(SALU_CYCLE_1)
	v_fmac_f32_e32 v7, v56, v49
	s_or_b32 s5, vcc_lo, s5
	s_and_not1_b32 exec_lo, exec_lo, s5
	s_cbranch_execnz .LBB73_9
; %bb.10:
	s_or_b32 exec_lo, exec_lo, s5
.LBB73_11:
	s_delay_alu instid0(SALU_CYCLE_1) | instskip(NEXT) | instid1(SALU_CYCLE_1)
	s_or_b32 exec_lo, exec_lo, s4
	s_and_not1_b32 vcc_lo, exec_lo, s3
	s_cbranch_vccz .LBB73_13
	s_branch .LBB73_18
.LBB73_12:
                                        ; implicit-def: $vgpr7
                                        ; implicit-def: $vgpr8
.LBB73_13:
	v_dual_mov_b32 v7, 0 :: v_dual_mov_b32 v8, 0
	s_delay_alu instid0(VALU_DEP_2)
	s_and_saveexec_b32 s3, s2
	s_cbranch_execz .LBB73_17
; %bb.14:
	v_dual_mov_b32 v5, 0 :: v_dual_lshlrev_b32 v4, 5, v2
	s_mov_b32 s2, 0
	s_delay_alu instid0(VALU_DEP_1)
	v_mov_b32_e32 v7, v5
	v_mov_b32_e32 v8, v5
.LBB73_15:                              ; =>This Inner Loop Header: Depth=1
	v_ashrrev_i32_e32 v3, 31, v2
	s_delay_alu instid0(VALU_DEP_1) | instskip(NEXT) | instid1(VALU_DEP_1)
	v_lshlrev_b64 v[10:11], 2, v[2:3]
	v_add_co_u32 v10, vcc_lo, s6, v10
	s_delay_alu instid0(VALU_DEP_2) | instskip(SKIP_3) | instid1(VALU_DEP_2)
	v_add_co_ci_u32_e32 v11, vcc_lo, s7, v11, vcc_lo
	global_load_b32 v3, v[10:11], off
	v_lshlrev_b64 v[10:11], 2, v[4:5]
	v_add_nc_u32_e32 v4, 0x400, v4
	v_add_co_u32 v46, vcc_lo, s8, v10
	s_delay_alu instid0(VALU_DEP_3) | instskip(SKIP_2) | instid1(VALU_DEP_1)
	v_add_co_ci_u32_e32 v47, vcc_lo, s9, v11, vcc_lo
	s_waitcnt vmcnt(0)
	v_subrev_nc_u32_e32 v3, s18, v3
	v_dual_mov_b32 v13, v5 :: v_dual_lshlrev_b32 v12, 4, v3
	s_delay_alu instid0(VALU_DEP_1)
	v_lshlrev_b64 v[14:15], 2, v[12:13]
	global_load_b128 v[10:13], v[46:47], off offset:16
	v_add_co_u32 v54, vcc_lo, s10, v14
	v_add_co_ci_u32_e32 v55, vcc_lo, s11, v15, vcc_lo
	s_clause 0x2
	global_load_b128 v[14:17], v[46:47], off
	global_load_b128 v[18:21], v[46:47], off offset:80
	global_load_b128 v[22:25], v[46:47], off offset:64
	s_clause 0x1
	global_load_b128 v[26:29], v[54:55], off
	global_load_b128 v[30:33], v[54:55], off offset:16
	s_clause 0x3
	global_load_b128 v[34:37], v[46:47], off offset:48
	global_load_b128 v[38:41], v[46:47], off offset:32
	;; [unrolled: 1-line block ×4, first 2 shown]
	s_clause 0x1
	global_load_b128 v[50:53], v[54:55], off offset:32
	global_load_b128 v[54:57], v[54:55], off offset:48
	s_waitcnt vmcnt(7)
	v_fmac_f32_e32 v8, v22, v26
	s_delay_alu instid0(VALU_DEP_1) | instskip(NEXT) | instid1(VALU_DEP_1)
	v_dual_fmac_f32 v7, v14, v26 :: v_dual_fmac_f32 v8, v23, v27
	v_dual_fmac_f32 v7, v15, v27 :: v_dual_fmac_f32 v8, v24, v28
	s_delay_alu instid0(VALU_DEP_1) | instskip(SKIP_1) | instid1(VALU_DEP_1)
	v_dual_fmac_f32 v7, v16, v28 :: v_dual_fmac_f32 v8, v25, v29
	s_waitcnt vmcnt(6)
	v_dual_fmac_f32 v7, v17, v29 :: v_dual_fmac_f32 v8, v18, v30
	s_delay_alu instid0(VALU_DEP_1) | instskip(NEXT) | instid1(VALU_DEP_1)
	v_dual_fmac_f32 v7, v10, v30 :: v_dual_fmac_f32 v8, v19, v31
	v_dual_fmac_f32 v7, v11, v31 :: v_dual_fmac_f32 v8, v20, v32
	s_delay_alu instid0(VALU_DEP_1) | instskip(SKIP_1) | instid1(VALU_DEP_1)
	v_dual_fmac_f32 v7, v12, v32 :: v_dual_fmac_f32 v8, v21, v33
	s_waitcnt vmcnt(1)
	v_dual_fmac_f32 v7, v13, v33 :: v_dual_fmac_f32 v8, v46, v50
	;; [unrolled: 7-line block ×3, first 2 shown]
	s_delay_alu instid0(VALU_DEP_1) | instskip(NEXT) | instid1(VALU_DEP_1)
	v_dual_fmac_f32 v7, v34, v54 :: v_dual_fmac_f32 v8, v43, v55
	v_dual_fmac_f32 v7, v35, v55 :: v_dual_add_nc_u32 v2, 32, v2
	s_delay_alu instid0(VALU_DEP_1) | instskip(NEXT) | instid1(VALU_DEP_3)
	v_fmac_f32_e32 v7, v36, v56
	v_fmac_f32_e32 v8, v44, v56
	s_delay_alu instid0(VALU_DEP_3) | instskip(NEXT) | instid1(VALU_DEP_3)
	v_cmp_ge_i32_e32 vcc_lo, v2, v9
	v_fmac_f32_e32 v7, v37, v57
	s_delay_alu instid0(VALU_DEP_3) | instskip(SKIP_1) | instid1(SALU_CYCLE_1)
	v_fmac_f32_e32 v8, v45, v57
	s_or_b32 s2, vcc_lo, s2
	s_and_not1_b32 exec_lo, exec_lo, s2
	s_cbranch_execnz .LBB73_15
; %bb.16:
	s_or_b32 exec_lo, exec_lo, s2
.LBB73_17:
	s_delay_alu instid0(SALU_CYCLE_1)
	s_or_b32 exec_lo, exec_lo, s3
.LBB73_18:
	v_mbcnt_lo_u32_b32 v2, -1, 0
	s_mov_b32 s2, -1
	s_delay_alu instid0(VALU_DEP_1) | instskip(SKIP_1) | instid1(VALU_DEP_2)
	v_xor_b32_e32 v3, 16, v2
	v_xor_b32_e32 v5, 8, v2
	v_cmp_gt_i32_e32 vcc_lo, 32, v3
	v_cndmask_b32_e32 v3, v2, v3, vcc_lo
	s_delay_alu instid0(VALU_DEP_3) | instskip(NEXT) | instid1(VALU_DEP_2)
	v_cmp_gt_i32_e32 vcc_lo, 32, v5
	v_lshlrev_b32_e32 v3, 2, v3
	v_cndmask_b32_e32 v5, v2, v5, vcc_lo
	ds_bpermute_b32 v4, v3, v7
	s_waitcnt lgkmcnt(0)
	v_dual_add_f32 v4, v7, v4 :: v_dual_lshlrev_b32 v5, 2, v5
	v_xor_b32_e32 v7, 4, v2
	ds_bpermute_b32 v6, v5, v4
	v_cmp_gt_i32_e32 vcc_lo, 32, v7
	s_waitcnt lgkmcnt(0)
	v_add_f32_e32 v4, v4, v6
	ds_bpermute_b32 v3, v3, v8
	v_cndmask_b32_e32 v7, v2, v7, vcc_lo
	s_delay_alu instid0(VALU_DEP_1)
	v_lshlrev_b32_e32 v7, 2, v7
	s_waitcnt lgkmcnt(0)
	v_add_f32_e32 v3, v8, v3
	ds_bpermute_b32 v5, v5, v3
	s_waitcnt lgkmcnt(0)
	v_add_f32_e32 v3, v3, v5
	ds_bpermute_b32 v5, v7, v4
	ds_bpermute_b32 v6, v7, v3
	v_xor_b32_e32 v7, 2, v2
	s_delay_alu instid0(VALU_DEP_1) | instskip(SKIP_2) | instid1(VALU_DEP_1)
	v_cmp_gt_i32_e32 vcc_lo, 32, v7
	v_cndmask_b32_e32 v7, v2, v7, vcc_lo
	s_waitcnt lgkmcnt(1)
	v_dual_add_f32 v4, v4, v5 :: v_dual_lshlrev_b32 v7, 2, v7
	s_waitcnt lgkmcnt(0)
	v_add_f32_e32 v3, v3, v6
	ds_bpermute_b32 v5, v7, v4
	ds_bpermute_b32 v6, v7, v3
	v_xor_b32_e32 v7, 1, v2
	s_delay_alu instid0(VALU_DEP_1) | instskip(SKIP_3) | instid1(VALU_DEP_2)
	v_cmp_gt_i32_e32 vcc_lo, 32, v7
	v_cndmask_b32_e32 v2, v2, v7, vcc_lo
	v_cmp_eq_u32_e32 vcc_lo, 31, v0
	s_waitcnt lgkmcnt(1)
	v_dual_add_f32 v2, v4, v5 :: v_dual_lshlrev_b32 v7, 2, v2
	s_waitcnt lgkmcnt(0)
	v_add_f32_e32 v3, v3, v6
	ds_bpermute_b32 v4, v7, v2
	ds_bpermute_b32 v5, v7, v3
	s_and_b32 exec_lo, exec_lo, vcc_lo
	s_cbranch_execz .LBB73_23
; %bb.19:
	s_load_b64 s[0:1], s[0:1], 0x38
	s_waitcnt lgkmcnt(0)
	v_dual_add_f32 v0, v2, v4 :: v_dual_add_f32 v3, v3, v5
	v_cmp_eq_f32_e64 s3, s12, 0
	s_delay_alu instid0(VALU_DEP_2) | instskip(SKIP_1) | instid1(VALU_DEP_3)
	v_dual_mul_f32 v2, s16, v0 :: v_dual_mul_f32 v3, s16, v3
	v_lshlrev_b32_e32 v0, 1, v1
	s_and_b32 vcc_lo, exec_lo, s3
	s_cbranch_vccz .LBB73_21
; %bb.20:
	s_delay_alu instid0(VALU_DEP_1) | instskip(SKIP_1) | instid1(VALU_DEP_1)
	v_ashrrev_i32_e32 v1, 31, v0
	s_mov_b32 s2, 0
	v_lshlrev_b64 v[4:5], 2, v[0:1]
	s_delay_alu instid0(VALU_DEP_1) | instskip(NEXT) | instid1(VALU_DEP_2)
	v_add_co_u32 v4, vcc_lo, s0, v4
	v_add_co_ci_u32_e32 v5, vcc_lo, s1, v5, vcc_lo
	global_store_b64 v[4:5], v[2:3], off
.LBB73_21:
	s_and_not1_b32 vcc_lo, exec_lo, s2
	s_cbranch_vccnz .LBB73_23
; %bb.22:
	v_ashrrev_i32_e32 v1, 31, v0
	s_delay_alu instid0(VALU_DEP_1) | instskip(NEXT) | instid1(VALU_DEP_1)
	v_lshlrev_b64 v[0:1], 2, v[0:1]
	v_add_co_u32 v0, vcc_lo, s0, v0
	s_delay_alu instid0(VALU_DEP_2)
	v_add_co_ci_u32_e32 v1, vcc_lo, s1, v1, vcc_lo
	global_load_b64 v[4:5], v[0:1], off
	s_waitcnt vmcnt(0)
	v_dual_fmac_f32 v2, s12, v4 :: v_dual_fmac_f32 v3, s12, v5
	global_store_b64 v[0:1], v[2:3], off
.LBB73_23:
	s_nop 0
	s_sendmsg sendmsg(MSG_DEALLOC_VGPRS)
	s_endpgm
	.section	.rodata,"a",@progbits
	.p2align	6, 0x0
	.amdhsa_kernel _ZN9rocsparseL19gebsrmvn_2xn_kernelILj128ELj16ELj32EfEEvi20rocsparse_direction_NS_24const_host_device_scalarIT2_EEPKiS6_PKS3_S8_S4_PS3_21rocsparse_index_base_b
		.amdhsa_group_segment_fixed_size 0
		.amdhsa_private_segment_fixed_size 0
		.amdhsa_kernarg_size 72
		.amdhsa_user_sgpr_count 15
		.amdhsa_user_sgpr_dispatch_ptr 0
		.amdhsa_user_sgpr_queue_ptr 0
		.amdhsa_user_sgpr_kernarg_segment_ptr 1
		.amdhsa_user_sgpr_dispatch_id 0
		.amdhsa_user_sgpr_private_segment_size 0
		.amdhsa_wavefront_size32 1
		.amdhsa_uses_dynamic_stack 0
		.amdhsa_enable_private_segment 0
		.amdhsa_system_sgpr_workgroup_id_x 1
		.amdhsa_system_sgpr_workgroup_id_y 0
		.amdhsa_system_sgpr_workgroup_id_z 0
		.amdhsa_system_sgpr_workgroup_info 0
		.amdhsa_system_vgpr_workitem_id 0
		.amdhsa_next_free_vgpr 58
		.amdhsa_next_free_sgpr 20
		.amdhsa_reserve_vcc 1
		.amdhsa_float_round_mode_32 0
		.amdhsa_float_round_mode_16_64 0
		.amdhsa_float_denorm_mode_32 3
		.amdhsa_float_denorm_mode_16_64 3
		.amdhsa_dx10_clamp 1
		.amdhsa_ieee_mode 1
		.amdhsa_fp16_overflow 0
		.amdhsa_workgroup_processor_mode 1
		.amdhsa_memory_ordered 1
		.amdhsa_forward_progress 0
		.amdhsa_shared_vgpr_count 0
		.amdhsa_exception_fp_ieee_invalid_op 0
		.amdhsa_exception_fp_denorm_src 0
		.amdhsa_exception_fp_ieee_div_zero 0
		.amdhsa_exception_fp_ieee_overflow 0
		.amdhsa_exception_fp_ieee_underflow 0
		.amdhsa_exception_fp_ieee_inexact 0
		.amdhsa_exception_int_div_zero 0
	.end_amdhsa_kernel
	.section	.text._ZN9rocsparseL19gebsrmvn_2xn_kernelILj128ELj16ELj32EfEEvi20rocsparse_direction_NS_24const_host_device_scalarIT2_EEPKiS6_PKS3_S8_S4_PS3_21rocsparse_index_base_b,"axG",@progbits,_ZN9rocsparseL19gebsrmvn_2xn_kernelILj128ELj16ELj32EfEEvi20rocsparse_direction_NS_24const_host_device_scalarIT2_EEPKiS6_PKS3_S8_S4_PS3_21rocsparse_index_base_b,comdat
.Lfunc_end73:
	.size	_ZN9rocsparseL19gebsrmvn_2xn_kernelILj128ELj16ELj32EfEEvi20rocsparse_direction_NS_24const_host_device_scalarIT2_EEPKiS6_PKS3_S8_S4_PS3_21rocsparse_index_base_b, .Lfunc_end73-_ZN9rocsparseL19gebsrmvn_2xn_kernelILj128ELj16ELj32EfEEvi20rocsparse_direction_NS_24const_host_device_scalarIT2_EEPKiS6_PKS3_S8_S4_PS3_21rocsparse_index_base_b
                                        ; -- End function
	.section	.AMDGPU.csdata,"",@progbits
; Kernel info:
; codeLenInByte = 1696
; NumSgprs: 22
; NumVgprs: 58
; ScratchSize: 0
; MemoryBound: 0
; FloatMode: 240
; IeeeMode: 1
; LDSByteSize: 0 bytes/workgroup (compile time only)
; SGPRBlocks: 2
; VGPRBlocks: 7
; NumSGPRsForWavesPerEU: 22
; NumVGPRsForWavesPerEU: 58
; Occupancy: 16
; WaveLimiterHint : 1
; COMPUTE_PGM_RSRC2:SCRATCH_EN: 0
; COMPUTE_PGM_RSRC2:USER_SGPR: 15
; COMPUTE_PGM_RSRC2:TRAP_HANDLER: 0
; COMPUTE_PGM_RSRC2:TGID_X_EN: 1
; COMPUTE_PGM_RSRC2:TGID_Y_EN: 0
; COMPUTE_PGM_RSRC2:TGID_Z_EN: 0
; COMPUTE_PGM_RSRC2:TIDIG_COMP_CNT: 0
	.section	.text._ZN9rocsparseL19gebsrmvn_2xn_kernelILj128ELj16ELj64EfEEvi20rocsparse_direction_NS_24const_host_device_scalarIT2_EEPKiS6_PKS3_S8_S4_PS3_21rocsparse_index_base_b,"axG",@progbits,_ZN9rocsparseL19gebsrmvn_2xn_kernelILj128ELj16ELj64EfEEvi20rocsparse_direction_NS_24const_host_device_scalarIT2_EEPKiS6_PKS3_S8_S4_PS3_21rocsparse_index_base_b,comdat
	.globl	_ZN9rocsparseL19gebsrmvn_2xn_kernelILj128ELj16ELj64EfEEvi20rocsparse_direction_NS_24const_host_device_scalarIT2_EEPKiS6_PKS3_S8_S4_PS3_21rocsparse_index_base_b ; -- Begin function _ZN9rocsparseL19gebsrmvn_2xn_kernelILj128ELj16ELj64EfEEvi20rocsparse_direction_NS_24const_host_device_scalarIT2_EEPKiS6_PKS3_S8_S4_PS3_21rocsparse_index_base_b
	.p2align	8
	.type	_ZN9rocsparseL19gebsrmvn_2xn_kernelILj128ELj16ELj64EfEEvi20rocsparse_direction_NS_24const_host_device_scalarIT2_EEPKiS6_PKS3_S8_S4_PS3_21rocsparse_index_base_b,@function
_ZN9rocsparseL19gebsrmvn_2xn_kernelILj128ELj16ELj64EfEEvi20rocsparse_direction_NS_24const_host_device_scalarIT2_EEPKiS6_PKS3_S8_S4_PS3_21rocsparse_index_base_b: ; @_ZN9rocsparseL19gebsrmvn_2xn_kernelILj128ELj16ELj64EfEEvi20rocsparse_direction_NS_24const_host_device_scalarIT2_EEPKiS6_PKS3_S8_S4_PS3_21rocsparse_index_base_b
; %bb.0:
	s_clause 0x2
	s_load_b64 s[18:19], s[0:1], 0x40
	s_load_b64 s[16:17], s[0:1], 0x8
	;; [unrolled: 1-line block ×3, first 2 shown]
	s_waitcnt lgkmcnt(0)
	s_bitcmp1_b32 s19, 0
	s_cselect_b32 s2, -1, 0
	s_delay_alu instid0(SALU_CYCLE_1)
	s_and_b32 vcc_lo, exec_lo, s2
	s_xor_b32 s2, s2, -1
	s_cbranch_vccnz .LBB74_2
; %bb.1:
	s_load_b32 s16, s[16:17], 0x0
.LBB74_2:
	s_and_not1_b32 vcc_lo, exec_lo, s2
	s_cbranch_vccnz .LBB74_4
; %bb.3:
	s_load_b32 s12, s[12:13], 0x0
.LBB74_4:
	s_waitcnt lgkmcnt(0)
	v_cmp_eq_f32_e64 s2, s16, 0
	v_cmp_eq_f32_e64 s3, s12, 1.0
	s_delay_alu instid0(VALU_DEP_1) | instskip(NEXT) | instid1(SALU_CYCLE_1)
	s_and_b32 s2, s2, s3
	s_and_b32 vcc_lo, exec_lo, s2
	s_cbranch_vccnz .LBB74_23
; %bb.5:
	s_load_b64 s[2:3], s[0:1], 0x0
	v_lshrrev_b32_e32 v1, 6, v0
	s_delay_alu instid0(VALU_DEP_1) | instskip(SKIP_1) | instid1(VALU_DEP_1)
	v_lshl_or_b32 v1, s15, 1, v1
	s_waitcnt lgkmcnt(0)
	v_cmp_gt_i32_e32 vcc_lo, s2, v1
	s_and_saveexec_b32 s2, vcc_lo
	s_cbranch_execz .LBB74_23
; %bb.6:
	s_load_b256 s[4:11], s[0:1], 0x10
	v_ashrrev_i32_e32 v2, 31, v1
	v_and_b32_e32 v0, 63, v0
	s_cmp_lg_u32 s3, 0
	s_delay_alu instid0(VALU_DEP_2) | instskip(SKIP_1) | instid1(VALU_DEP_1)
	v_lshlrev_b64 v[2:3], 2, v[1:2]
	s_waitcnt lgkmcnt(0)
	v_add_co_u32 v2, vcc_lo, s4, v2
	s_delay_alu instid0(VALU_DEP_2) | instskip(SKIP_4) | instid1(VALU_DEP_2)
	v_add_co_ci_u32_e32 v3, vcc_lo, s5, v3, vcc_lo
	global_load_b64 v[2:3], v[2:3], off
	s_waitcnt vmcnt(0)
	v_subrev_nc_u32_e32 v2, s18, v2
	v_subrev_nc_u32_e32 v9, s18, v3
	v_add_nc_u32_e32 v2, v2, v0
	s_delay_alu instid0(VALU_DEP_1)
	v_cmp_lt_i32_e64 s2, v2, v9
	s_cbranch_scc0 .LBB74_12
; %bb.7:
	v_dual_mov_b32 v7, 0 :: v_dual_mov_b32 v8, 0
	s_mov_b32 s3, 0
	s_delay_alu instid0(VALU_DEP_2)
	s_and_saveexec_b32 s4, s2
	s_cbranch_execz .LBB74_11
; %bb.8:
	v_dual_mov_b32 v4, 0 :: v_dual_lshlrev_b32 v3, 5, v2
	v_mov_b32_e32 v5, v2
	s_mov_b32 s5, 0
	s_delay_alu instid0(VALU_DEP_2)
	v_mov_b32_e32 v8, v4
	v_mov_b32_e32 v7, v4
.LBB74_9:                               ; =>This Inner Loop Header: Depth=1
	s_delay_alu instid0(VALU_DEP_3) | instskip(NEXT) | instid1(VALU_DEP_1)
	v_ashrrev_i32_e32 v6, 31, v5
	v_lshlrev_b64 v[10:11], 2, v[5:6]
	s_delay_alu instid0(VALU_DEP_1) | instskip(NEXT) | instid1(VALU_DEP_2)
	v_add_co_u32 v10, vcc_lo, s6, v10
	v_add_co_ci_u32_e32 v11, vcc_lo, s7, v11, vcc_lo
	global_load_b32 v6, v[10:11], off
	v_lshlrev_b64 v[10:11], 2, v[3:4]
	v_add_nc_u32_e32 v3, 0x800, v3
	s_delay_alu instid0(VALU_DEP_2) | instskip(NEXT) | instid1(VALU_DEP_3)
	v_add_co_u32 v54, vcc_lo, s8, v10
	v_add_co_ci_u32_e32 v55, vcc_lo, s9, v11, vcc_lo
	s_waitcnt vmcnt(0)
	v_subrev_nc_u32_e32 v6, s18, v6
	s_delay_alu instid0(VALU_DEP_1) | instskip(NEXT) | instid1(VALU_DEP_1)
	v_dual_mov_b32 v13, v4 :: v_dual_lshlrev_b32 v12, 4, v6
	v_lshlrev_b64 v[12:13], 2, v[12:13]
	s_delay_alu instid0(VALU_DEP_1) | instskip(NEXT) | instid1(VALU_DEP_2)
	v_add_co_u32 v46, vcc_lo, s10, v12
	v_add_co_ci_u32_e32 v47, vcc_lo, s11, v13, vcc_lo
	s_clause 0x1
	global_load_b128 v[10:13], v[54:55], off offset:16
	global_load_b128 v[14:17], v[54:55], off
	s_clause 0x1
	global_load_b128 v[18:21], v[46:47], off
	global_load_b128 v[22:25], v[46:47], off offset:16
	s_clause 0x3
	global_load_b128 v[26:29], v[54:55], off offset:32
	global_load_b128 v[30:33], v[54:55], off offset:48
	;; [unrolled: 1-line block ×4, first 2 shown]
	s_clause 0x1
	global_load_b128 v[42:45], v[46:47], off offset:32
	global_load_b128 v[46:49], v[46:47], off offset:48
	s_clause 0x1
	global_load_b128 v[50:53], v[54:55], off offset:96
	global_load_b128 v[54:57], v[54:55], off offset:112
	s_waitcnt vmcnt(9)
	v_fmac_f32_e32 v8, v15, v18
	s_delay_alu instid0(VALU_DEP_1) | instskip(NEXT) | instid1(VALU_DEP_1)
	v_dual_fmac_f32 v7, v14, v18 :: v_dual_fmac_f32 v8, v17, v19
	v_dual_fmac_f32 v7, v16, v19 :: v_dual_fmac_f32 v8, v11, v20
	s_delay_alu instid0(VALU_DEP_1) | instskip(SKIP_1) | instid1(VALU_DEP_1)
	v_dual_fmac_f32 v7, v10, v20 :: v_dual_fmac_f32 v8, v13, v21
	s_waitcnt vmcnt(7)
	v_dual_fmac_f32 v7, v12, v21 :: v_dual_fmac_f32 v8, v27, v22
	s_delay_alu instid0(VALU_DEP_1) | instskip(SKIP_1) | instid1(VALU_DEP_1)
	v_dual_fmac_f32 v7, v26, v22 :: v_dual_fmac_f32 v8, v29, v23
	s_waitcnt vmcnt(6)
	;; [unrolled: 4-line block ×3, first 2 shown]
	v_dual_fmac_f32 v7, v32, v25 :: v_dual_fmac_f32 v8, v39, v42
	s_delay_alu instid0(VALU_DEP_1) | instskip(NEXT) | instid1(VALU_DEP_1)
	v_dual_fmac_f32 v7, v38, v42 :: v_dual_fmac_f32 v8, v41, v43
	v_dual_fmac_f32 v7, v40, v43 :: v_dual_fmac_f32 v8, v35, v44
	s_delay_alu instid0(VALU_DEP_1) | instskip(SKIP_1) | instid1(VALU_DEP_1)
	v_dual_fmac_f32 v7, v34, v44 :: v_dual_fmac_f32 v8, v37, v45
	s_waitcnt vmcnt(1)
	v_dual_fmac_f32 v7, v36, v45 :: v_dual_fmac_f32 v8, v51, v46
	s_delay_alu instid0(VALU_DEP_1) | instskip(NEXT) | instid1(VALU_DEP_1)
	v_dual_fmac_f32 v7, v50, v46 :: v_dual_fmac_f32 v8, v53, v47
	v_fmac_f32_e32 v7, v52, v47
	s_waitcnt vmcnt(0)
	s_delay_alu instid0(VALU_DEP_2) | instskip(NEXT) | instid1(VALU_DEP_2)
	v_dual_fmac_f32 v8, v55, v48 :: v_dual_add_nc_u32 v5, 64, v5
	v_fmac_f32_e32 v7, v54, v48
	s_delay_alu instid0(VALU_DEP_2) | instskip(NEXT) | instid1(VALU_DEP_3)
	v_cmp_ge_i32_e32 vcc_lo, v5, v9
	v_fmac_f32_e32 v8, v57, v49
	s_delay_alu instid0(VALU_DEP_3) | instskip(SKIP_1) | instid1(SALU_CYCLE_1)
	v_fmac_f32_e32 v7, v56, v49
	s_or_b32 s5, vcc_lo, s5
	s_and_not1_b32 exec_lo, exec_lo, s5
	s_cbranch_execnz .LBB74_9
; %bb.10:
	s_or_b32 exec_lo, exec_lo, s5
.LBB74_11:
	s_delay_alu instid0(SALU_CYCLE_1) | instskip(NEXT) | instid1(SALU_CYCLE_1)
	s_or_b32 exec_lo, exec_lo, s4
	s_and_not1_b32 vcc_lo, exec_lo, s3
	s_cbranch_vccz .LBB74_13
	s_branch .LBB74_18
.LBB74_12:
                                        ; implicit-def: $vgpr7
                                        ; implicit-def: $vgpr8
.LBB74_13:
	v_dual_mov_b32 v7, 0 :: v_dual_mov_b32 v8, 0
	s_delay_alu instid0(VALU_DEP_2)
	s_and_saveexec_b32 s3, s2
	s_cbranch_execz .LBB74_17
; %bb.14:
	v_dual_mov_b32 v5, 0 :: v_dual_lshlrev_b32 v4, 5, v2
	s_mov_b32 s2, 0
	s_delay_alu instid0(VALU_DEP_1)
	v_mov_b32_e32 v7, v5
	v_mov_b32_e32 v8, v5
.LBB74_15:                              ; =>This Inner Loop Header: Depth=1
	v_ashrrev_i32_e32 v3, 31, v2
	s_delay_alu instid0(VALU_DEP_1) | instskip(NEXT) | instid1(VALU_DEP_1)
	v_lshlrev_b64 v[10:11], 2, v[2:3]
	v_add_co_u32 v10, vcc_lo, s6, v10
	s_delay_alu instid0(VALU_DEP_2) | instskip(SKIP_3) | instid1(VALU_DEP_2)
	v_add_co_ci_u32_e32 v11, vcc_lo, s7, v11, vcc_lo
	global_load_b32 v3, v[10:11], off
	v_lshlrev_b64 v[10:11], 2, v[4:5]
	v_add_nc_u32_e32 v4, 0x800, v4
	v_add_co_u32 v46, vcc_lo, s8, v10
	s_delay_alu instid0(VALU_DEP_3) | instskip(SKIP_2) | instid1(VALU_DEP_1)
	v_add_co_ci_u32_e32 v47, vcc_lo, s9, v11, vcc_lo
	s_waitcnt vmcnt(0)
	v_subrev_nc_u32_e32 v3, s18, v3
	v_dual_mov_b32 v13, v5 :: v_dual_lshlrev_b32 v12, 4, v3
	s_delay_alu instid0(VALU_DEP_1)
	v_lshlrev_b64 v[14:15], 2, v[12:13]
	global_load_b128 v[10:13], v[46:47], off offset:16
	v_add_co_u32 v54, vcc_lo, s10, v14
	v_add_co_ci_u32_e32 v55, vcc_lo, s11, v15, vcc_lo
	s_clause 0x2
	global_load_b128 v[14:17], v[46:47], off
	global_load_b128 v[18:21], v[46:47], off offset:80
	global_load_b128 v[22:25], v[46:47], off offset:64
	s_clause 0x1
	global_load_b128 v[26:29], v[54:55], off
	global_load_b128 v[30:33], v[54:55], off offset:16
	s_clause 0x3
	global_load_b128 v[34:37], v[46:47], off offset:48
	global_load_b128 v[38:41], v[46:47], off offset:32
	;; [unrolled: 1-line block ×4, first 2 shown]
	s_clause 0x1
	global_load_b128 v[50:53], v[54:55], off offset:32
	global_load_b128 v[54:57], v[54:55], off offset:48
	s_waitcnt vmcnt(7)
	v_fmac_f32_e32 v8, v22, v26
	s_delay_alu instid0(VALU_DEP_1) | instskip(NEXT) | instid1(VALU_DEP_1)
	v_dual_fmac_f32 v7, v14, v26 :: v_dual_fmac_f32 v8, v23, v27
	v_dual_fmac_f32 v7, v15, v27 :: v_dual_fmac_f32 v8, v24, v28
	s_delay_alu instid0(VALU_DEP_1) | instskip(SKIP_1) | instid1(VALU_DEP_1)
	v_dual_fmac_f32 v7, v16, v28 :: v_dual_fmac_f32 v8, v25, v29
	s_waitcnt vmcnt(6)
	v_dual_fmac_f32 v7, v17, v29 :: v_dual_fmac_f32 v8, v18, v30
	s_delay_alu instid0(VALU_DEP_1) | instskip(NEXT) | instid1(VALU_DEP_1)
	v_dual_fmac_f32 v7, v10, v30 :: v_dual_fmac_f32 v8, v19, v31
	v_dual_fmac_f32 v7, v11, v31 :: v_dual_fmac_f32 v8, v20, v32
	s_delay_alu instid0(VALU_DEP_1) | instskip(SKIP_1) | instid1(VALU_DEP_1)
	v_dual_fmac_f32 v7, v12, v32 :: v_dual_fmac_f32 v8, v21, v33
	s_waitcnt vmcnt(1)
	v_dual_fmac_f32 v7, v13, v33 :: v_dual_fmac_f32 v8, v46, v50
	;; [unrolled: 7-line block ×3, first 2 shown]
	s_delay_alu instid0(VALU_DEP_1) | instskip(NEXT) | instid1(VALU_DEP_1)
	v_dual_fmac_f32 v7, v34, v54 :: v_dual_fmac_f32 v8, v43, v55
	v_dual_fmac_f32 v7, v35, v55 :: v_dual_add_nc_u32 v2, 64, v2
	s_delay_alu instid0(VALU_DEP_1) | instskip(NEXT) | instid1(VALU_DEP_3)
	v_fmac_f32_e32 v7, v36, v56
	v_fmac_f32_e32 v8, v44, v56
	s_delay_alu instid0(VALU_DEP_3) | instskip(NEXT) | instid1(VALU_DEP_3)
	v_cmp_ge_i32_e32 vcc_lo, v2, v9
	v_fmac_f32_e32 v7, v37, v57
	s_delay_alu instid0(VALU_DEP_3) | instskip(SKIP_1) | instid1(SALU_CYCLE_1)
	v_fmac_f32_e32 v8, v45, v57
	s_or_b32 s2, vcc_lo, s2
	s_and_not1_b32 exec_lo, exec_lo, s2
	s_cbranch_execnz .LBB74_15
; %bb.16:
	s_or_b32 exec_lo, exec_lo, s2
.LBB74_17:
	s_delay_alu instid0(SALU_CYCLE_1)
	s_or_b32 exec_lo, exec_lo, s3
.LBB74_18:
	v_mbcnt_lo_u32_b32 v2, -1, 0
	s_mov_b32 s2, -1
	s_delay_alu instid0(VALU_DEP_1) | instskip(SKIP_1) | instid1(VALU_DEP_2)
	v_or_b32_e32 v3, 32, v2
	v_xor_b32_e32 v5, 16, v2
	v_cmp_gt_i32_e32 vcc_lo, 32, v3
	v_cndmask_b32_e32 v3, v2, v3, vcc_lo
	s_delay_alu instid0(VALU_DEP_3) | instskip(NEXT) | instid1(VALU_DEP_2)
	v_cmp_gt_i32_e32 vcc_lo, 32, v5
	v_lshlrev_b32_e32 v3, 2, v3
	v_cndmask_b32_e32 v5, v2, v5, vcc_lo
	ds_bpermute_b32 v4, v3, v7
	s_waitcnt lgkmcnt(0)
	v_dual_add_f32 v4, v7, v4 :: v_dual_lshlrev_b32 v5, 2, v5
	v_xor_b32_e32 v7, 8, v2
	ds_bpermute_b32 v6, v5, v4
	v_cmp_gt_i32_e32 vcc_lo, 32, v7
	s_waitcnt lgkmcnt(0)
	v_add_f32_e32 v4, v4, v6
	ds_bpermute_b32 v3, v3, v8
	v_cndmask_b32_e32 v7, v2, v7, vcc_lo
	s_delay_alu instid0(VALU_DEP_1)
	v_lshlrev_b32_e32 v7, 2, v7
	s_waitcnt lgkmcnt(0)
	v_add_f32_e32 v3, v8, v3
	ds_bpermute_b32 v5, v5, v3
	s_waitcnt lgkmcnt(0)
	v_add_f32_e32 v3, v3, v5
	ds_bpermute_b32 v5, v7, v4
	ds_bpermute_b32 v6, v7, v3
	v_xor_b32_e32 v7, 4, v2
	s_delay_alu instid0(VALU_DEP_1) | instskip(SKIP_2) | instid1(VALU_DEP_1)
	v_cmp_gt_i32_e32 vcc_lo, 32, v7
	v_cndmask_b32_e32 v7, v2, v7, vcc_lo
	s_waitcnt lgkmcnt(1)
	v_dual_add_f32 v4, v4, v5 :: v_dual_lshlrev_b32 v7, 2, v7
	s_waitcnt lgkmcnt(0)
	v_add_f32_e32 v3, v3, v6
	ds_bpermute_b32 v5, v7, v4
	ds_bpermute_b32 v6, v7, v3
	v_xor_b32_e32 v7, 2, v2
	s_delay_alu instid0(VALU_DEP_1) | instskip(SKIP_2) | instid1(VALU_DEP_1)
	v_cmp_gt_i32_e32 vcc_lo, 32, v7
	v_cndmask_b32_e32 v7, v2, v7, vcc_lo
	s_waitcnt lgkmcnt(1)
	v_dual_add_f32 v4, v4, v5 :: v_dual_lshlrev_b32 v7, 2, v7
	s_waitcnt lgkmcnt(0)
	v_add_f32_e32 v3, v3, v6
	ds_bpermute_b32 v5, v7, v4
	ds_bpermute_b32 v6, v7, v3
	v_xor_b32_e32 v7, 1, v2
	s_delay_alu instid0(VALU_DEP_1) | instskip(SKIP_3) | instid1(VALU_DEP_2)
	v_cmp_gt_i32_e32 vcc_lo, 32, v7
	v_cndmask_b32_e32 v2, v2, v7, vcc_lo
	v_cmp_eq_u32_e32 vcc_lo, 63, v0
	s_waitcnt lgkmcnt(1)
	v_dual_add_f32 v2, v4, v5 :: v_dual_lshlrev_b32 v7, 2, v2
	s_waitcnt lgkmcnt(0)
	v_add_f32_e32 v3, v3, v6
	ds_bpermute_b32 v4, v7, v2
	ds_bpermute_b32 v5, v7, v3
	s_and_b32 exec_lo, exec_lo, vcc_lo
	s_cbranch_execz .LBB74_23
; %bb.19:
	s_load_b64 s[0:1], s[0:1], 0x38
	s_waitcnt lgkmcnt(0)
	v_dual_add_f32 v0, v2, v4 :: v_dual_add_f32 v3, v3, v5
	v_cmp_eq_f32_e64 s3, s12, 0
	s_delay_alu instid0(VALU_DEP_2) | instskip(SKIP_1) | instid1(VALU_DEP_3)
	v_dual_mul_f32 v2, s16, v0 :: v_dual_mul_f32 v3, s16, v3
	v_lshlrev_b32_e32 v0, 1, v1
	s_and_b32 vcc_lo, exec_lo, s3
	s_cbranch_vccz .LBB74_21
; %bb.20:
	s_delay_alu instid0(VALU_DEP_1) | instskip(SKIP_1) | instid1(VALU_DEP_1)
	v_ashrrev_i32_e32 v1, 31, v0
	s_mov_b32 s2, 0
	v_lshlrev_b64 v[4:5], 2, v[0:1]
	s_delay_alu instid0(VALU_DEP_1) | instskip(NEXT) | instid1(VALU_DEP_2)
	v_add_co_u32 v4, vcc_lo, s0, v4
	v_add_co_ci_u32_e32 v5, vcc_lo, s1, v5, vcc_lo
	global_store_b64 v[4:5], v[2:3], off
.LBB74_21:
	s_and_not1_b32 vcc_lo, exec_lo, s2
	s_cbranch_vccnz .LBB74_23
; %bb.22:
	v_ashrrev_i32_e32 v1, 31, v0
	s_delay_alu instid0(VALU_DEP_1) | instskip(NEXT) | instid1(VALU_DEP_1)
	v_lshlrev_b64 v[0:1], 2, v[0:1]
	v_add_co_u32 v0, vcc_lo, s0, v0
	s_delay_alu instid0(VALU_DEP_2)
	v_add_co_ci_u32_e32 v1, vcc_lo, s1, v1, vcc_lo
	global_load_b64 v[4:5], v[0:1], off
	s_waitcnt vmcnt(0)
	v_dual_fmac_f32 v2, s12, v4 :: v_dual_fmac_f32 v3, s12, v5
	global_store_b64 v[0:1], v[2:3], off
.LBB74_23:
	s_nop 0
	s_sendmsg sendmsg(MSG_DEALLOC_VGPRS)
	s_endpgm
	.section	.rodata,"a",@progbits
	.p2align	6, 0x0
	.amdhsa_kernel _ZN9rocsparseL19gebsrmvn_2xn_kernelILj128ELj16ELj64EfEEvi20rocsparse_direction_NS_24const_host_device_scalarIT2_EEPKiS6_PKS3_S8_S4_PS3_21rocsparse_index_base_b
		.amdhsa_group_segment_fixed_size 0
		.amdhsa_private_segment_fixed_size 0
		.amdhsa_kernarg_size 72
		.amdhsa_user_sgpr_count 15
		.amdhsa_user_sgpr_dispatch_ptr 0
		.amdhsa_user_sgpr_queue_ptr 0
		.amdhsa_user_sgpr_kernarg_segment_ptr 1
		.amdhsa_user_sgpr_dispatch_id 0
		.amdhsa_user_sgpr_private_segment_size 0
		.amdhsa_wavefront_size32 1
		.amdhsa_uses_dynamic_stack 0
		.amdhsa_enable_private_segment 0
		.amdhsa_system_sgpr_workgroup_id_x 1
		.amdhsa_system_sgpr_workgroup_id_y 0
		.amdhsa_system_sgpr_workgroup_id_z 0
		.amdhsa_system_sgpr_workgroup_info 0
		.amdhsa_system_vgpr_workitem_id 0
		.amdhsa_next_free_vgpr 58
		.amdhsa_next_free_sgpr 20
		.amdhsa_reserve_vcc 1
		.amdhsa_float_round_mode_32 0
		.amdhsa_float_round_mode_16_64 0
		.amdhsa_float_denorm_mode_32 3
		.amdhsa_float_denorm_mode_16_64 3
		.amdhsa_dx10_clamp 1
		.amdhsa_ieee_mode 1
		.amdhsa_fp16_overflow 0
		.amdhsa_workgroup_processor_mode 1
		.amdhsa_memory_ordered 1
		.amdhsa_forward_progress 0
		.amdhsa_shared_vgpr_count 0
		.amdhsa_exception_fp_ieee_invalid_op 0
		.amdhsa_exception_fp_denorm_src 0
		.amdhsa_exception_fp_ieee_div_zero 0
		.amdhsa_exception_fp_ieee_overflow 0
		.amdhsa_exception_fp_ieee_underflow 0
		.amdhsa_exception_fp_ieee_inexact 0
		.amdhsa_exception_int_div_zero 0
	.end_amdhsa_kernel
	.section	.text._ZN9rocsparseL19gebsrmvn_2xn_kernelILj128ELj16ELj64EfEEvi20rocsparse_direction_NS_24const_host_device_scalarIT2_EEPKiS6_PKS3_S8_S4_PS3_21rocsparse_index_base_b,"axG",@progbits,_ZN9rocsparseL19gebsrmvn_2xn_kernelILj128ELj16ELj64EfEEvi20rocsparse_direction_NS_24const_host_device_scalarIT2_EEPKiS6_PKS3_S8_S4_PS3_21rocsparse_index_base_b,comdat
.Lfunc_end74:
	.size	_ZN9rocsparseL19gebsrmvn_2xn_kernelILj128ELj16ELj64EfEEvi20rocsparse_direction_NS_24const_host_device_scalarIT2_EEPKiS6_PKS3_S8_S4_PS3_21rocsparse_index_base_b, .Lfunc_end74-_ZN9rocsparseL19gebsrmvn_2xn_kernelILj128ELj16ELj64EfEEvi20rocsparse_direction_NS_24const_host_device_scalarIT2_EEPKiS6_PKS3_S8_S4_PS3_21rocsparse_index_base_b
                                        ; -- End function
	.section	.AMDGPU.csdata,"",@progbits
; Kernel info:
; codeLenInByte = 1748
; NumSgprs: 22
; NumVgprs: 58
; ScratchSize: 0
; MemoryBound: 0
; FloatMode: 240
; IeeeMode: 1
; LDSByteSize: 0 bytes/workgroup (compile time only)
; SGPRBlocks: 2
; VGPRBlocks: 7
; NumSGPRsForWavesPerEU: 22
; NumVGPRsForWavesPerEU: 58
; Occupancy: 16
; WaveLimiterHint : 1
; COMPUTE_PGM_RSRC2:SCRATCH_EN: 0
; COMPUTE_PGM_RSRC2:USER_SGPR: 15
; COMPUTE_PGM_RSRC2:TRAP_HANDLER: 0
; COMPUTE_PGM_RSRC2:TGID_X_EN: 1
; COMPUTE_PGM_RSRC2:TGID_Y_EN: 0
; COMPUTE_PGM_RSRC2:TGID_Z_EN: 0
; COMPUTE_PGM_RSRC2:TIDIG_COMP_CNT: 0
	.section	.text._ZN9rocsparseL23gebsrmvn_general_kernelILj32ELj32EfEEvi20rocsparse_direction_NS_24const_host_device_scalarIT1_EEPKiS6_PKS3_iiS8_S4_PS3_21rocsparse_index_base_b,"axG",@progbits,_ZN9rocsparseL23gebsrmvn_general_kernelILj32ELj32EfEEvi20rocsparse_direction_NS_24const_host_device_scalarIT1_EEPKiS6_PKS3_iiS8_S4_PS3_21rocsparse_index_base_b,comdat
	.globl	_ZN9rocsparseL23gebsrmvn_general_kernelILj32ELj32EfEEvi20rocsparse_direction_NS_24const_host_device_scalarIT1_EEPKiS6_PKS3_iiS8_S4_PS3_21rocsparse_index_base_b ; -- Begin function _ZN9rocsparseL23gebsrmvn_general_kernelILj32ELj32EfEEvi20rocsparse_direction_NS_24const_host_device_scalarIT1_EEPKiS6_PKS3_iiS8_S4_PS3_21rocsparse_index_base_b
	.p2align	8
	.type	_ZN9rocsparseL23gebsrmvn_general_kernelILj32ELj32EfEEvi20rocsparse_direction_NS_24const_host_device_scalarIT1_EEPKiS6_PKS3_iiS8_S4_PS3_21rocsparse_index_base_b,@function
_ZN9rocsparseL23gebsrmvn_general_kernelILj32ELj32EfEEvi20rocsparse_direction_NS_24const_host_device_scalarIT1_EEPKiS6_PKS3_iiS8_S4_PS3_21rocsparse_index_base_b: ; @_ZN9rocsparseL23gebsrmvn_general_kernelILj32ELj32EfEEvi20rocsparse_direction_NS_24const_host_device_scalarIT1_EEPKiS6_PKS3_iiS8_S4_PS3_21rocsparse_index_base_b
; %bb.0:
	s_clause 0x2
	s_load_b64 s[2:3], s[0:1], 0x48
	s_load_b64 s[8:9], s[0:1], 0x8
	;; [unrolled: 1-line block ×3, first 2 shown]
	s_mov_b32 s20, s15
	s_waitcnt lgkmcnt(0)
	s_bitcmp1_b32 s3, 0
	s_cselect_b32 s3, -1, 0
	s_delay_alu instid0(SALU_CYCLE_1)
	s_and_b32 vcc_lo, exec_lo, s3
	s_xor_b32 s3, s3, -1
	s_cbranch_vccnz .LBB75_2
; %bb.1:
	s_load_b32 s8, s[8:9], 0x0
.LBB75_2:
	s_and_not1_b32 vcc_lo, exec_lo, s3
	s_cbranch_vccnz .LBB75_4
; %bb.3:
	s_load_b32 s10, s[10:11], 0x0
.LBB75_4:
	s_waitcnt lgkmcnt(0)
	v_cmp_eq_f32_e64 s3, s8, 0
	v_cmp_eq_f32_e64 s4, s10, 1.0
	s_delay_alu instid0(VALU_DEP_1) | instskip(NEXT) | instid1(SALU_CYCLE_1)
	s_and_b32 s3, s3, s4
	s_and_b32 vcc_lo, exec_lo, s3
	s_cbranch_vccnz .LBB75_24
; %bb.5:
	s_load_b64 s[12:13], s[0:1], 0x28
	s_waitcnt lgkmcnt(0)
	s_cmp_gt_i32 s12, 0
	s_cselect_b32 s3, -1, 0
	s_delay_alu instid0(SALU_CYCLE_1)
	s_and_saveexec_b32 s4, s3
	s_cbranch_execz .LBB75_24
; %bb.6:
	s_clause 0x3
	s_load_b128 s[4:7], s[0:1], 0x10
	s_load_b64 s[14:15], s[0:1], 0x20
	s_load_b64 s[16:17], s[0:1], 0x30
	;; [unrolled: 1-line block ×3, first 2 shown]
	v_mbcnt_lo_u32_b32 v2, -1, 0
	s_ashr_i32 s21, s20, 31
	s_load_b32 s24, s[0:1], 0x4
	s_lshl_b64 s[22:23], s[20:21], 2
	v_cmp_gt_i32_e64 s0, s13, v0
	v_xor_b32_e32 v3, 16, v2
	v_xor_b32_e32 v4, 8, v2
	v_xor_b32_e32 v5, 4, v2
	v_xor_b32_e32 v6, 2, v2
	v_xor_b32_e32 v7, 1, v2
	v_cmp_gt_i32_e32 vcc_lo, 32, v3
	v_cmp_eq_u32_e64 s1, 31, v0
	v_cmp_eq_f32_e64 s9, s10, 0
	s_mov_b32 s3, 0
	s_mul_i32 s20, s20, s12
	v_cndmask_b32_e32 v3, v2, v3, vcc_lo
	s_waitcnt lgkmcnt(0)
	s_add_u32 s4, s4, s22
	s_addc_u32 s5, s5, s23
	v_cmp_gt_i32_e32 vcc_lo, 32, v4
	s_load_b64 s[4:5], s[4:5], 0x0
	v_dual_mov_b32 v1, 0 :: v_dual_cndmask_b32 v8, v2, v4
	v_cmp_gt_i32_e32 vcc_lo, 32, v5
	v_cndmask_b32_e32 v9, v2, v5, vcc_lo
	v_cmp_gt_i32_e32 vcc_lo, 32, v6
	s_delay_alu instid0(VALU_DEP_4) | instskip(SKIP_1) | instid1(VALU_DEP_4)
	v_dual_cndmask_b32 v10, v2, v6 :: v_dual_lshlrev_b32 v5, 2, v8
	v_cmp_gt_i32_e32 vcc_lo, 32, v7
	v_lshlrev_b32_e32 v6, 2, v9
	v_lshlrev_b32_e32 v4, 2, v3
	s_waitcnt lgkmcnt(0)
	s_sub_i32 s11, s4, s2
	s_sub_i32 s21, s5, s2
	v_dual_cndmask_b32 v2, v2, v7 :: v_dual_lshlrev_b32 v7, 2, v10
	s_mul_i32 s22, s12, s11
	s_cmp_lt_i32 s4, s5
	s_mul_i32 s4, s13, s22
	s_delay_alu instid0(VALU_DEP_1) | instid1(SALU_CYCLE_1)
	v_dual_mov_b32 v9, s4 :: v_dual_lshlrev_b32 v8, 2, v2
	s_cselect_b32 s22, -1, 0
	s_cmp_lg_u32 s24, 0
	s_mul_i32 s24, s13, s12
	s_cselect_b32 s23, -1, 0
	s_branch .LBB75_8
.LBB75_7:                               ;   in Loop: Header=BB75_8 Depth=1
	s_or_b32 exec_lo, exec_lo, s4
	v_add_nc_u32_e32 v1, 1, v1
	v_add_nc_u32_e32 v9, s13, v9
	s_delay_alu instid0(VALU_DEP_2) | instskip(SKIP_1) | instid1(SALU_CYCLE_1)
	v_cmp_le_i32_e32 vcc_lo, s12, v1
	s_or_b32 s3, vcc_lo, s3
	s_and_not1_b32 exec_lo, exec_lo, s3
	s_cbranch_execz .LBB75_24
.LBB75_8:                               ; =>This Loop Header: Depth=1
                                        ;     Child Loop BB75_12 Depth 2
                                        ;       Child Loop BB75_15 Depth 3
	v_mov_b32_e32 v10, 0
	s_and_not1_b32 vcc_lo, exec_lo, s22
	s_cbranch_vccnz .LBB75_19
; %bb.9:                                ;   in Loop: Header=BB75_8 Depth=1
	v_dual_mov_b32 v10, 0 :: v_dual_mov_b32 v11, v9
	s_mov_b32 s4, s11
	s_branch .LBB75_12
.LBB75_10:                              ;   in Loop: Header=BB75_12 Depth=2
	s_set_inst_prefetch_distance 0x2
	s_or_b32 exec_lo, exec_lo, s26
.LBB75_11:                              ;   in Loop: Header=BB75_12 Depth=2
	s_delay_alu instid0(SALU_CYCLE_1) | instskip(SKIP_2) | instid1(SALU_CYCLE_1)
	s_or_b32 exec_lo, exec_lo, s25
	v_add_nc_u32_e32 v11, s24, v11
	s_add_i32 s4, s4, 1
	s_cmp_ge_i32 s4, s21
	s_cbranch_scc1 .LBB75_19
.LBB75_12:                              ;   Parent Loop BB75_8 Depth=1
                                        ; =>  This Loop Header: Depth=2
                                        ;       Child Loop BB75_15 Depth 3
	s_and_saveexec_b32 s25, s0
	s_cbranch_execz .LBB75_11
; %bb.13:                               ;   in Loop: Header=BB75_12 Depth=2
	s_ashr_i32 s5, s4, 31
	v_mov_b32_e32 v12, v0
	s_lshl_b64 s[26:27], s[4:5], 2
	s_delay_alu instid0(SALU_CYCLE_1)
	s_add_u32 s26, s6, s26
	s_addc_u32 s27, s7, s27
	s_load_b32 s5, s[26:27], 0x0
	s_mov_b32 s26, 0
	s_waitcnt lgkmcnt(0)
	s_sub_i32 s27, s5, s2
	s_mul_i32 s5, s4, s13
	s_mul_i32 s27, s27, s13
	s_set_inst_prefetch_distance 0x1
	s_branch .LBB75_15
	.p2align	6
.LBB75_14:                              ;   in Loop: Header=BB75_15 Depth=3
	v_add_nc_u32_e32 v13, s27, v12
	s_delay_alu instid0(VALU_DEP_2) | instskip(SKIP_1) | instid1(VALU_DEP_3)
	v_ashrrev_i32_e32 v3, 31, v2
	v_add_nc_u32_e32 v12, 32, v12
	v_ashrrev_i32_e32 v14, 31, v13
	s_delay_alu instid0(VALU_DEP_3) | instskip(NEXT) | instid1(VALU_DEP_2)
	v_lshlrev_b64 v[2:3], 2, v[2:3]
	v_lshlrev_b64 v[13:14], 2, v[13:14]
	s_delay_alu instid0(VALU_DEP_2) | instskip(NEXT) | instid1(VALU_DEP_3)
	v_add_co_u32 v2, vcc_lo, s14, v2
	v_add_co_ci_u32_e32 v3, vcc_lo, s15, v3, vcc_lo
	s_delay_alu instid0(VALU_DEP_3) | instskip(NEXT) | instid1(VALU_DEP_4)
	v_add_co_u32 v13, vcc_lo, s16, v13
	v_add_co_ci_u32_e32 v14, vcc_lo, s17, v14, vcc_lo
	v_cmp_le_i32_e32 vcc_lo, s13, v12
	global_load_b32 v2, v[2:3], off
	global_load_b32 v3, v[13:14], off
	s_or_b32 s26, vcc_lo, s26
	s_waitcnt vmcnt(0)
	v_fmac_f32_e32 v10, v2, v3
	s_and_not1_b32 exec_lo, exec_lo, s26
	s_cbranch_execz .LBB75_10
.LBB75_15:                              ;   Parent Loop BB75_8 Depth=1
                                        ;     Parent Loop BB75_12 Depth=2
                                        ; =>    This Inner Loop Header: Depth=3
	s_and_b32 vcc_lo, exec_lo, s23
	s_cbranch_vccz .LBB75_17
; %bb.16:                               ;   in Loop: Header=BB75_15 Depth=3
	v_add_nc_u32_e32 v13, s5, v12
	s_delay_alu instid0(VALU_DEP_1)
	v_mad_u64_u32 v[2:3], null, v13, s12, v[1:2]
	s_cbranch_execnz .LBB75_14
	s_branch .LBB75_18
	.p2align	6
.LBB75_17:                              ;   in Loop: Header=BB75_15 Depth=3
                                        ; implicit-def: $vgpr2
.LBB75_18:                              ;   in Loop: Header=BB75_15 Depth=3
	v_add_nc_u32_e32 v2, v11, v12
	s_branch .LBB75_14
.LBB75_19:                              ;   in Loop: Header=BB75_8 Depth=1
	ds_bpermute_b32 v2, v4, v10
	s_waitcnt lgkmcnt(0)
	v_add_f32_e32 v2, v10, v2
	ds_bpermute_b32 v3, v5, v2
	s_waitcnt lgkmcnt(0)
	v_add_f32_e32 v2, v2, v3
	;; [unrolled: 3-line block ×4, first 2 shown]
	ds_bpermute_b32 v3, v8, v2
	s_and_saveexec_b32 s4, s1
	s_cbranch_execz .LBB75_7
; %bb.20:                               ;   in Loop: Header=BB75_8 Depth=1
	s_waitcnt lgkmcnt(0)
	v_dual_add_f32 v3, v2, v3 :: v_dual_add_nc_u32 v2, s20, v1
	s_and_b32 vcc_lo, exec_lo, s9
	s_delay_alu instid0(VALU_DEP_1) | instskip(NEXT) | instid1(VALU_DEP_2)
	v_mul_f32_e32 v10, s8, v3
	v_ashrrev_i32_e32 v3, 31, v2
	s_cbranch_vccz .LBB75_22
; %bb.21:                               ;   in Loop: Header=BB75_8 Depth=1
	s_delay_alu instid0(VALU_DEP_1) | instskip(NEXT) | instid1(VALU_DEP_1)
	v_lshlrev_b64 v[11:12], 2, v[2:3]
	v_add_co_u32 v11, vcc_lo, s18, v11
	s_delay_alu instid0(VALU_DEP_2)
	v_add_co_ci_u32_e32 v12, vcc_lo, s19, v12, vcc_lo
	global_store_b32 v[11:12], v10, off
	s_cbranch_execnz .LBB75_7
	s_branch .LBB75_23
.LBB75_22:                              ;   in Loop: Header=BB75_8 Depth=1
.LBB75_23:                              ;   in Loop: Header=BB75_8 Depth=1
	s_delay_alu instid0(VALU_DEP_1) | instskip(NEXT) | instid1(VALU_DEP_1)
	v_lshlrev_b64 v[2:3], 2, v[2:3]
	v_add_co_u32 v2, vcc_lo, s18, v2
	s_delay_alu instid0(VALU_DEP_2)
	v_add_co_ci_u32_e32 v3, vcc_lo, s19, v3, vcc_lo
	global_load_b32 v11, v[2:3], off
	s_waitcnt vmcnt(0)
	v_fmac_f32_e32 v10, s10, v11
	global_store_b32 v[2:3], v10, off
	s_branch .LBB75_7
.LBB75_24:
	s_nop 0
	s_sendmsg sendmsg(MSG_DEALLOC_VGPRS)
	s_endpgm
	.section	.rodata,"a",@progbits
	.p2align	6, 0x0
	.amdhsa_kernel _ZN9rocsparseL23gebsrmvn_general_kernelILj32ELj32EfEEvi20rocsparse_direction_NS_24const_host_device_scalarIT1_EEPKiS6_PKS3_iiS8_S4_PS3_21rocsparse_index_base_b
		.amdhsa_group_segment_fixed_size 0
		.amdhsa_private_segment_fixed_size 0
		.amdhsa_kernarg_size 80
		.amdhsa_user_sgpr_count 15
		.amdhsa_user_sgpr_dispatch_ptr 0
		.amdhsa_user_sgpr_queue_ptr 0
		.amdhsa_user_sgpr_kernarg_segment_ptr 1
		.amdhsa_user_sgpr_dispatch_id 0
		.amdhsa_user_sgpr_private_segment_size 0
		.amdhsa_wavefront_size32 1
		.amdhsa_uses_dynamic_stack 0
		.amdhsa_enable_private_segment 0
		.amdhsa_system_sgpr_workgroup_id_x 1
		.amdhsa_system_sgpr_workgroup_id_y 0
		.amdhsa_system_sgpr_workgroup_id_z 0
		.amdhsa_system_sgpr_workgroup_info 0
		.amdhsa_system_vgpr_workitem_id 0
		.amdhsa_next_free_vgpr 15
		.amdhsa_next_free_sgpr 28
		.amdhsa_reserve_vcc 1
		.amdhsa_float_round_mode_32 0
		.amdhsa_float_round_mode_16_64 0
		.amdhsa_float_denorm_mode_32 3
		.amdhsa_float_denorm_mode_16_64 3
		.amdhsa_dx10_clamp 1
		.amdhsa_ieee_mode 1
		.amdhsa_fp16_overflow 0
		.amdhsa_workgroup_processor_mode 1
		.amdhsa_memory_ordered 1
		.amdhsa_forward_progress 0
		.amdhsa_shared_vgpr_count 0
		.amdhsa_exception_fp_ieee_invalid_op 0
		.amdhsa_exception_fp_denorm_src 0
		.amdhsa_exception_fp_ieee_div_zero 0
		.amdhsa_exception_fp_ieee_overflow 0
		.amdhsa_exception_fp_ieee_underflow 0
		.amdhsa_exception_fp_ieee_inexact 0
		.amdhsa_exception_int_div_zero 0
	.end_amdhsa_kernel
	.section	.text._ZN9rocsparseL23gebsrmvn_general_kernelILj32ELj32EfEEvi20rocsparse_direction_NS_24const_host_device_scalarIT1_EEPKiS6_PKS3_iiS8_S4_PS3_21rocsparse_index_base_b,"axG",@progbits,_ZN9rocsparseL23gebsrmvn_general_kernelILj32ELj32EfEEvi20rocsparse_direction_NS_24const_host_device_scalarIT1_EEPKiS6_PKS3_iiS8_S4_PS3_21rocsparse_index_base_b,comdat
.Lfunc_end75:
	.size	_ZN9rocsparseL23gebsrmvn_general_kernelILj32ELj32EfEEvi20rocsparse_direction_NS_24const_host_device_scalarIT1_EEPKiS6_PKS3_iiS8_S4_PS3_21rocsparse_index_base_b, .Lfunc_end75-_ZN9rocsparseL23gebsrmvn_general_kernelILj32ELj32EfEEvi20rocsparse_direction_NS_24const_host_device_scalarIT1_EEPKiS6_PKS3_iiS8_S4_PS3_21rocsparse_index_base_b
                                        ; -- End function
	.section	.AMDGPU.csdata,"",@progbits
; Kernel info:
; codeLenInByte = 940
; NumSgprs: 30
; NumVgprs: 15
; ScratchSize: 0
; MemoryBound: 0
; FloatMode: 240
; IeeeMode: 1
; LDSByteSize: 0 bytes/workgroup (compile time only)
; SGPRBlocks: 3
; VGPRBlocks: 1
; NumSGPRsForWavesPerEU: 30
; NumVGPRsForWavesPerEU: 15
; Occupancy: 16
; WaveLimiterHint : 1
; COMPUTE_PGM_RSRC2:SCRATCH_EN: 0
; COMPUTE_PGM_RSRC2:USER_SGPR: 15
; COMPUTE_PGM_RSRC2:TRAP_HANDLER: 0
; COMPUTE_PGM_RSRC2:TGID_X_EN: 1
; COMPUTE_PGM_RSRC2:TGID_Y_EN: 0
; COMPUTE_PGM_RSRC2:TGID_Z_EN: 0
; COMPUTE_PGM_RSRC2:TIDIG_COMP_CNT: 0
	.section	.text._ZN9rocsparseL19gebsrmvn_2xn_kernelILj128ELj1ELj4EdEEvi20rocsparse_direction_NS_24const_host_device_scalarIT2_EEPKiS6_PKS3_S8_S4_PS3_21rocsparse_index_base_b,"axG",@progbits,_ZN9rocsparseL19gebsrmvn_2xn_kernelILj128ELj1ELj4EdEEvi20rocsparse_direction_NS_24const_host_device_scalarIT2_EEPKiS6_PKS3_S8_S4_PS3_21rocsparse_index_base_b,comdat
	.globl	_ZN9rocsparseL19gebsrmvn_2xn_kernelILj128ELj1ELj4EdEEvi20rocsparse_direction_NS_24const_host_device_scalarIT2_EEPKiS6_PKS3_S8_S4_PS3_21rocsparse_index_base_b ; -- Begin function _ZN9rocsparseL19gebsrmvn_2xn_kernelILj128ELj1ELj4EdEEvi20rocsparse_direction_NS_24const_host_device_scalarIT2_EEPKiS6_PKS3_S8_S4_PS3_21rocsparse_index_base_b
	.p2align	8
	.type	_ZN9rocsparseL19gebsrmvn_2xn_kernelILj128ELj1ELj4EdEEvi20rocsparse_direction_NS_24const_host_device_scalarIT2_EEPKiS6_PKS3_S8_S4_PS3_21rocsparse_index_base_b,@function
_ZN9rocsparseL19gebsrmvn_2xn_kernelILj128ELj1ELj4EdEEvi20rocsparse_direction_NS_24const_host_device_scalarIT2_EEPKiS6_PKS3_S8_S4_PS3_21rocsparse_index_base_b: ; @_ZN9rocsparseL19gebsrmvn_2xn_kernelILj128ELj1ELj4EdEEvi20rocsparse_direction_NS_24const_host_device_scalarIT2_EEPKiS6_PKS3_S8_S4_PS3_21rocsparse_index_base_b
; %bb.0:
	s_clause 0x2
	s_load_b64 s[12:13], s[0:1], 0x40
	s_load_b64 s[4:5], s[0:1], 0x8
	;; [unrolled: 1-line block ×3, first 2 shown]
	s_waitcnt lgkmcnt(0)
	s_bitcmp1_b32 s13, 0
	v_dual_mov_b32 v1, s4 :: v_dual_mov_b32 v2, s5
	s_cselect_b32 s6, -1, 0
	s_delay_alu instid0(SALU_CYCLE_1)
	s_and_b32 vcc_lo, exec_lo, s6
	s_xor_b32 s6, s6, -1
	s_cbranch_vccnz .LBB76_2
; %bb.1:
	v_dual_mov_b32 v1, s4 :: v_dual_mov_b32 v2, s5
	flat_load_b64 v[1:2], v[1:2]
.LBB76_2:
	v_dual_mov_b32 v4, s3 :: v_dual_mov_b32 v3, s2
	s_and_not1_b32 vcc_lo, exec_lo, s6
	s_cbranch_vccnz .LBB76_4
; %bb.3:
	v_dual_mov_b32 v4, s3 :: v_dual_mov_b32 v3, s2
	flat_load_b64 v[3:4], v[3:4]
.LBB76_4:
	s_waitcnt vmcnt(0) lgkmcnt(0)
	v_cmp_neq_f64_e32 vcc_lo, 0, v[1:2]
	v_cmp_neq_f64_e64 s2, 1.0, v[3:4]
	s_delay_alu instid0(VALU_DEP_1) | instskip(NEXT) | instid1(SALU_CYCLE_1)
	s_or_b32 s2, vcc_lo, s2
	s_and_saveexec_b32 s3, s2
	s_cbranch_execz .LBB76_23
; %bb.5:
	s_load_b64 s[2:3], s[0:1], 0x0
	v_lshrrev_b32_e32 v5, 2, v0
	s_delay_alu instid0(VALU_DEP_1) | instskip(SKIP_1) | instid1(VALU_DEP_1)
	v_lshl_or_b32 v5, s15, 5, v5
	s_waitcnt lgkmcnt(0)
	v_cmp_gt_i32_e32 vcc_lo, s2, v5
	s_and_b32 exec_lo, exec_lo, vcc_lo
	s_cbranch_execz .LBB76_23
; %bb.6:
	s_load_b256 s[4:11], s[0:1], 0x10
	v_ashrrev_i32_e32 v6, 31, v5
	v_and_b32_e32 v0, 3, v0
	s_cmp_lg_u32 s3, 0
	s_delay_alu instid0(VALU_DEP_2) | instskip(SKIP_1) | instid1(VALU_DEP_1)
	v_lshlrev_b64 v[6:7], 2, v[5:6]
	s_waitcnt lgkmcnt(0)
	v_add_co_u32 v6, vcc_lo, s4, v6
	s_delay_alu instid0(VALU_DEP_2) | instskip(SKIP_4) | instid1(VALU_DEP_2)
	v_add_co_ci_u32_e32 v7, vcc_lo, s5, v7, vcc_lo
	global_load_b64 v[6:7], v[6:7], off
	s_waitcnt vmcnt(0)
	v_subrev_nc_u32_e32 v6, s12, v6
	v_subrev_nc_u32_e32 v15, s12, v7
	v_add_nc_u32_e32 v10, v6, v0
	s_delay_alu instid0(VALU_DEP_1)
	v_cmp_lt_i32_e64 s2, v10, v15
	s_cbranch_scc0 .LBB76_12
; %bb.7:
	v_mov_b32_e32 v6, 0
	v_mov_b32_e32 v7, 0
	s_delay_alu instid0(VALU_DEP_1)
	v_dual_mov_b32 v9, v7 :: v_dual_mov_b32 v8, v6
	s_and_saveexec_b32 s3, s2
	s_cbranch_execz .LBB76_11
; %bb.8:
	v_dual_mov_b32 v6, 0 :: v_dual_lshlrev_b32 v11, 1, v10
	v_dual_mov_b32 v7, 0 :: v_dual_mov_b32 v12, 0
	v_mov_b32_e32 v13, v10
	s_mov_b32 s4, 0
	s_delay_alu instid0(VALU_DEP_2)
	v_dual_mov_b32 v9, v7 :: v_dual_mov_b32 v8, v6
	s_set_inst_prefetch_distance 0x1
	.p2align	6
.LBB76_9:                               ; =>This Inner Loop Header: Depth=1
	s_delay_alu instid0(VALU_DEP_2) | instskip(SKIP_1) | instid1(VALU_DEP_2)
	v_ashrrev_i32_e32 v14, 31, v13
	v_mov_b32_e32 v19, v12
	v_lshlrev_b64 v[16:17], 2, v[13:14]
	v_add_nc_u32_e32 v13, 4, v13
	s_delay_alu instid0(VALU_DEP_2) | instskip(NEXT) | instid1(VALU_DEP_3)
	v_add_co_u32 v16, vcc_lo, s6, v16
	v_add_co_ci_u32_e32 v17, vcc_lo, s7, v17, vcc_lo
	global_load_b32 v14, v[16:17], off
	v_lshlrev_b64 v[16:17], 3, v[11:12]
	v_add_nc_u32_e32 v11, 8, v11
	s_delay_alu instid0(VALU_DEP_2) | instskip(NEXT) | instid1(VALU_DEP_3)
	v_add_co_u32 v16, vcc_lo, s8, v16
	v_add_co_ci_u32_e32 v17, vcc_lo, s9, v17, vcc_lo
	s_waitcnt vmcnt(0)
	v_subrev_nc_u32_e32 v18, s12, v14
	s_delay_alu instid0(VALU_DEP_1) | instskip(NEXT) | instid1(VALU_DEP_1)
	v_lshlrev_b64 v[18:19], 3, v[18:19]
	v_add_co_u32 v20, vcc_lo, s10, v18
	s_delay_alu instid0(VALU_DEP_2)
	v_add_co_ci_u32_e32 v21, vcc_lo, s11, v19, vcc_lo
	v_cmp_ge_i32_e32 vcc_lo, v13, v15
	global_load_b128 v[16:19], v[16:17], off
	global_load_b64 v[20:21], v[20:21], off
	s_or_b32 s4, vcc_lo, s4
	s_waitcnt vmcnt(0)
	v_fma_f64 v[6:7], v[16:17], v[20:21], v[6:7]
	v_fma_f64 v[8:9], v[18:19], v[20:21], v[8:9]
	s_and_not1_b32 exec_lo, exec_lo, s4
	s_cbranch_execnz .LBB76_9
; %bb.10:
	s_set_inst_prefetch_distance 0x2
	s_or_b32 exec_lo, exec_lo, s4
.LBB76_11:
	s_delay_alu instid0(SALU_CYCLE_1)
	s_or_b32 exec_lo, exec_lo, s3
	s_cbranch_execz .LBB76_13
	s_branch .LBB76_18
.LBB76_12:
                                        ; implicit-def: $vgpr6_vgpr7
                                        ; implicit-def: $vgpr8_vgpr9
.LBB76_13:
	v_mov_b32_e32 v6, 0
	v_mov_b32_e32 v7, 0
	s_delay_alu instid0(VALU_DEP_1)
	v_dual_mov_b32 v9, v7 :: v_dual_mov_b32 v8, v6
	s_and_saveexec_b32 s3, s2
	s_cbranch_execz .LBB76_17
; %bb.14:
	v_dual_mov_b32 v6, 0 :: v_dual_mov_b32 v13, 0
	v_dual_mov_b32 v7, 0 :: v_dual_lshlrev_b32 v12, 1, v10
	s_mov_b32 s2, 0
	s_delay_alu instid0(VALU_DEP_1)
	v_dual_mov_b32 v9, v7 :: v_dual_mov_b32 v8, v6
	s_set_inst_prefetch_distance 0x1
	.p2align	6
.LBB76_15:                              ; =>This Inner Loop Header: Depth=1
	v_ashrrev_i32_e32 v11, 31, v10
	v_mov_b32_e32 v19, v13
	s_delay_alu instid0(VALU_DEP_2) | instskip(SKIP_1) | instid1(VALU_DEP_2)
	v_lshlrev_b64 v[16:17], 2, v[10:11]
	v_add_nc_u32_e32 v10, 4, v10
	v_add_co_u32 v16, vcc_lo, s6, v16
	s_delay_alu instid0(VALU_DEP_3) | instskip(SKIP_3) | instid1(VALU_DEP_2)
	v_add_co_ci_u32_e32 v17, vcc_lo, s7, v17, vcc_lo
	global_load_b32 v11, v[16:17], off
	v_lshlrev_b64 v[16:17], 3, v[12:13]
	v_add_nc_u32_e32 v12, 8, v12
	v_add_co_u32 v16, vcc_lo, s8, v16
	s_delay_alu instid0(VALU_DEP_3) | instskip(SKIP_2) | instid1(VALU_DEP_1)
	v_add_co_ci_u32_e32 v17, vcc_lo, s9, v17, vcc_lo
	s_waitcnt vmcnt(0)
	v_subrev_nc_u32_e32 v18, s12, v11
	v_lshlrev_b64 v[18:19], 3, v[18:19]
	s_delay_alu instid0(VALU_DEP_1) | instskip(NEXT) | instid1(VALU_DEP_2)
	v_add_co_u32 v20, vcc_lo, s10, v18
	v_add_co_ci_u32_e32 v21, vcc_lo, s11, v19, vcc_lo
	v_cmp_ge_i32_e32 vcc_lo, v10, v15
	global_load_b128 v[16:19], v[16:17], off
	global_load_b64 v[20:21], v[20:21], off
	s_or_b32 s2, vcc_lo, s2
	s_waitcnt vmcnt(0)
	v_fma_f64 v[6:7], v[16:17], v[20:21], v[6:7]
	v_fma_f64 v[8:9], v[18:19], v[20:21], v[8:9]
	s_and_not1_b32 exec_lo, exec_lo, s2
	s_cbranch_execnz .LBB76_15
; %bb.16:
	s_set_inst_prefetch_distance 0x2
	s_or_b32 exec_lo, exec_lo, s2
.LBB76_17:
	s_delay_alu instid0(SALU_CYCLE_1)
	s_or_b32 exec_lo, exec_lo, s3
.LBB76_18:
	v_mbcnt_lo_u32_b32 v14, -1, 0
	s_delay_alu instid0(VALU_DEP_1) | instskip(NEXT) | instid1(VALU_DEP_1)
	v_xor_b32_e32 v10, 2, v14
	v_cmp_gt_i32_e32 vcc_lo, 32, v10
	v_cndmask_b32_e32 v10, v14, v10, vcc_lo
	s_delay_alu instid0(VALU_DEP_1)
	v_lshlrev_b32_e32 v13, 2, v10
	ds_bpermute_b32 v10, v13, v6
	ds_bpermute_b32 v11, v13, v7
	;; [unrolled: 1-line block ×4, first 2 shown]
	s_waitcnt lgkmcnt(2)
	v_add_f64 v[6:7], v[6:7], v[10:11]
	s_waitcnt lgkmcnt(0)
	v_add_f64 v[10:11], v[8:9], v[12:13]
	v_xor_b32_e32 v8, 1, v14
	s_delay_alu instid0(VALU_DEP_1) | instskip(SKIP_2) | instid1(VALU_DEP_2)
	v_cmp_gt_i32_e32 vcc_lo, 32, v8
	v_cndmask_b32_e32 v8, v14, v8, vcc_lo
	v_cmp_eq_u32_e32 vcc_lo, 3, v0
	v_lshlrev_b32_e32 v13, 2, v8
	ds_bpermute_b32 v8, v13, v6
	ds_bpermute_b32 v9, v13, v7
	;; [unrolled: 1-line block ×4, first 2 shown]
	s_and_b32 exec_lo, exec_lo, vcc_lo
	s_cbranch_execz .LBB76_23
; %bb.19:
	s_waitcnt lgkmcnt(2)
	v_add_f64 v[8:9], v[6:7], v[8:9]
	s_waitcnt lgkmcnt(0)
	v_add_f64 v[6:7], v[10:11], v[12:13]
	s_load_b64 s[0:1], s[0:1], 0x38
	s_mov_b32 s2, exec_lo
	v_cmpx_eq_f64_e32 0, v[3:4]
	s_xor_b32 s2, exec_lo, s2
	s_cbranch_execz .LBB76_21
; %bb.20:
	s_delay_alu instid0(VALU_DEP_3) | instskip(NEXT) | instid1(VALU_DEP_3)
	v_mul_f64 v[8:9], v[1:2], v[8:9]
	v_mul_f64 v[10:11], v[1:2], v[6:7]
	v_lshlrev_b32_e32 v0, 1, v5
                                        ; implicit-def: $vgpr5
                                        ; implicit-def: $vgpr3_vgpr4
                                        ; implicit-def: $vgpr6_vgpr7
	s_delay_alu instid0(VALU_DEP_1) | instskip(NEXT) | instid1(VALU_DEP_1)
	v_ashrrev_i32_e32 v1, 31, v0
	v_lshlrev_b64 v[0:1], 3, v[0:1]
	s_waitcnt lgkmcnt(0)
	s_delay_alu instid0(VALU_DEP_1) | instskip(NEXT) | instid1(VALU_DEP_2)
	v_add_co_u32 v0, vcc_lo, s0, v0
	v_add_co_ci_u32_e32 v1, vcc_lo, s1, v1, vcc_lo
	global_store_b128 v[0:1], v[8:11], off
                                        ; implicit-def: $vgpr1_vgpr2
                                        ; implicit-def: $vgpr8_vgpr9
.LBB76_21:
	s_and_not1_saveexec_b32 s2, s2
	s_cbranch_execz .LBB76_23
; %bb.22:
	v_lshlrev_b32_e32 v10, 1, v5
	s_delay_alu instid0(VALU_DEP_4) | instskip(NEXT) | instid1(VALU_DEP_4)
	v_mul_f64 v[8:9], v[1:2], v[8:9]
	v_mul_f64 v[5:6], v[1:2], v[6:7]
	s_delay_alu instid0(VALU_DEP_3) | instskip(NEXT) | instid1(VALU_DEP_1)
	v_ashrrev_i32_e32 v11, 31, v10
	v_lshlrev_b64 v[10:11], 3, v[10:11]
	s_waitcnt lgkmcnt(0)
	s_delay_alu instid0(VALU_DEP_1) | instskip(NEXT) | instid1(VALU_DEP_2)
	v_add_co_u32 v14, vcc_lo, s0, v10
	v_add_co_ci_u32_e32 v15, vcc_lo, s1, v11, vcc_lo
	global_load_b128 v[10:13], v[14:15], off
	s_waitcnt vmcnt(0)
	v_fma_f64 v[0:1], v[3:4], v[10:11], v[8:9]
	v_fma_f64 v[2:3], v[3:4], v[12:13], v[5:6]
	global_store_b128 v[14:15], v[0:3], off
.LBB76_23:
	s_nop 0
	s_sendmsg sendmsg(MSG_DEALLOC_VGPRS)
	s_endpgm
	.section	.rodata,"a",@progbits
	.p2align	6, 0x0
	.amdhsa_kernel _ZN9rocsparseL19gebsrmvn_2xn_kernelILj128ELj1ELj4EdEEvi20rocsparse_direction_NS_24const_host_device_scalarIT2_EEPKiS6_PKS3_S8_S4_PS3_21rocsparse_index_base_b
		.amdhsa_group_segment_fixed_size 0
		.amdhsa_private_segment_fixed_size 0
		.amdhsa_kernarg_size 72
		.amdhsa_user_sgpr_count 15
		.amdhsa_user_sgpr_dispatch_ptr 0
		.amdhsa_user_sgpr_queue_ptr 0
		.amdhsa_user_sgpr_kernarg_segment_ptr 1
		.amdhsa_user_sgpr_dispatch_id 0
		.amdhsa_user_sgpr_private_segment_size 0
		.amdhsa_wavefront_size32 1
		.amdhsa_uses_dynamic_stack 0
		.amdhsa_enable_private_segment 0
		.amdhsa_system_sgpr_workgroup_id_x 1
		.amdhsa_system_sgpr_workgroup_id_y 0
		.amdhsa_system_sgpr_workgroup_id_z 0
		.amdhsa_system_sgpr_workgroup_info 0
		.amdhsa_system_vgpr_workitem_id 0
		.amdhsa_next_free_vgpr 22
		.amdhsa_next_free_sgpr 16
		.amdhsa_reserve_vcc 1
		.amdhsa_float_round_mode_32 0
		.amdhsa_float_round_mode_16_64 0
		.amdhsa_float_denorm_mode_32 3
		.amdhsa_float_denorm_mode_16_64 3
		.amdhsa_dx10_clamp 1
		.amdhsa_ieee_mode 1
		.amdhsa_fp16_overflow 0
		.amdhsa_workgroup_processor_mode 1
		.amdhsa_memory_ordered 1
		.amdhsa_forward_progress 0
		.amdhsa_shared_vgpr_count 0
		.amdhsa_exception_fp_ieee_invalid_op 0
		.amdhsa_exception_fp_denorm_src 0
		.amdhsa_exception_fp_ieee_div_zero 0
		.amdhsa_exception_fp_ieee_overflow 0
		.amdhsa_exception_fp_ieee_underflow 0
		.amdhsa_exception_fp_ieee_inexact 0
		.amdhsa_exception_int_div_zero 0
	.end_amdhsa_kernel
	.section	.text._ZN9rocsparseL19gebsrmvn_2xn_kernelILj128ELj1ELj4EdEEvi20rocsparse_direction_NS_24const_host_device_scalarIT2_EEPKiS6_PKS3_S8_S4_PS3_21rocsparse_index_base_b,"axG",@progbits,_ZN9rocsparseL19gebsrmvn_2xn_kernelILj128ELj1ELj4EdEEvi20rocsparse_direction_NS_24const_host_device_scalarIT2_EEPKiS6_PKS3_S8_S4_PS3_21rocsparse_index_base_b,comdat
.Lfunc_end76:
	.size	_ZN9rocsparseL19gebsrmvn_2xn_kernelILj128ELj1ELj4EdEEvi20rocsparse_direction_NS_24const_host_device_scalarIT2_EEPKiS6_PKS3_S8_S4_PS3_21rocsparse_index_base_b, .Lfunc_end76-_ZN9rocsparseL19gebsrmvn_2xn_kernelILj128ELj1ELj4EdEEvi20rocsparse_direction_NS_24const_host_device_scalarIT2_EEPKiS6_PKS3_S8_S4_PS3_21rocsparse_index_base_b
                                        ; -- End function
	.section	.AMDGPU.csdata,"",@progbits
; Kernel info:
; codeLenInByte = 1156
; NumSgprs: 18
; NumVgprs: 22
; ScratchSize: 0
; MemoryBound: 0
; FloatMode: 240
; IeeeMode: 1
; LDSByteSize: 0 bytes/workgroup (compile time only)
; SGPRBlocks: 2
; VGPRBlocks: 2
; NumSGPRsForWavesPerEU: 18
; NumVGPRsForWavesPerEU: 22
; Occupancy: 16
; WaveLimiterHint : 1
; COMPUTE_PGM_RSRC2:SCRATCH_EN: 0
; COMPUTE_PGM_RSRC2:USER_SGPR: 15
; COMPUTE_PGM_RSRC2:TRAP_HANDLER: 0
; COMPUTE_PGM_RSRC2:TGID_X_EN: 1
; COMPUTE_PGM_RSRC2:TGID_Y_EN: 0
; COMPUTE_PGM_RSRC2:TGID_Z_EN: 0
; COMPUTE_PGM_RSRC2:TIDIG_COMP_CNT: 0
	.section	.text._ZN9rocsparseL19gebsrmvn_2xn_kernelILj128ELj1ELj8EdEEvi20rocsparse_direction_NS_24const_host_device_scalarIT2_EEPKiS6_PKS3_S8_S4_PS3_21rocsparse_index_base_b,"axG",@progbits,_ZN9rocsparseL19gebsrmvn_2xn_kernelILj128ELj1ELj8EdEEvi20rocsparse_direction_NS_24const_host_device_scalarIT2_EEPKiS6_PKS3_S8_S4_PS3_21rocsparse_index_base_b,comdat
	.globl	_ZN9rocsparseL19gebsrmvn_2xn_kernelILj128ELj1ELj8EdEEvi20rocsparse_direction_NS_24const_host_device_scalarIT2_EEPKiS6_PKS3_S8_S4_PS3_21rocsparse_index_base_b ; -- Begin function _ZN9rocsparseL19gebsrmvn_2xn_kernelILj128ELj1ELj8EdEEvi20rocsparse_direction_NS_24const_host_device_scalarIT2_EEPKiS6_PKS3_S8_S4_PS3_21rocsparse_index_base_b
	.p2align	8
	.type	_ZN9rocsparseL19gebsrmvn_2xn_kernelILj128ELj1ELj8EdEEvi20rocsparse_direction_NS_24const_host_device_scalarIT2_EEPKiS6_PKS3_S8_S4_PS3_21rocsparse_index_base_b,@function
_ZN9rocsparseL19gebsrmvn_2xn_kernelILj128ELj1ELj8EdEEvi20rocsparse_direction_NS_24const_host_device_scalarIT2_EEPKiS6_PKS3_S8_S4_PS3_21rocsparse_index_base_b: ; @_ZN9rocsparseL19gebsrmvn_2xn_kernelILj128ELj1ELj8EdEEvi20rocsparse_direction_NS_24const_host_device_scalarIT2_EEPKiS6_PKS3_S8_S4_PS3_21rocsparse_index_base_b
; %bb.0:
	s_clause 0x2
	s_load_b64 s[12:13], s[0:1], 0x40
	s_load_b64 s[4:5], s[0:1], 0x8
	s_load_b64 s[2:3], s[0:1], 0x30
	s_waitcnt lgkmcnt(0)
	s_bitcmp1_b32 s13, 0
	v_dual_mov_b32 v1, s4 :: v_dual_mov_b32 v2, s5
	s_cselect_b32 s6, -1, 0
	s_delay_alu instid0(SALU_CYCLE_1)
	s_and_b32 vcc_lo, exec_lo, s6
	s_xor_b32 s6, s6, -1
	s_cbranch_vccnz .LBB77_2
; %bb.1:
	v_dual_mov_b32 v1, s4 :: v_dual_mov_b32 v2, s5
	flat_load_b64 v[1:2], v[1:2]
.LBB77_2:
	v_dual_mov_b32 v4, s3 :: v_dual_mov_b32 v3, s2
	s_and_not1_b32 vcc_lo, exec_lo, s6
	s_cbranch_vccnz .LBB77_4
; %bb.3:
	v_dual_mov_b32 v4, s3 :: v_dual_mov_b32 v3, s2
	flat_load_b64 v[3:4], v[3:4]
.LBB77_4:
	s_waitcnt vmcnt(0) lgkmcnt(0)
	v_cmp_neq_f64_e32 vcc_lo, 0, v[1:2]
	v_cmp_neq_f64_e64 s2, 1.0, v[3:4]
	s_delay_alu instid0(VALU_DEP_1) | instskip(NEXT) | instid1(SALU_CYCLE_1)
	s_or_b32 s2, vcc_lo, s2
	s_and_saveexec_b32 s3, s2
	s_cbranch_execz .LBB77_23
; %bb.5:
	s_load_b64 s[2:3], s[0:1], 0x0
	v_lshrrev_b32_e32 v5, 3, v0
	s_delay_alu instid0(VALU_DEP_1) | instskip(SKIP_1) | instid1(VALU_DEP_1)
	v_lshl_or_b32 v5, s15, 4, v5
	s_waitcnt lgkmcnt(0)
	v_cmp_gt_i32_e32 vcc_lo, s2, v5
	s_and_b32 exec_lo, exec_lo, vcc_lo
	s_cbranch_execz .LBB77_23
; %bb.6:
	s_load_b256 s[4:11], s[0:1], 0x10
	v_ashrrev_i32_e32 v6, 31, v5
	v_and_b32_e32 v0, 7, v0
	s_cmp_lg_u32 s3, 0
	s_delay_alu instid0(VALU_DEP_2) | instskip(SKIP_1) | instid1(VALU_DEP_1)
	v_lshlrev_b64 v[6:7], 2, v[5:6]
	s_waitcnt lgkmcnt(0)
	v_add_co_u32 v6, vcc_lo, s4, v6
	s_delay_alu instid0(VALU_DEP_2) | instskip(SKIP_4) | instid1(VALU_DEP_2)
	v_add_co_ci_u32_e32 v7, vcc_lo, s5, v7, vcc_lo
	global_load_b64 v[6:7], v[6:7], off
	s_waitcnt vmcnt(0)
	v_subrev_nc_u32_e32 v6, s12, v6
	v_subrev_nc_u32_e32 v15, s12, v7
	v_add_nc_u32_e32 v10, v6, v0
	s_delay_alu instid0(VALU_DEP_1)
	v_cmp_lt_i32_e64 s2, v10, v15
	s_cbranch_scc0 .LBB77_12
; %bb.7:
	v_mov_b32_e32 v6, 0
	v_mov_b32_e32 v7, 0
	s_delay_alu instid0(VALU_DEP_1)
	v_dual_mov_b32 v9, v7 :: v_dual_mov_b32 v8, v6
	s_and_saveexec_b32 s3, s2
	s_cbranch_execz .LBB77_11
; %bb.8:
	v_dual_mov_b32 v6, 0 :: v_dual_lshlrev_b32 v11, 1, v10
	v_dual_mov_b32 v7, 0 :: v_dual_mov_b32 v12, 0
	v_mov_b32_e32 v13, v10
	s_mov_b32 s4, 0
	s_delay_alu instid0(VALU_DEP_2)
	v_dual_mov_b32 v9, v7 :: v_dual_mov_b32 v8, v6
	s_set_inst_prefetch_distance 0x1
	.p2align	6
.LBB77_9:                               ; =>This Inner Loop Header: Depth=1
	s_delay_alu instid0(VALU_DEP_2) | instskip(SKIP_1) | instid1(VALU_DEP_2)
	v_ashrrev_i32_e32 v14, 31, v13
	v_mov_b32_e32 v19, v12
	v_lshlrev_b64 v[16:17], 2, v[13:14]
	v_add_nc_u32_e32 v13, 8, v13
	s_delay_alu instid0(VALU_DEP_2) | instskip(NEXT) | instid1(VALU_DEP_3)
	v_add_co_u32 v16, vcc_lo, s6, v16
	v_add_co_ci_u32_e32 v17, vcc_lo, s7, v17, vcc_lo
	global_load_b32 v14, v[16:17], off
	v_lshlrev_b64 v[16:17], 3, v[11:12]
	v_add_nc_u32_e32 v11, 16, v11
	s_delay_alu instid0(VALU_DEP_2) | instskip(NEXT) | instid1(VALU_DEP_3)
	v_add_co_u32 v16, vcc_lo, s8, v16
	v_add_co_ci_u32_e32 v17, vcc_lo, s9, v17, vcc_lo
	s_waitcnt vmcnt(0)
	v_subrev_nc_u32_e32 v18, s12, v14
	s_delay_alu instid0(VALU_DEP_1) | instskip(NEXT) | instid1(VALU_DEP_1)
	v_lshlrev_b64 v[18:19], 3, v[18:19]
	v_add_co_u32 v20, vcc_lo, s10, v18
	s_delay_alu instid0(VALU_DEP_2)
	v_add_co_ci_u32_e32 v21, vcc_lo, s11, v19, vcc_lo
	v_cmp_ge_i32_e32 vcc_lo, v13, v15
	global_load_b128 v[16:19], v[16:17], off
	global_load_b64 v[20:21], v[20:21], off
	s_or_b32 s4, vcc_lo, s4
	s_waitcnt vmcnt(0)
	v_fma_f64 v[6:7], v[16:17], v[20:21], v[6:7]
	v_fma_f64 v[8:9], v[18:19], v[20:21], v[8:9]
	s_and_not1_b32 exec_lo, exec_lo, s4
	s_cbranch_execnz .LBB77_9
; %bb.10:
	s_set_inst_prefetch_distance 0x2
	s_or_b32 exec_lo, exec_lo, s4
.LBB77_11:
	s_delay_alu instid0(SALU_CYCLE_1)
	s_or_b32 exec_lo, exec_lo, s3
	s_cbranch_execz .LBB77_13
	s_branch .LBB77_18
.LBB77_12:
                                        ; implicit-def: $vgpr6_vgpr7
                                        ; implicit-def: $vgpr8_vgpr9
.LBB77_13:
	v_mov_b32_e32 v6, 0
	v_mov_b32_e32 v7, 0
	s_delay_alu instid0(VALU_DEP_1)
	v_dual_mov_b32 v9, v7 :: v_dual_mov_b32 v8, v6
	s_and_saveexec_b32 s3, s2
	s_cbranch_execz .LBB77_17
; %bb.14:
	v_dual_mov_b32 v6, 0 :: v_dual_mov_b32 v13, 0
	v_dual_mov_b32 v7, 0 :: v_dual_lshlrev_b32 v12, 1, v10
	s_mov_b32 s2, 0
	s_delay_alu instid0(VALU_DEP_1)
	v_dual_mov_b32 v9, v7 :: v_dual_mov_b32 v8, v6
	s_set_inst_prefetch_distance 0x1
	.p2align	6
.LBB77_15:                              ; =>This Inner Loop Header: Depth=1
	v_ashrrev_i32_e32 v11, 31, v10
	v_mov_b32_e32 v19, v13
	s_delay_alu instid0(VALU_DEP_2) | instskip(SKIP_1) | instid1(VALU_DEP_2)
	v_lshlrev_b64 v[16:17], 2, v[10:11]
	v_add_nc_u32_e32 v10, 8, v10
	v_add_co_u32 v16, vcc_lo, s6, v16
	s_delay_alu instid0(VALU_DEP_3) | instskip(SKIP_3) | instid1(VALU_DEP_2)
	v_add_co_ci_u32_e32 v17, vcc_lo, s7, v17, vcc_lo
	global_load_b32 v11, v[16:17], off
	v_lshlrev_b64 v[16:17], 3, v[12:13]
	v_add_nc_u32_e32 v12, 16, v12
	v_add_co_u32 v16, vcc_lo, s8, v16
	s_delay_alu instid0(VALU_DEP_3) | instskip(SKIP_2) | instid1(VALU_DEP_1)
	v_add_co_ci_u32_e32 v17, vcc_lo, s9, v17, vcc_lo
	s_waitcnt vmcnt(0)
	v_subrev_nc_u32_e32 v18, s12, v11
	v_lshlrev_b64 v[18:19], 3, v[18:19]
	s_delay_alu instid0(VALU_DEP_1) | instskip(NEXT) | instid1(VALU_DEP_2)
	v_add_co_u32 v20, vcc_lo, s10, v18
	v_add_co_ci_u32_e32 v21, vcc_lo, s11, v19, vcc_lo
	v_cmp_ge_i32_e32 vcc_lo, v10, v15
	global_load_b128 v[16:19], v[16:17], off
	global_load_b64 v[20:21], v[20:21], off
	s_or_b32 s2, vcc_lo, s2
	s_waitcnt vmcnt(0)
	v_fma_f64 v[6:7], v[16:17], v[20:21], v[6:7]
	v_fma_f64 v[8:9], v[18:19], v[20:21], v[8:9]
	s_and_not1_b32 exec_lo, exec_lo, s2
	s_cbranch_execnz .LBB77_15
; %bb.16:
	s_set_inst_prefetch_distance 0x2
	s_or_b32 exec_lo, exec_lo, s2
.LBB77_17:
	s_delay_alu instid0(SALU_CYCLE_1)
	s_or_b32 exec_lo, exec_lo, s3
.LBB77_18:
	v_mbcnt_lo_u32_b32 v14, -1, 0
	s_delay_alu instid0(VALU_DEP_1) | instskip(NEXT) | instid1(VALU_DEP_1)
	v_xor_b32_e32 v10, 4, v14
	v_cmp_gt_i32_e32 vcc_lo, 32, v10
	v_cndmask_b32_e32 v10, v14, v10, vcc_lo
	s_delay_alu instid0(VALU_DEP_1)
	v_lshlrev_b32_e32 v13, 2, v10
	ds_bpermute_b32 v10, v13, v6
	ds_bpermute_b32 v11, v13, v7
	;; [unrolled: 1-line block ×4, first 2 shown]
	s_waitcnt lgkmcnt(2)
	v_add_f64 v[6:7], v[6:7], v[10:11]
	v_xor_b32_e32 v10, 2, v14
	s_waitcnt lgkmcnt(0)
	v_add_f64 v[8:9], v[8:9], v[12:13]
	s_delay_alu instid0(VALU_DEP_2) | instskip(SKIP_1) | instid1(VALU_DEP_1)
	v_cmp_gt_i32_e32 vcc_lo, 32, v10
	v_cndmask_b32_e32 v10, v14, v10, vcc_lo
	v_lshlrev_b32_e32 v13, 2, v10
	ds_bpermute_b32 v10, v13, v6
	ds_bpermute_b32 v11, v13, v7
	;; [unrolled: 1-line block ×4, first 2 shown]
	s_waitcnt lgkmcnt(2)
	v_add_f64 v[6:7], v[6:7], v[10:11]
	s_waitcnt lgkmcnt(0)
	v_add_f64 v[10:11], v[8:9], v[12:13]
	v_xor_b32_e32 v8, 1, v14
	s_delay_alu instid0(VALU_DEP_1) | instskip(SKIP_2) | instid1(VALU_DEP_2)
	v_cmp_gt_i32_e32 vcc_lo, 32, v8
	v_cndmask_b32_e32 v8, v14, v8, vcc_lo
	v_cmp_eq_u32_e32 vcc_lo, 7, v0
	v_lshlrev_b32_e32 v13, 2, v8
	ds_bpermute_b32 v8, v13, v6
	ds_bpermute_b32 v9, v13, v7
	;; [unrolled: 1-line block ×4, first 2 shown]
	s_and_b32 exec_lo, exec_lo, vcc_lo
	s_cbranch_execz .LBB77_23
; %bb.19:
	s_waitcnt lgkmcnt(2)
	v_add_f64 v[8:9], v[6:7], v[8:9]
	s_waitcnt lgkmcnt(0)
	v_add_f64 v[6:7], v[10:11], v[12:13]
	s_load_b64 s[0:1], s[0:1], 0x38
	s_mov_b32 s2, exec_lo
	v_cmpx_eq_f64_e32 0, v[3:4]
	s_xor_b32 s2, exec_lo, s2
	s_cbranch_execz .LBB77_21
; %bb.20:
	s_delay_alu instid0(VALU_DEP_3) | instskip(NEXT) | instid1(VALU_DEP_3)
	v_mul_f64 v[8:9], v[1:2], v[8:9]
	v_mul_f64 v[10:11], v[1:2], v[6:7]
	v_lshlrev_b32_e32 v0, 1, v5
                                        ; implicit-def: $vgpr5
                                        ; implicit-def: $vgpr3_vgpr4
                                        ; implicit-def: $vgpr6_vgpr7
	s_delay_alu instid0(VALU_DEP_1) | instskip(NEXT) | instid1(VALU_DEP_1)
	v_ashrrev_i32_e32 v1, 31, v0
	v_lshlrev_b64 v[0:1], 3, v[0:1]
	s_waitcnt lgkmcnt(0)
	s_delay_alu instid0(VALU_DEP_1) | instskip(NEXT) | instid1(VALU_DEP_2)
	v_add_co_u32 v0, vcc_lo, s0, v0
	v_add_co_ci_u32_e32 v1, vcc_lo, s1, v1, vcc_lo
	global_store_b128 v[0:1], v[8:11], off
                                        ; implicit-def: $vgpr1_vgpr2
                                        ; implicit-def: $vgpr8_vgpr9
.LBB77_21:
	s_and_not1_saveexec_b32 s2, s2
	s_cbranch_execz .LBB77_23
; %bb.22:
	v_lshlrev_b32_e32 v10, 1, v5
	s_delay_alu instid0(VALU_DEP_4) | instskip(NEXT) | instid1(VALU_DEP_4)
	v_mul_f64 v[8:9], v[1:2], v[8:9]
	v_mul_f64 v[5:6], v[1:2], v[6:7]
	s_delay_alu instid0(VALU_DEP_3) | instskip(NEXT) | instid1(VALU_DEP_1)
	v_ashrrev_i32_e32 v11, 31, v10
	v_lshlrev_b64 v[10:11], 3, v[10:11]
	s_waitcnt lgkmcnt(0)
	s_delay_alu instid0(VALU_DEP_1) | instskip(NEXT) | instid1(VALU_DEP_2)
	v_add_co_u32 v14, vcc_lo, s0, v10
	v_add_co_ci_u32_e32 v15, vcc_lo, s1, v11, vcc_lo
	global_load_b128 v[10:13], v[14:15], off
	s_waitcnt vmcnt(0)
	v_fma_f64 v[0:1], v[3:4], v[10:11], v[8:9]
	v_fma_f64 v[2:3], v[3:4], v[12:13], v[5:6]
	global_store_b128 v[14:15], v[0:3], off
.LBB77_23:
	s_nop 0
	s_sendmsg sendmsg(MSG_DEALLOC_VGPRS)
	s_endpgm
	.section	.rodata,"a",@progbits
	.p2align	6, 0x0
	.amdhsa_kernel _ZN9rocsparseL19gebsrmvn_2xn_kernelILj128ELj1ELj8EdEEvi20rocsparse_direction_NS_24const_host_device_scalarIT2_EEPKiS6_PKS3_S8_S4_PS3_21rocsparse_index_base_b
		.amdhsa_group_segment_fixed_size 0
		.amdhsa_private_segment_fixed_size 0
		.amdhsa_kernarg_size 72
		.amdhsa_user_sgpr_count 15
		.amdhsa_user_sgpr_dispatch_ptr 0
		.amdhsa_user_sgpr_queue_ptr 0
		.amdhsa_user_sgpr_kernarg_segment_ptr 1
		.amdhsa_user_sgpr_dispatch_id 0
		.amdhsa_user_sgpr_private_segment_size 0
		.amdhsa_wavefront_size32 1
		.amdhsa_uses_dynamic_stack 0
		.amdhsa_enable_private_segment 0
		.amdhsa_system_sgpr_workgroup_id_x 1
		.amdhsa_system_sgpr_workgroup_id_y 0
		.amdhsa_system_sgpr_workgroup_id_z 0
		.amdhsa_system_sgpr_workgroup_info 0
		.amdhsa_system_vgpr_workitem_id 0
		.amdhsa_next_free_vgpr 22
		.amdhsa_next_free_sgpr 16
		.amdhsa_reserve_vcc 1
		.amdhsa_float_round_mode_32 0
		.amdhsa_float_round_mode_16_64 0
		.amdhsa_float_denorm_mode_32 3
		.amdhsa_float_denorm_mode_16_64 3
		.amdhsa_dx10_clamp 1
		.amdhsa_ieee_mode 1
		.amdhsa_fp16_overflow 0
		.amdhsa_workgroup_processor_mode 1
		.amdhsa_memory_ordered 1
		.amdhsa_forward_progress 0
		.amdhsa_shared_vgpr_count 0
		.amdhsa_exception_fp_ieee_invalid_op 0
		.amdhsa_exception_fp_denorm_src 0
		.amdhsa_exception_fp_ieee_div_zero 0
		.amdhsa_exception_fp_ieee_overflow 0
		.amdhsa_exception_fp_ieee_underflow 0
		.amdhsa_exception_fp_ieee_inexact 0
		.amdhsa_exception_int_div_zero 0
	.end_amdhsa_kernel
	.section	.text._ZN9rocsparseL19gebsrmvn_2xn_kernelILj128ELj1ELj8EdEEvi20rocsparse_direction_NS_24const_host_device_scalarIT2_EEPKiS6_PKS3_S8_S4_PS3_21rocsparse_index_base_b,"axG",@progbits,_ZN9rocsparseL19gebsrmvn_2xn_kernelILj128ELj1ELj8EdEEvi20rocsparse_direction_NS_24const_host_device_scalarIT2_EEPKiS6_PKS3_S8_S4_PS3_21rocsparse_index_base_b,comdat
.Lfunc_end77:
	.size	_ZN9rocsparseL19gebsrmvn_2xn_kernelILj128ELj1ELj8EdEEvi20rocsparse_direction_NS_24const_host_device_scalarIT2_EEPKiS6_PKS3_S8_S4_PS3_21rocsparse_index_base_b, .Lfunc_end77-_ZN9rocsparseL19gebsrmvn_2xn_kernelILj128ELj1ELj8EdEEvi20rocsparse_direction_NS_24const_host_device_scalarIT2_EEPKiS6_PKS3_S8_S4_PS3_21rocsparse_index_base_b
                                        ; -- End function
	.section	.AMDGPU.csdata,"",@progbits
; Kernel info:
; codeLenInByte = 1232
; NumSgprs: 18
; NumVgprs: 22
; ScratchSize: 0
; MemoryBound: 0
; FloatMode: 240
; IeeeMode: 1
; LDSByteSize: 0 bytes/workgroup (compile time only)
; SGPRBlocks: 2
; VGPRBlocks: 2
; NumSGPRsForWavesPerEU: 18
; NumVGPRsForWavesPerEU: 22
; Occupancy: 16
; WaveLimiterHint : 1
; COMPUTE_PGM_RSRC2:SCRATCH_EN: 0
; COMPUTE_PGM_RSRC2:USER_SGPR: 15
; COMPUTE_PGM_RSRC2:TRAP_HANDLER: 0
; COMPUTE_PGM_RSRC2:TGID_X_EN: 1
; COMPUTE_PGM_RSRC2:TGID_Y_EN: 0
; COMPUTE_PGM_RSRC2:TGID_Z_EN: 0
; COMPUTE_PGM_RSRC2:TIDIG_COMP_CNT: 0
	.section	.text._ZN9rocsparseL19gebsrmvn_2xn_kernelILj128ELj1ELj16EdEEvi20rocsparse_direction_NS_24const_host_device_scalarIT2_EEPKiS6_PKS3_S8_S4_PS3_21rocsparse_index_base_b,"axG",@progbits,_ZN9rocsparseL19gebsrmvn_2xn_kernelILj128ELj1ELj16EdEEvi20rocsparse_direction_NS_24const_host_device_scalarIT2_EEPKiS6_PKS3_S8_S4_PS3_21rocsparse_index_base_b,comdat
	.globl	_ZN9rocsparseL19gebsrmvn_2xn_kernelILj128ELj1ELj16EdEEvi20rocsparse_direction_NS_24const_host_device_scalarIT2_EEPKiS6_PKS3_S8_S4_PS3_21rocsparse_index_base_b ; -- Begin function _ZN9rocsparseL19gebsrmvn_2xn_kernelILj128ELj1ELj16EdEEvi20rocsparse_direction_NS_24const_host_device_scalarIT2_EEPKiS6_PKS3_S8_S4_PS3_21rocsparse_index_base_b
	.p2align	8
	.type	_ZN9rocsparseL19gebsrmvn_2xn_kernelILj128ELj1ELj16EdEEvi20rocsparse_direction_NS_24const_host_device_scalarIT2_EEPKiS6_PKS3_S8_S4_PS3_21rocsparse_index_base_b,@function
_ZN9rocsparseL19gebsrmvn_2xn_kernelILj128ELj1ELj16EdEEvi20rocsparse_direction_NS_24const_host_device_scalarIT2_EEPKiS6_PKS3_S8_S4_PS3_21rocsparse_index_base_b: ; @_ZN9rocsparseL19gebsrmvn_2xn_kernelILj128ELj1ELj16EdEEvi20rocsparse_direction_NS_24const_host_device_scalarIT2_EEPKiS6_PKS3_S8_S4_PS3_21rocsparse_index_base_b
; %bb.0:
	s_clause 0x2
	s_load_b64 s[12:13], s[0:1], 0x40
	s_load_b64 s[4:5], s[0:1], 0x8
	;; [unrolled: 1-line block ×3, first 2 shown]
	s_waitcnt lgkmcnt(0)
	s_bitcmp1_b32 s13, 0
	v_dual_mov_b32 v1, s4 :: v_dual_mov_b32 v2, s5
	s_cselect_b32 s6, -1, 0
	s_delay_alu instid0(SALU_CYCLE_1)
	s_and_b32 vcc_lo, exec_lo, s6
	s_xor_b32 s6, s6, -1
	s_cbranch_vccnz .LBB78_2
; %bb.1:
	v_dual_mov_b32 v1, s4 :: v_dual_mov_b32 v2, s5
	flat_load_b64 v[1:2], v[1:2]
.LBB78_2:
	v_dual_mov_b32 v4, s3 :: v_dual_mov_b32 v3, s2
	s_and_not1_b32 vcc_lo, exec_lo, s6
	s_cbranch_vccnz .LBB78_4
; %bb.3:
	v_dual_mov_b32 v4, s3 :: v_dual_mov_b32 v3, s2
	flat_load_b64 v[3:4], v[3:4]
.LBB78_4:
	s_waitcnt vmcnt(0) lgkmcnt(0)
	v_cmp_neq_f64_e32 vcc_lo, 0, v[1:2]
	v_cmp_neq_f64_e64 s2, 1.0, v[3:4]
	s_delay_alu instid0(VALU_DEP_1) | instskip(NEXT) | instid1(SALU_CYCLE_1)
	s_or_b32 s2, vcc_lo, s2
	s_and_saveexec_b32 s3, s2
	s_cbranch_execz .LBB78_23
; %bb.5:
	s_load_b64 s[2:3], s[0:1], 0x0
	v_lshrrev_b32_e32 v5, 4, v0
	s_delay_alu instid0(VALU_DEP_1) | instskip(SKIP_1) | instid1(VALU_DEP_1)
	v_lshl_or_b32 v5, s15, 3, v5
	s_waitcnt lgkmcnt(0)
	v_cmp_gt_i32_e32 vcc_lo, s2, v5
	s_and_b32 exec_lo, exec_lo, vcc_lo
	s_cbranch_execz .LBB78_23
; %bb.6:
	s_load_b256 s[4:11], s[0:1], 0x10
	v_ashrrev_i32_e32 v6, 31, v5
	v_and_b32_e32 v0, 15, v0
	s_cmp_lg_u32 s3, 0
	s_delay_alu instid0(VALU_DEP_2) | instskip(SKIP_1) | instid1(VALU_DEP_1)
	v_lshlrev_b64 v[6:7], 2, v[5:6]
	s_waitcnt lgkmcnt(0)
	v_add_co_u32 v6, vcc_lo, s4, v6
	s_delay_alu instid0(VALU_DEP_2) | instskip(SKIP_4) | instid1(VALU_DEP_2)
	v_add_co_ci_u32_e32 v7, vcc_lo, s5, v7, vcc_lo
	global_load_b64 v[6:7], v[6:7], off
	s_waitcnt vmcnt(0)
	v_subrev_nc_u32_e32 v6, s12, v6
	v_subrev_nc_u32_e32 v15, s12, v7
	v_add_nc_u32_e32 v10, v6, v0
	s_delay_alu instid0(VALU_DEP_1)
	v_cmp_lt_i32_e64 s2, v10, v15
	s_cbranch_scc0 .LBB78_12
; %bb.7:
	v_mov_b32_e32 v6, 0
	v_mov_b32_e32 v7, 0
	s_delay_alu instid0(VALU_DEP_1)
	v_dual_mov_b32 v9, v7 :: v_dual_mov_b32 v8, v6
	s_and_saveexec_b32 s3, s2
	s_cbranch_execz .LBB78_11
; %bb.8:
	v_dual_mov_b32 v6, 0 :: v_dual_lshlrev_b32 v11, 1, v10
	v_dual_mov_b32 v7, 0 :: v_dual_mov_b32 v12, 0
	v_mov_b32_e32 v13, v10
	s_mov_b32 s4, 0
	s_delay_alu instid0(VALU_DEP_2)
	v_dual_mov_b32 v9, v7 :: v_dual_mov_b32 v8, v6
	s_set_inst_prefetch_distance 0x1
	.p2align	6
.LBB78_9:                               ; =>This Inner Loop Header: Depth=1
	s_delay_alu instid0(VALU_DEP_2) | instskip(SKIP_1) | instid1(VALU_DEP_2)
	v_ashrrev_i32_e32 v14, 31, v13
	v_mov_b32_e32 v19, v12
	v_lshlrev_b64 v[16:17], 2, v[13:14]
	v_add_nc_u32_e32 v13, 16, v13
	s_delay_alu instid0(VALU_DEP_2) | instskip(NEXT) | instid1(VALU_DEP_3)
	v_add_co_u32 v16, vcc_lo, s6, v16
	v_add_co_ci_u32_e32 v17, vcc_lo, s7, v17, vcc_lo
	global_load_b32 v14, v[16:17], off
	v_lshlrev_b64 v[16:17], 3, v[11:12]
	v_add_nc_u32_e32 v11, 32, v11
	s_delay_alu instid0(VALU_DEP_2) | instskip(NEXT) | instid1(VALU_DEP_3)
	v_add_co_u32 v16, vcc_lo, s8, v16
	v_add_co_ci_u32_e32 v17, vcc_lo, s9, v17, vcc_lo
	s_waitcnt vmcnt(0)
	v_subrev_nc_u32_e32 v18, s12, v14
	s_delay_alu instid0(VALU_DEP_1) | instskip(NEXT) | instid1(VALU_DEP_1)
	v_lshlrev_b64 v[18:19], 3, v[18:19]
	v_add_co_u32 v20, vcc_lo, s10, v18
	s_delay_alu instid0(VALU_DEP_2)
	v_add_co_ci_u32_e32 v21, vcc_lo, s11, v19, vcc_lo
	v_cmp_ge_i32_e32 vcc_lo, v13, v15
	global_load_b128 v[16:19], v[16:17], off
	global_load_b64 v[20:21], v[20:21], off
	s_or_b32 s4, vcc_lo, s4
	s_waitcnt vmcnt(0)
	v_fma_f64 v[6:7], v[16:17], v[20:21], v[6:7]
	v_fma_f64 v[8:9], v[18:19], v[20:21], v[8:9]
	s_and_not1_b32 exec_lo, exec_lo, s4
	s_cbranch_execnz .LBB78_9
; %bb.10:
	s_set_inst_prefetch_distance 0x2
	s_or_b32 exec_lo, exec_lo, s4
.LBB78_11:
	s_delay_alu instid0(SALU_CYCLE_1)
	s_or_b32 exec_lo, exec_lo, s3
	s_cbranch_execz .LBB78_13
	s_branch .LBB78_18
.LBB78_12:
                                        ; implicit-def: $vgpr6_vgpr7
                                        ; implicit-def: $vgpr8_vgpr9
.LBB78_13:
	v_mov_b32_e32 v6, 0
	v_mov_b32_e32 v7, 0
	s_delay_alu instid0(VALU_DEP_1)
	v_dual_mov_b32 v9, v7 :: v_dual_mov_b32 v8, v6
	s_and_saveexec_b32 s3, s2
	s_cbranch_execz .LBB78_17
; %bb.14:
	v_dual_mov_b32 v6, 0 :: v_dual_mov_b32 v13, 0
	v_dual_mov_b32 v7, 0 :: v_dual_lshlrev_b32 v12, 1, v10
	s_mov_b32 s2, 0
	s_delay_alu instid0(VALU_DEP_1)
	v_dual_mov_b32 v9, v7 :: v_dual_mov_b32 v8, v6
	s_set_inst_prefetch_distance 0x1
	.p2align	6
.LBB78_15:                              ; =>This Inner Loop Header: Depth=1
	v_ashrrev_i32_e32 v11, 31, v10
	v_mov_b32_e32 v19, v13
	s_delay_alu instid0(VALU_DEP_2) | instskip(SKIP_1) | instid1(VALU_DEP_2)
	v_lshlrev_b64 v[16:17], 2, v[10:11]
	v_add_nc_u32_e32 v10, 16, v10
	v_add_co_u32 v16, vcc_lo, s6, v16
	s_delay_alu instid0(VALU_DEP_3) | instskip(SKIP_3) | instid1(VALU_DEP_2)
	v_add_co_ci_u32_e32 v17, vcc_lo, s7, v17, vcc_lo
	global_load_b32 v11, v[16:17], off
	v_lshlrev_b64 v[16:17], 3, v[12:13]
	v_add_nc_u32_e32 v12, 32, v12
	v_add_co_u32 v16, vcc_lo, s8, v16
	s_delay_alu instid0(VALU_DEP_3) | instskip(SKIP_2) | instid1(VALU_DEP_1)
	v_add_co_ci_u32_e32 v17, vcc_lo, s9, v17, vcc_lo
	s_waitcnt vmcnt(0)
	v_subrev_nc_u32_e32 v18, s12, v11
	v_lshlrev_b64 v[18:19], 3, v[18:19]
	s_delay_alu instid0(VALU_DEP_1) | instskip(NEXT) | instid1(VALU_DEP_2)
	v_add_co_u32 v20, vcc_lo, s10, v18
	v_add_co_ci_u32_e32 v21, vcc_lo, s11, v19, vcc_lo
	v_cmp_ge_i32_e32 vcc_lo, v10, v15
	global_load_b128 v[16:19], v[16:17], off
	global_load_b64 v[20:21], v[20:21], off
	s_or_b32 s2, vcc_lo, s2
	s_waitcnt vmcnt(0)
	v_fma_f64 v[6:7], v[16:17], v[20:21], v[6:7]
	v_fma_f64 v[8:9], v[18:19], v[20:21], v[8:9]
	s_and_not1_b32 exec_lo, exec_lo, s2
	s_cbranch_execnz .LBB78_15
; %bb.16:
	s_set_inst_prefetch_distance 0x2
	s_or_b32 exec_lo, exec_lo, s2
.LBB78_17:
	s_delay_alu instid0(SALU_CYCLE_1)
	s_or_b32 exec_lo, exec_lo, s3
.LBB78_18:
	v_mbcnt_lo_u32_b32 v14, -1, 0
	s_delay_alu instid0(VALU_DEP_1) | instskip(NEXT) | instid1(VALU_DEP_1)
	v_xor_b32_e32 v10, 8, v14
	v_cmp_gt_i32_e32 vcc_lo, 32, v10
	v_cndmask_b32_e32 v10, v14, v10, vcc_lo
	s_delay_alu instid0(VALU_DEP_1)
	v_lshlrev_b32_e32 v13, 2, v10
	ds_bpermute_b32 v10, v13, v6
	ds_bpermute_b32 v11, v13, v7
	;; [unrolled: 1-line block ×4, first 2 shown]
	s_waitcnt lgkmcnt(2)
	v_add_f64 v[6:7], v[6:7], v[10:11]
	v_xor_b32_e32 v10, 4, v14
	s_waitcnt lgkmcnt(0)
	v_add_f64 v[8:9], v[8:9], v[12:13]
	s_delay_alu instid0(VALU_DEP_2) | instskip(SKIP_1) | instid1(VALU_DEP_1)
	v_cmp_gt_i32_e32 vcc_lo, 32, v10
	v_cndmask_b32_e32 v10, v14, v10, vcc_lo
	v_lshlrev_b32_e32 v13, 2, v10
	ds_bpermute_b32 v10, v13, v6
	ds_bpermute_b32 v11, v13, v7
	;; [unrolled: 1-line block ×4, first 2 shown]
	s_waitcnt lgkmcnt(2)
	v_add_f64 v[6:7], v[6:7], v[10:11]
	v_xor_b32_e32 v10, 2, v14
	s_waitcnt lgkmcnt(0)
	v_add_f64 v[8:9], v[8:9], v[12:13]
	s_delay_alu instid0(VALU_DEP_2) | instskip(SKIP_1) | instid1(VALU_DEP_1)
	v_cmp_gt_i32_e32 vcc_lo, 32, v10
	v_cndmask_b32_e32 v10, v14, v10, vcc_lo
	v_lshlrev_b32_e32 v13, 2, v10
	ds_bpermute_b32 v10, v13, v6
	ds_bpermute_b32 v11, v13, v7
	;; [unrolled: 1-line block ×4, first 2 shown]
	s_waitcnt lgkmcnt(2)
	v_add_f64 v[6:7], v[6:7], v[10:11]
	s_waitcnt lgkmcnt(0)
	v_add_f64 v[10:11], v[8:9], v[12:13]
	v_xor_b32_e32 v8, 1, v14
	s_delay_alu instid0(VALU_DEP_1) | instskip(SKIP_2) | instid1(VALU_DEP_2)
	v_cmp_gt_i32_e32 vcc_lo, 32, v8
	v_cndmask_b32_e32 v8, v14, v8, vcc_lo
	v_cmp_eq_u32_e32 vcc_lo, 15, v0
	v_lshlrev_b32_e32 v13, 2, v8
	ds_bpermute_b32 v8, v13, v6
	ds_bpermute_b32 v9, v13, v7
	;; [unrolled: 1-line block ×4, first 2 shown]
	s_and_b32 exec_lo, exec_lo, vcc_lo
	s_cbranch_execz .LBB78_23
; %bb.19:
	s_waitcnt lgkmcnt(2)
	v_add_f64 v[8:9], v[6:7], v[8:9]
	s_waitcnt lgkmcnt(0)
	v_add_f64 v[6:7], v[10:11], v[12:13]
	s_load_b64 s[0:1], s[0:1], 0x38
	s_mov_b32 s2, exec_lo
	v_cmpx_eq_f64_e32 0, v[3:4]
	s_xor_b32 s2, exec_lo, s2
	s_cbranch_execz .LBB78_21
; %bb.20:
	s_delay_alu instid0(VALU_DEP_3) | instskip(NEXT) | instid1(VALU_DEP_3)
	v_mul_f64 v[8:9], v[1:2], v[8:9]
	v_mul_f64 v[10:11], v[1:2], v[6:7]
	v_lshlrev_b32_e32 v0, 1, v5
                                        ; implicit-def: $vgpr5
                                        ; implicit-def: $vgpr3_vgpr4
                                        ; implicit-def: $vgpr6_vgpr7
	s_delay_alu instid0(VALU_DEP_1) | instskip(NEXT) | instid1(VALU_DEP_1)
	v_ashrrev_i32_e32 v1, 31, v0
	v_lshlrev_b64 v[0:1], 3, v[0:1]
	s_waitcnt lgkmcnt(0)
	s_delay_alu instid0(VALU_DEP_1) | instskip(NEXT) | instid1(VALU_DEP_2)
	v_add_co_u32 v0, vcc_lo, s0, v0
	v_add_co_ci_u32_e32 v1, vcc_lo, s1, v1, vcc_lo
	global_store_b128 v[0:1], v[8:11], off
                                        ; implicit-def: $vgpr1_vgpr2
                                        ; implicit-def: $vgpr8_vgpr9
.LBB78_21:
	s_and_not1_saveexec_b32 s2, s2
	s_cbranch_execz .LBB78_23
; %bb.22:
	v_lshlrev_b32_e32 v10, 1, v5
	s_delay_alu instid0(VALU_DEP_4) | instskip(NEXT) | instid1(VALU_DEP_4)
	v_mul_f64 v[8:9], v[1:2], v[8:9]
	v_mul_f64 v[5:6], v[1:2], v[6:7]
	s_delay_alu instid0(VALU_DEP_3) | instskip(NEXT) | instid1(VALU_DEP_1)
	v_ashrrev_i32_e32 v11, 31, v10
	v_lshlrev_b64 v[10:11], 3, v[10:11]
	s_waitcnt lgkmcnt(0)
	s_delay_alu instid0(VALU_DEP_1) | instskip(NEXT) | instid1(VALU_DEP_2)
	v_add_co_u32 v14, vcc_lo, s0, v10
	v_add_co_ci_u32_e32 v15, vcc_lo, s1, v11, vcc_lo
	global_load_b128 v[10:13], v[14:15], off
	s_waitcnt vmcnt(0)
	v_fma_f64 v[0:1], v[3:4], v[10:11], v[8:9]
	v_fma_f64 v[2:3], v[3:4], v[12:13], v[5:6]
	global_store_b128 v[14:15], v[0:3], off
.LBB78_23:
	s_nop 0
	s_sendmsg sendmsg(MSG_DEALLOC_VGPRS)
	s_endpgm
	.section	.rodata,"a",@progbits
	.p2align	6, 0x0
	.amdhsa_kernel _ZN9rocsparseL19gebsrmvn_2xn_kernelILj128ELj1ELj16EdEEvi20rocsparse_direction_NS_24const_host_device_scalarIT2_EEPKiS6_PKS3_S8_S4_PS3_21rocsparse_index_base_b
		.amdhsa_group_segment_fixed_size 0
		.amdhsa_private_segment_fixed_size 0
		.amdhsa_kernarg_size 72
		.amdhsa_user_sgpr_count 15
		.amdhsa_user_sgpr_dispatch_ptr 0
		.amdhsa_user_sgpr_queue_ptr 0
		.amdhsa_user_sgpr_kernarg_segment_ptr 1
		.amdhsa_user_sgpr_dispatch_id 0
		.amdhsa_user_sgpr_private_segment_size 0
		.amdhsa_wavefront_size32 1
		.amdhsa_uses_dynamic_stack 0
		.amdhsa_enable_private_segment 0
		.amdhsa_system_sgpr_workgroup_id_x 1
		.amdhsa_system_sgpr_workgroup_id_y 0
		.amdhsa_system_sgpr_workgroup_id_z 0
		.amdhsa_system_sgpr_workgroup_info 0
		.amdhsa_system_vgpr_workitem_id 0
		.amdhsa_next_free_vgpr 22
		.amdhsa_next_free_sgpr 16
		.amdhsa_reserve_vcc 1
		.amdhsa_float_round_mode_32 0
		.amdhsa_float_round_mode_16_64 0
		.amdhsa_float_denorm_mode_32 3
		.amdhsa_float_denorm_mode_16_64 3
		.amdhsa_dx10_clamp 1
		.amdhsa_ieee_mode 1
		.amdhsa_fp16_overflow 0
		.amdhsa_workgroup_processor_mode 1
		.amdhsa_memory_ordered 1
		.amdhsa_forward_progress 0
		.amdhsa_shared_vgpr_count 0
		.amdhsa_exception_fp_ieee_invalid_op 0
		.amdhsa_exception_fp_denorm_src 0
		.amdhsa_exception_fp_ieee_div_zero 0
		.amdhsa_exception_fp_ieee_overflow 0
		.amdhsa_exception_fp_ieee_underflow 0
		.amdhsa_exception_fp_ieee_inexact 0
		.amdhsa_exception_int_div_zero 0
	.end_amdhsa_kernel
	.section	.text._ZN9rocsparseL19gebsrmvn_2xn_kernelILj128ELj1ELj16EdEEvi20rocsparse_direction_NS_24const_host_device_scalarIT2_EEPKiS6_PKS3_S8_S4_PS3_21rocsparse_index_base_b,"axG",@progbits,_ZN9rocsparseL19gebsrmvn_2xn_kernelILj128ELj1ELj16EdEEvi20rocsparse_direction_NS_24const_host_device_scalarIT2_EEPKiS6_PKS3_S8_S4_PS3_21rocsparse_index_base_b,comdat
.Lfunc_end78:
	.size	_ZN9rocsparseL19gebsrmvn_2xn_kernelILj128ELj1ELj16EdEEvi20rocsparse_direction_NS_24const_host_device_scalarIT2_EEPKiS6_PKS3_S8_S4_PS3_21rocsparse_index_base_b, .Lfunc_end78-_ZN9rocsparseL19gebsrmvn_2xn_kernelILj128ELj1ELj16EdEEvi20rocsparse_direction_NS_24const_host_device_scalarIT2_EEPKiS6_PKS3_S8_S4_PS3_21rocsparse_index_base_b
                                        ; -- End function
	.section	.AMDGPU.csdata,"",@progbits
; Kernel info:
; codeLenInByte = 1308
; NumSgprs: 18
; NumVgprs: 22
; ScratchSize: 0
; MemoryBound: 0
; FloatMode: 240
; IeeeMode: 1
; LDSByteSize: 0 bytes/workgroup (compile time only)
; SGPRBlocks: 2
; VGPRBlocks: 2
; NumSGPRsForWavesPerEU: 18
; NumVGPRsForWavesPerEU: 22
; Occupancy: 16
; WaveLimiterHint : 1
; COMPUTE_PGM_RSRC2:SCRATCH_EN: 0
; COMPUTE_PGM_RSRC2:USER_SGPR: 15
; COMPUTE_PGM_RSRC2:TRAP_HANDLER: 0
; COMPUTE_PGM_RSRC2:TGID_X_EN: 1
; COMPUTE_PGM_RSRC2:TGID_Y_EN: 0
; COMPUTE_PGM_RSRC2:TGID_Z_EN: 0
; COMPUTE_PGM_RSRC2:TIDIG_COMP_CNT: 0
	.section	.text._ZN9rocsparseL19gebsrmvn_2xn_kernelILj128ELj1ELj32EdEEvi20rocsparse_direction_NS_24const_host_device_scalarIT2_EEPKiS6_PKS3_S8_S4_PS3_21rocsparse_index_base_b,"axG",@progbits,_ZN9rocsparseL19gebsrmvn_2xn_kernelILj128ELj1ELj32EdEEvi20rocsparse_direction_NS_24const_host_device_scalarIT2_EEPKiS6_PKS3_S8_S4_PS3_21rocsparse_index_base_b,comdat
	.globl	_ZN9rocsparseL19gebsrmvn_2xn_kernelILj128ELj1ELj32EdEEvi20rocsparse_direction_NS_24const_host_device_scalarIT2_EEPKiS6_PKS3_S8_S4_PS3_21rocsparse_index_base_b ; -- Begin function _ZN9rocsparseL19gebsrmvn_2xn_kernelILj128ELj1ELj32EdEEvi20rocsparse_direction_NS_24const_host_device_scalarIT2_EEPKiS6_PKS3_S8_S4_PS3_21rocsparse_index_base_b
	.p2align	8
	.type	_ZN9rocsparseL19gebsrmvn_2xn_kernelILj128ELj1ELj32EdEEvi20rocsparse_direction_NS_24const_host_device_scalarIT2_EEPKiS6_PKS3_S8_S4_PS3_21rocsparse_index_base_b,@function
_ZN9rocsparseL19gebsrmvn_2xn_kernelILj128ELj1ELj32EdEEvi20rocsparse_direction_NS_24const_host_device_scalarIT2_EEPKiS6_PKS3_S8_S4_PS3_21rocsparse_index_base_b: ; @_ZN9rocsparseL19gebsrmvn_2xn_kernelILj128ELj1ELj32EdEEvi20rocsparse_direction_NS_24const_host_device_scalarIT2_EEPKiS6_PKS3_S8_S4_PS3_21rocsparse_index_base_b
; %bb.0:
	s_clause 0x2
	s_load_b64 s[12:13], s[0:1], 0x40
	s_load_b64 s[4:5], s[0:1], 0x8
	s_load_b64 s[2:3], s[0:1], 0x30
	s_waitcnt lgkmcnt(0)
	s_bitcmp1_b32 s13, 0
	v_dual_mov_b32 v1, s4 :: v_dual_mov_b32 v2, s5
	s_cselect_b32 s6, -1, 0
	s_delay_alu instid0(SALU_CYCLE_1)
	s_and_b32 vcc_lo, exec_lo, s6
	s_xor_b32 s6, s6, -1
	s_cbranch_vccnz .LBB79_2
; %bb.1:
	v_dual_mov_b32 v1, s4 :: v_dual_mov_b32 v2, s5
	flat_load_b64 v[1:2], v[1:2]
.LBB79_2:
	v_dual_mov_b32 v4, s3 :: v_dual_mov_b32 v3, s2
	s_and_not1_b32 vcc_lo, exec_lo, s6
	s_cbranch_vccnz .LBB79_4
; %bb.3:
	v_dual_mov_b32 v4, s3 :: v_dual_mov_b32 v3, s2
	flat_load_b64 v[3:4], v[3:4]
.LBB79_4:
	s_waitcnt vmcnt(0) lgkmcnt(0)
	v_cmp_neq_f64_e32 vcc_lo, 0, v[1:2]
	v_cmp_neq_f64_e64 s2, 1.0, v[3:4]
	s_delay_alu instid0(VALU_DEP_1) | instskip(NEXT) | instid1(SALU_CYCLE_1)
	s_or_b32 s2, vcc_lo, s2
	s_and_saveexec_b32 s3, s2
	s_cbranch_execz .LBB79_23
; %bb.5:
	s_load_b64 s[2:3], s[0:1], 0x0
	v_lshrrev_b32_e32 v5, 5, v0
	s_delay_alu instid0(VALU_DEP_1) | instskip(SKIP_1) | instid1(VALU_DEP_1)
	v_lshl_or_b32 v5, s15, 2, v5
	s_waitcnt lgkmcnt(0)
	v_cmp_gt_i32_e32 vcc_lo, s2, v5
	s_and_b32 exec_lo, exec_lo, vcc_lo
	s_cbranch_execz .LBB79_23
; %bb.6:
	s_load_b256 s[4:11], s[0:1], 0x10
	v_ashrrev_i32_e32 v6, 31, v5
	v_and_b32_e32 v0, 31, v0
	s_cmp_lg_u32 s3, 0
	s_delay_alu instid0(VALU_DEP_2) | instskip(SKIP_1) | instid1(VALU_DEP_1)
	v_lshlrev_b64 v[6:7], 2, v[5:6]
	s_waitcnt lgkmcnt(0)
	v_add_co_u32 v6, vcc_lo, s4, v6
	s_delay_alu instid0(VALU_DEP_2) | instskip(SKIP_4) | instid1(VALU_DEP_2)
	v_add_co_ci_u32_e32 v7, vcc_lo, s5, v7, vcc_lo
	global_load_b64 v[6:7], v[6:7], off
	s_waitcnt vmcnt(0)
	v_subrev_nc_u32_e32 v6, s12, v6
	v_subrev_nc_u32_e32 v15, s12, v7
	v_add_nc_u32_e32 v10, v6, v0
	s_delay_alu instid0(VALU_DEP_1)
	v_cmp_lt_i32_e64 s2, v10, v15
	s_cbranch_scc0 .LBB79_12
; %bb.7:
	v_mov_b32_e32 v6, 0
	v_mov_b32_e32 v7, 0
	s_delay_alu instid0(VALU_DEP_1)
	v_dual_mov_b32 v9, v7 :: v_dual_mov_b32 v8, v6
	s_and_saveexec_b32 s3, s2
	s_cbranch_execz .LBB79_11
; %bb.8:
	v_dual_mov_b32 v6, 0 :: v_dual_lshlrev_b32 v11, 1, v10
	v_dual_mov_b32 v7, 0 :: v_dual_mov_b32 v12, 0
	v_mov_b32_e32 v13, v10
	s_mov_b32 s4, 0
	s_delay_alu instid0(VALU_DEP_2)
	v_dual_mov_b32 v9, v7 :: v_dual_mov_b32 v8, v6
	s_set_inst_prefetch_distance 0x1
	.p2align	6
.LBB79_9:                               ; =>This Inner Loop Header: Depth=1
	s_delay_alu instid0(VALU_DEP_2) | instskip(SKIP_1) | instid1(VALU_DEP_2)
	v_ashrrev_i32_e32 v14, 31, v13
	v_mov_b32_e32 v19, v12
	v_lshlrev_b64 v[16:17], 2, v[13:14]
	v_add_nc_u32_e32 v13, 32, v13
	s_delay_alu instid0(VALU_DEP_2) | instskip(NEXT) | instid1(VALU_DEP_3)
	v_add_co_u32 v16, vcc_lo, s6, v16
	v_add_co_ci_u32_e32 v17, vcc_lo, s7, v17, vcc_lo
	global_load_b32 v14, v[16:17], off
	v_lshlrev_b64 v[16:17], 3, v[11:12]
	v_add_nc_u32_e32 v11, 64, v11
	s_delay_alu instid0(VALU_DEP_2) | instskip(NEXT) | instid1(VALU_DEP_3)
	v_add_co_u32 v16, vcc_lo, s8, v16
	v_add_co_ci_u32_e32 v17, vcc_lo, s9, v17, vcc_lo
	s_waitcnt vmcnt(0)
	v_subrev_nc_u32_e32 v18, s12, v14
	s_delay_alu instid0(VALU_DEP_1) | instskip(NEXT) | instid1(VALU_DEP_1)
	v_lshlrev_b64 v[18:19], 3, v[18:19]
	v_add_co_u32 v20, vcc_lo, s10, v18
	s_delay_alu instid0(VALU_DEP_2)
	v_add_co_ci_u32_e32 v21, vcc_lo, s11, v19, vcc_lo
	v_cmp_ge_i32_e32 vcc_lo, v13, v15
	global_load_b128 v[16:19], v[16:17], off
	global_load_b64 v[20:21], v[20:21], off
	s_or_b32 s4, vcc_lo, s4
	s_waitcnt vmcnt(0)
	v_fma_f64 v[6:7], v[16:17], v[20:21], v[6:7]
	v_fma_f64 v[8:9], v[18:19], v[20:21], v[8:9]
	s_and_not1_b32 exec_lo, exec_lo, s4
	s_cbranch_execnz .LBB79_9
; %bb.10:
	s_set_inst_prefetch_distance 0x2
	s_or_b32 exec_lo, exec_lo, s4
.LBB79_11:
	s_delay_alu instid0(SALU_CYCLE_1)
	s_or_b32 exec_lo, exec_lo, s3
	s_cbranch_execz .LBB79_13
	s_branch .LBB79_18
.LBB79_12:
                                        ; implicit-def: $vgpr6_vgpr7
                                        ; implicit-def: $vgpr8_vgpr9
.LBB79_13:
	v_mov_b32_e32 v6, 0
	v_mov_b32_e32 v7, 0
	s_delay_alu instid0(VALU_DEP_1)
	v_dual_mov_b32 v9, v7 :: v_dual_mov_b32 v8, v6
	s_and_saveexec_b32 s3, s2
	s_cbranch_execz .LBB79_17
; %bb.14:
	v_dual_mov_b32 v6, 0 :: v_dual_mov_b32 v13, 0
	v_dual_mov_b32 v7, 0 :: v_dual_lshlrev_b32 v12, 1, v10
	s_mov_b32 s2, 0
	s_delay_alu instid0(VALU_DEP_1)
	v_dual_mov_b32 v9, v7 :: v_dual_mov_b32 v8, v6
	s_set_inst_prefetch_distance 0x1
	.p2align	6
.LBB79_15:                              ; =>This Inner Loop Header: Depth=1
	v_ashrrev_i32_e32 v11, 31, v10
	v_mov_b32_e32 v19, v13
	s_delay_alu instid0(VALU_DEP_2) | instskip(SKIP_1) | instid1(VALU_DEP_2)
	v_lshlrev_b64 v[16:17], 2, v[10:11]
	v_add_nc_u32_e32 v10, 32, v10
	v_add_co_u32 v16, vcc_lo, s6, v16
	s_delay_alu instid0(VALU_DEP_3) | instskip(SKIP_3) | instid1(VALU_DEP_2)
	v_add_co_ci_u32_e32 v17, vcc_lo, s7, v17, vcc_lo
	global_load_b32 v11, v[16:17], off
	v_lshlrev_b64 v[16:17], 3, v[12:13]
	v_add_nc_u32_e32 v12, 64, v12
	v_add_co_u32 v16, vcc_lo, s8, v16
	s_delay_alu instid0(VALU_DEP_3) | instskip(SKIP_2) | instid1(VALU_DEP_1)
	v_add_co_ci_u32_e32 v17, vcc_lo, s9, v17, vcc_lo
	s_waitcnt vmcnt(0)
	v_subrev_nc_u32_e32 v18, s12, v11
	v_lshlrev_b64 v[18:19], 3, v[18:19]
	s_delay_alu instid0(VALU_DEP_1) | instskip(NEXT) | instid1(VALU_DEP_2)
	v_add_co_u32 v20, vcc_lo, s10, v18
	v_add_co_ci_u32_e32 v21, vcc_lo, s11, v19, vcc_lo
	v_cmp_ge_i32_e32 vcc_lo, v10, v15
	global_load_b128 v[16:19], v[16:17], off
	global_load_b64 v[20:21], v[20:21], off
	s_or_b32 s2, vcc_lo, s2
	s_waitcnt vmcnt(0)
	v_fma_f64 v[6:7], v[16:17], v[20:21], v[6:7]
	v_fma_f64 v[8:9], v[18:19], v[20:21], v[8:9]
	s_and_not1_b32 exec_lo, exec_lo, s2
	s_cbranch_execnz .LBB79_15
; %bb.16:
	s_set_inst_prefetch_distance 0x2
	s_or_b32 exec_lo, exec_lo, s2
.LBB79_17:
	s_delay_alu instid0(SALU_CYCLE_1)
	s_or_b32 exec_lo, exec_lo, s3
.LBB79_18:
	v_mbcnt_lo_u32_b32 v14, -1, 0
	s_delay_alu instid0(VALU_DEP_1) | instskip(NEXT) | instid1(VALU_DEP_1)
	v_xor_b32_e32 v10, 16, v14
	v_cmp_gt_i32_e32 vcc_lo, 32, v10
	v_cndmask_b32_e32 v10, v14, v10, vcc_lo
	s_delay_alu instid0(VALU_DEP_1)
	v_lshlrev_b32_e32 v13, 2, v10
	ds_bpermute_b32 v10, v13, v6
	ds_bpermute_b32 v11, v13, v7
	ds_bpermute_b32 v12, v13, v8
	ds_bpermute_b32 v13, v13, v9
	s_waitcnt lgkmcnt(2)
	v_add_f64 v[6:7], v[6:7], v[10:11]
	v_xor_b32_e32 v10, 8, v14
	s_waitcnt lgkmcnt(0)
	v_add_f64 v[8:9], v[8:9], v[12:13]
	s_delay_alu instid0(VALU_DEP_2) | instskip(SKIP_1) | instid1(VALU_DEP_1)
	v_cmp_gt_i32_e32 vcc_lo, 32, v10
	v_cndmask_b32_e32 v10, v14, v10, vcc_lo
	v_lshlrev_b32_e32 v13, 2, v10
	ds_bpermute_b32 v10, v13, v6
	ds_bpermute_b32 v11, v13, v7
	ds_bpermute_b32 v12, v13, v8
	ds_bpermute_b32 v13, v13, v9
	s_waitcnt lgkmcnt(2)
	v_add_f64 v[6:7], v[6:7], v[10:11]
	v_xor_b32_e32 v10, 4, v14
	s_waitcnt lgkmcnt(0)
	v_add_f64 v[8:9], v[8:9], v[12:13]
	s_delay_alu instid0(VALU_DEP_2) | instskip(SKIP_1) | instid1(VALU_DEP_1)
	v_cmp_gt_i32_e32 vcc_lo, 32, v10
	v_cndmask_b32_e32 v10, v14, v10, vcc_lo
	;; [unrolled: 13-line block ×3, first 2 shown]
	v_lshlrev_b32_e32 v13, 2, v10
	ds_bpermute_b32 v10, v13, v6
	ds_bpermute_b32 v11, v13, v7
	;; [unrolled: 1-line block ×4, first 2 shown]
	s_waitcnt lgkmcnt(2)
	v_add_f64 v[6:7], v[6:7], v[10:11]
	s_waitcnt lgkmcnt(0)
	v_add_f64 v[10:11], v[8:9], v[12:13]
	v_xor_b32_e32 v8, 1, v14
	s_delay_alu instid0(VALU_DEP_1) | instskip(SKIP_2) | instid1(VALU_DEP_2)
	v_cmp_gt_i32_e32 vcc_lo, 32, v8
	v_cndmask_b32_e32 v8, v14, v8, vcc_lo
	v_cmp_eq_u32_e32 vcc_lo, 31, v0
	v_lshlrev_b32_e32 v13, 2, v8
	ds_bpermute_b32 v8, v13, v6
	ds_bpermute_b32 v9, v13, v7
	;; [unrolled: 1-line block ×4, first 2 shown]
	s_and_b32 exec_lo, exec_lo, vcc_lo
	s_cbranch_execz .LBB79_23
; %bb.19:
	s_waitcnt lgkmcnt(2)
	v_add_f64 v[8:9], v[6:7], v[8:9]
	s_waitcnt lgkmcnt(0)
	v_add_f64 v[6:7], v[10:11], v[12:13]
	s_load_b64 s[0:1], s[0:1], 0x38
	s_mov_b32 s2, exec_lo
	v_cmpx_eq_f64_e32 0, v[3:4]
	s_xor_b32 s2, exec_lo, s2
	s_cbranch_execz .LBB79_21
; %bb.20:
	s_delay_alu instid0(VALU_DEP_3) | instskip(NEXT) | instid1(VALU_DEP_3)
	v_mul_f64 v[8:9], v[1:2], v[8:9]
	v_mul_f64 v[10:11], v[1:2], v[6:7]
	v_lshlrev_b32_e32 v0, 1, v5
                                        ; implicit-def: $vgpr5
                                        ; implicit-def: $vgpr3_vgpr4
                                        ; implicit-def: $vgpr6_vgpr7
	s_delay_alu instid0(VALU_DEP_1) | instskip(NEXT) | instid1(VALU_DEP_1)
	v_ashrrev_i32_e32 v1, 31, v0
	v_lshlrev_b64 v[0:1], 3, v[0:1]
	s_waitcnt lgkmcnt(0)
	s_delay_alu instid0(VALU_DEP_1) | instskip(NEXT) | instid1(VALU_DEP_2)
	v_add_co_u32 v0, vcc_lo, s0, v0
	v_add_co_ci_u32_e32 v1, vcc_lo, s1, v1, vcc_lo
	global_store_b128 v[0:1], v[8:11], off
                                        ; implicit-def: $vgpr1_vgpr2
                                        ; implicit-def: $vgpr8_vgpr9
.LBB79_21:
	s_and_not1_saveexec_b32 s2, s2
	s_cbranch_execz .LBB79_23
; %bb.22:
	v_lshlrev_b32_e32 v10, 1, v5
	s_delay_alu instid0(VALU_DEP_4) | instskip(NEXT) | instid1(VALU_DEP_4)
	v_mul_f64 v[8:9], v[1:2], v[8:9]
	v_mul_f64 v[5:6], v[1:2], v[6:7]
	s_delay_alu instid0(VALU_DEP_3) | instskip(NEXT) | instid1(VALU_DEP_1)
	v_ashrrev_i32_e32 v11, 31, v10
	v_lshlrev_b64 v[10:11], 3, v[10:11]
	s_waitcnt lgkmcnt(0)
	s_delay_alu instid0(VALU_DEP_1) | instskip(NEXT) | instid1(VALU_DEP_2)
	v_add_co_u32 v14, vcc_lo, s0, v10
	v_add_co_ci_u32_e32 v15, vcc_lo, s1, v11, vcc_lo
	global_load_b128 v[10:13], v[14:15], off
	s_waitcnt vmcnt(0)
	v_fma_f64 v[0:1], v[3:4], v[10:11], v[8:9]
	v_fma_f64 v[2:3], v[3:4], v[12:13], v[5:6]
	global_store_b128 v[14:15], v[0:3], off
.LBB79_23:
	s_nop 0
	s_sendmsg sendmsg(MSG_DEALLOC_VGPRS)
	s_endpgm
	.section	.rodata,"a",@progbits
	.p2align	6, 0x0
	.amdhsa_kernel _ZN9rocsparseL19gebsrmvn_2xn_kernelILj128ELj1ELj32EdEEvi20rocsparse_direction_NS_24const_host_device_scalarIT2_EEPKiS6_PKS3_S8_S4_PS3_21rocsparse_index_base_b
		.amdhsa_group_segment_fixed_size 0
		.amdhsa_private_segment_fixed_size 0
		.amdhsa_kernarg_size 72
		.amdhsa_user_sgpr_count 15
		.amdhsa_user_sgpr_dispatch_ptr 0
		.amdhsa_user_sgpr_queue_ptr 0
		.amdhsa_user_sgpr_kernarg_segment_ptr 1
		.amdhsa_user_sgpr_dispatch_id 0
		.amdhsa_user_sgpr_private_segment_size 0
		.amdhsa_wavefront_size32 1
		.amdhsa_uses_dynamic_stack 0
		.amdhsa_enable_private_segment 0
		.amdhsa_system_sgpr_workgroup_id_x 1
		.amdhsa_system_sgpr_workgroup_id_y 0
		.amdhsa_system_sgpr_workgroup_id_z 0
		.amdhsa_system_sgpr_workgroup_info 0
		.amdhsa_system_vgpr_workitem_id 0
		.amdhsa_next_free_vgpr 22
		.amdhsa_next_free_sgpr 16
		.amdhsa_reserve_vcc 1
		.amdhsa_float_round_mode_32 0
		.amdhsa_float_round_mode_16_64 0
		.amdhsa_float_denorm_mode_32 3
		.amdhsa_float_denorm_mode_16_64 3
		.amdhsa_dx10_clamp 1
		.amdhsa_ieee_mode 1
		.amdhsa_fp16_overflow 0
		.amdhsa_workgroup_processor_mode 1
		.amdhsa_memory_ordered 1
		.amdhsa_forward_progress 0
		.amdhsa_shared_vgpr_count 0
		.amdhsa_exception_fp_ieee_invalid_op 0
		.amdhsa_exception_fp_denorm_src 0
		.amdhsa_exception_fp_ieee_div_zero 0
		.amdhsa_exception_fp_ieee_overflow 0
		.amdhsa_exception_fp_ieee_underflow 0
		.amdhsa_exception_fp_ieee_inexact 0
		.amdhsa_exception_int_div_zero 0
	.end_amdhsa_kernel
	.section	.text._ZN9rocsparseL19gebsrmvn_2xn_kernelILj128ELj1ELj32EdEEvi20rocsparse_direction_NS_24const_host_device_scalarIT2_EEPKiS6_PKS3_S8_S4_PS3_21rocsparse_index_base_b,"axG",@progbits,_ZN9rocsparseL19gebsrmvn_2xn_kernelILj128ELj1ELj32EdEEvi20rocsparse_direction_NS_24const_host_device_scalarIT2_EEPKiS6_PKS3_S8_S4_PS3_21rocsparse_index_base_b,comdat
.Lfunc_end79:
	.size	_ZN9rocsparseL19gebsrmvn_2xn_kernelILj128ELj1ELj32EdEEvi20rocsparse_direction_NS_24const_host_device_scalarIT2_EEPKiS6_PKS3_S8_S4_PS3_21rocsparse_index_base_b, .Lfunc_end79-_ZN9rocsparseL19gebsrmvn_2xn_kernelILj128ELj1ELj32EdEEvi20rocsparse_direction_NS_24const_host_device_scalarIT2_EEPKiS6_PKS3_S8_S4_PS3_21rocsparse_index_base_b
                                        ; -- End function
	.section	.AMDGPU.csdata,"",@progbits
; Kernel info:
; codeLenInByte = 1384
; NumSgprs: 18
; NumVgprs: 22
; ScratchSize: 0
; MemoryBound: 0
; FloatMode: 240
; IeeeMode: 1
; LDSByteSize: 0 bytes/workgroup (compile time only)
; SGPRBlocks: 2
; VGPRBlocks: 2
; NumSGPRsForWavesPerEU: 18
; NumVGPRsForWavesPerEU: 22
; Occupancy: 16
; WaveLimiterHint : 1
; COMPUTE_PGM_RSRC2:SCRATCH_EN: 0
; COMPUTE_PGM_RSRC2:USER_SGPR: 15
; COMPUTE_PGM_RSRC2:TRAP_HANDLER: 0
; COMPUTE_PGM_RSRC2:TGID_X_EN: 1
; COMPUTE_PGM_RSRC2:TGID_Y_EN: 0
; COMPUTE_PGM_RSRC2:TGID_Z_EN: 0
; COMPUTE_PGM_RSRC2:TIDIG_COMP_CNT: 0
	.section	.text._ZN9rocsparseL19gebsrmvn_2xn_kernelILj128ELj1ELj64EdEEvi20rocsparse_direction_NS_24const_host_device_scalarIT2_EEPKiS6_PKS3_S8_S4_PS3_21rocsparse_index_base_b,"axG",@progbits,_ZN9rocsparseL19gebsrmvn_2xn_kernelILj128ELj1ELj64EdEEvi20rocsparse_direction_NS_24const_host_device_scalarIT2_EEPKiS6_PKS3_S8_S4_PS3_21rocsparse_index_base_b,comdat
	.globl	_ZN9rocsparseL19gebsrmvn_2xn_kernelILj128ELj1ELj64EdEEvi20rocsparse_direction_NS_24const_host_device_scalarIT2_EEPKiS6_PKS3_S8_S4_PS3_21rocsparse_index_base_b ; -- Begin function _ZN9rocsparseL19gebsrmvn_2xn_kernelILj128ELj1ELj64EdEEvi20rocsparse_direction_NS_24const_host_device_scalarIT2_EEPKiS6_PKS3_S8_S4_PS3_21rocsparse_index_base_b
	.p2align	8
	.type	_ZN9rocsparseL19gebsrmvn_2xn_kernelILj128ELj1ELj64EdEEvi20rocsparse_direction_NS_24const_host_device_scalarIT2_EEPKiS6_PKS3_S8_S4_PS3_21rocsparse_index_base_b,@function
_ZN9rocsparseL19gebsrmvn_2xn_kernelILj128ELj1ELj64EdEEvi20rocsparse_direction_NS_24const_host_device_scalarIT2_EEPKiS6_PKS3_S8_S4_PS3_21rocsparse_index_base_b: ; @_ZN9rocsparseL19gebsrmvn_2xn_kernelILj128ELj1ELj64EdEEvi20rocsparse_direction_NS_24const_host_device_scalarIT2_EEPKiS6_PKS3_S8_S4_PS3_21rocsparse_index_base_b
; %bb.0:
	s_clause 0x2
	s_load_b64 s[12:13], s[0:1], 0x40
	s_load_b64 s[4:5], s[0:1], 0x8
	;; [unrolled: 1-line block ×3, first 2 shown]
	s_waitcnt lgkmcnt(0)
	s_bitcmp1_b32 s13, 0
	v_dual_mov_b32 v1, s4 :: v_dual_mov_b32 v2, s5
	s_cselect_b32 s6, -1, 0
	s_delay_alu instid0(SALU_CYCLE_1)
	s_and_b32 vcc_lo, exec_lo, s6
	s_xor_b32 s6, s6, -1
	s_cbranch_vccnz .LBB80_2
; %bb.1:
	v_dual_mov_b32 v1, s4 :: v_dual_mov_b32 v2, s5
	flat_load_b64 v[1:2], v[1:2]
.LBB80_2:
	v_dual_mov_b32 v4, s3 :: v_dual_mov_b32 v3, s2
	s_and_not1_b32 vcc_lo, exec_lo, s6
	s_cbranch_vccnz .LBB80_4
; %bb.3:
	v_dual_mov_b32 v4, s3 :: v_dual_mov_b32 v3, s2
	flat_load_b64 v[3:4], v[3:4]
.LBB80_4:
	s_waitcnt vmcnt(0) lgkmcnt(0)
	v_cmp_neq_f64_e32 vcc_lo, 0, v[1:2]
	v_cmp_neq_f64_e64 s2, 1.0, v[3:4]
	s_delay_alu instid0(VALU_DEP_1) | instskip(NEXT) | instid1(SALU_CYCLE_1)
	s_or_b32 s2, vcc_lo, s2
	s_and_saveexec_b32 s3, s2
	s_cbranch_execz .LBB80_23
; %bb.5:
	s_load_b64 s[2:3], s[0:1], 0x0
	v_lshrrev_b32_e32 v5, 6, v0
	s_delay_alu instid0(VALU_DEP_1) | instskip(SKIP_1) | instid1(VALU_DEP_1)
	v_lshl_or_b32 v5, s15, 1, v5
	s_waitcnt lgkmcnt(0)
	v_cmp_gt_i32_e32 vcc_lo, s2, v5
	s_and_b32 exec_lo, exec_lo, vcc_lo
	s_cbranch_execz .LBB80_23
; %bb.6:
	s_load_b256 s[4:11], s[0:1], 0x10
	v_ashrrev_i32_e32 v6, 31, v5
	v_and_b32_e32 v0, 63, v0
	s_cmp_lg_u32 s3, 0
	s_delay_alu instid0(VALU_DEP_2) | instskip(SKIP_1) | instid1(VALU_DEP_1)
	v_lshlrev_b64 v[6:7], 2, v[5:6]
	s_waitcnt lgkmcnt(0)
	v_add_co_u32 v6, vcc_lo, s4, v6
	s_delay_alu instid0(VALU_DEP_2) | instskip(SKIP_4) | instid1(VALU_DEP_2)
	v_add_co_ci_u32_e32 v7, vcc_lo, s5, v7, vcc_lo
	global_load_b64 v[6:7], v[6:7], off
	s_waitcnt vmcnt(0)
	v_subrev_nc_u32_e32 v6, s12, v6
	v_subrev_nc_u32_e32 v15, s12, v7
	v_add_nc_u32_e32 v10, v6, v0
	s_delay_alu instid0(VALU_DEP_1)
	v_cmp_lt_i32_e64 s2, v10, v15
	s_cbranch_scc0 .LBB80_12
; %bb.7:
	v_mov_b32_e32 v6, 0
	v_mov_b32_e32 v7, 0
	s_delay_alu instid0(VALU_DEP_1)
	v_dual_mov_b32 v9, v7 :: v_dual_mov_b32 v8, v6
	s_and_saveexec_b32 s3, s2
	s_cbranch_execz .LBB80_11
; %bb.8:
	v_dual_mov_b32 v6, 0 :: v_dual_lshlrev_b32 v11, 1, v10
	v_dual_mov_b32 v7, 0 :: v_dual_mov_b32 v12, 0
	v_mov_b32_e32 v13, v10
	s_mov_b32 s4, 0
	s_delay_alu instid0(VALU_DEP_2)
	v_dual_mov_b32 v9, v7 :: v_dual_mov_b32 v8, v6
	s_set_inst_prefetch_distance 0x1
	.p2align	6
.LBB80_9:                               ; =>This Inner Loop Header: Depth=1
	s_delay_alu instid0(VALU_DEP_2) | instskip(SKIP_1) | instid1(VALU_DEP_2)
	v_ashrrev_i32_e32 v14, 31, v13
	v_mov_b32_e32 v19, v12
	v_lshlrev_b64 v[16:17], 2, v[13:14]
	v_add_nc_u32_e32 v13, 64, v13
	s_delay_alu instid0(VALU_DEP_2) | instskip(NEXT) | instid1(VALU_DEP_3)
	v_add_co_u32 v16, vcc_lo, s6, v16
	v_add_co_ci_u32_e32 v17, vcc_lo, s7, v17, vcc_lo
	global_load_b32 v14, v[16:17], off
	v_lshlrev_b64 v[16:17], 3, v[11:12]
	v_add_nc_u32_e32 v11, 0x80, v11
	s_delay_alu instid0(VALU_DEP_2) | instskip(NEXT) | instid1(VALU_DEP_3)
	v_add_co_u32 v16, vcc_lo, s8, v16
	v_add_co_ci_u32_e32 v17, vcc_lo, s9, v17, vcc_lo
	s_waitcnt vmcnt(0)
	v_subrev_nc_u32_e32 v18, s12, v14
	s_delay_alu instid0(VALU_DEP_1) | instskip(NEXT) | instid1(VALU_DEP_1)
	v_lshlrev_b64 v[18:19], 3, v[18:19]
	v_add_co_u32 v20, vcc_lo, s10, v18
	s_delay_alu instid0(VALU_DEP_2)
	v_add_co_ci_u32_e32 v21, vcc_lo, s11, v19, vcc_lo
	v_cmp_ge_i32_e32 vcc_lo, v13, v15
	global_load_b128 v[16:19], v[16:17], off
	global_load_b64 v[20:21], v[20:21], off
	s_or_b32 s4, vcc_lo, s4
	s_waitcnt vmcnt(0)
	v_fma_f64 v[6:7], v[16:17], v[20:21], v[6:7]
	v_fma_f64 v[8:9], v[18:19], v[20:21], v[8:9]
	s_and_not1_b32 exec_lo, exec_lo, s4
	s_cbranch_execnz .LBB80_9
; %bb.10:
	s_set_inst_prefetch_distance 0x2
	s_or_b32 exec_lo, exec_lo, s4
.LBB80_11:
	s_delay_alu instid0(SALU_CYCLE_1)
	s_or_b32 exec_lo, exec_lo, s3
	s_cbranch_execz .LBB80_13
	s_branch .LBB80_18
.LBB80_12:
                                        ; implicit-def: $vgpr6_vgpr7
                                        ; implicit-def: $vgpr8_vgpr9
.LBB80_13:
	v_mov_b32_e32 v6, 0
	v_mov_b32_e32 v7, 0
	s_delay_alu instid0(VALU_DEP_1)
	v_dual_mov_b32 v9, v7 :: v_dual_mov_b32 v8, v6
	s_and_saveexec_b32 s3, s2
	s_cbranch_execz .LBB80_17
; %bb.14:
	v_dual_mov_b32 v6, 0 :: v_dual_mov_b32 v13, 0
	v_dual_mov_b32 v7, 0 :: v_dual_lshlrev_b32 v12, 1, v10
	s_mov_b32 s2, 0
	s_delay_alu instid0(VALU_DEP_1)
	v_dual_mov_b32 v9, v7 :: v_dual_mov_b32 v8, v6
	s_set_inst_prefetch_distance 0x1
	.p2align	6
.LBB80_15:                              ; =>This Inner Loop Header: Depth=1
	v_ashrrev_i32_e32 v11, 31, v10
	v_mov_b32_e32 v19, v13
	s_delay_alu instid0(VALU_DEP_2) | instskip(SKIP_1) | instid1(VALU_DEP_2)
	v_lshlrev_b64 v[16:17], 2, v[10:11]
	v_add_nc_u32_e32 v10, 64, v10
	v_add_co_u32 v16, vcc_lo, s6, v16
	s_delay_alu instid0(VALU_DEP_3) | instskip(SKIP_3) | instid1(VALU_DEP_2)
	v_add_co_ci_u32_e32 v17, vcc_lo, s7, v17, vcc_lo
	global_load_b32 v11, v[16:17], off
	v_lshlrev_b64 v[16:17], 3, v[12:13]
	v_add_nc_u32_e32 v12, 0x80, v12
	v_add_co_u32 v16, vcc_lo, s8, v16
	s_delay_alu instid0(VALU_DEP_3) | instskip(SKIP_2) | instid1(VALU_DEP_1)
	v_add_co_ci_u32_e32 v17, vcc_lo, s9, v17, vcc_lo
	s_waitcnt vmcnt(0)
	v_subrev_nc_u32_e32 v18, s12, v11
	v_lshlrev_b64 v[18:19], 3, v[18:19]
	s_delay_alu instid0(VALU_DEP_1) | instskip(NEXT) | instid1(VALU_DEP_2)
	v_add_co_u32 v20, vcc_lo, s10, v18
	v_add_co_ci_u32_e32 v21, vcc_lo, s11, v19, vcc_lo
	v_cmp_ge_i32_e32 vcc_lo, v10, v15
	global_load_b128 v[16:19], v[16:17], off
	global_load_b64 v[20:21], v[20:21], off
	s_or_b32 s2, vcc_lo, s2
	s_waitcnt vmcnt(0)
	v_fma_f64 v[6:7], v[16:17], v[20:21], v[6:7]
	v_fma_f64 v[8:9], v[18:19], v[20:21], v[8:9]
	s_and_not1_b32 exec_lo, exec_lo, s2
	s_cbranch_execnz .LBB80_15
; %bb.16:
	s_set_inst_prefetch_distance 0x2
	s_or_b32 exec_lo, exec_lo, s2
.LBB80_17:
	s_delay_alu instid0(SALU_CYCLE_1)
	s_or_b32 exec_lo, exec_lo, s3
.LBB80_18:
	v_mbcnt_lo_u32_b32 v14, -1, 0
	s_delay_alu instid0(VALU_DEP_1) | instskip(NEXT) | instid1(VALU_DEP_1)
	v_or_b32_e32 v10, 32, v14
	v_cmp_gt_i32_e32 vcc_lo, 32, v10
	v_cndmask_b32_e32 v10, v14, v10, vcc_lo
	s_delay_alu instid0(VALU_DEP_1)
	v_lshlrev_b32_e32 v13, 2, v10
	ds_bpermute_b32 v10, v13, v6
	ds_bpermute_b32 v11, v13, v7
	ds_bpermute_b32 v12, v13, v8
	ds_bpermute_b32 v13, v13, v9
	s_waitcnt lgkmcnt(2)
	v_add_f64 v[6:7], v[6:7], v[10:11]
	v_xor_b32_e32 v10, 16, v14
	s_waitcnt lgkmcnt(0)
	v_add_f64 v[8:9], v[8:9], v[12:13]
	s_delay_alu instid0(VALU_DEP_2) | instskip(SKIP_1) | instid1(VALU_DEP_1)
	v_cmp_gt_i32_e32 vcc_lo, 32, v10
	v_cndmask_b32_e32 v10, v14, v10, vcc_lo
	v_lshlrev_b32_e32 v13, 2, v10
	ds_bpermute_b32 v10, v13, v6
	ds_bpermute_b32 v11, v13, v7
	ds_bpermute_b32 v12, v13, v8
	ds_bpermute_b32 v13, v13, v9
	s_waitcnt lgkmcnt(2)
	v_add_f64 v[6:7], v[6:7], v[10:11]
	v_xor_b32_e32 v10, 8, v14
	s_waitcnt lgkmcnt(0)
	v_add_f64 v[8:9], v[8:9], v[12:13]
	s_delay_alu instid0(VALU_DEP_2) | instskip(SKIP_1) | instid1(VALU_DEP_1)
	v_cmp_gt_i32_e32 vcc_lo, 32, v10
	v_cndmask_b32_e32 v10, v14, v10, vcc_lo
	;; [unrolled: 13-line block ×4, first 2 shown]
	v_lshlrev_b32_e32 v13, 2, v10
	ds_bpermute_b32 v10, v13, v6
	ds_bpermute_b32 v11, v13, v7
	ds_bpermute_b32 v12, v13, v8
	ds_bpermute_b32 v13, v13, v9
	s_waitcnt lgkmcnt(2)
	v_add_f64 v[6:7], v[6:7], v[10:11]
	s_waitcnt lgkmcnt(0)
	v_add_f64 v[10:11], v[8:9], v[12:13]
	v_xor_b32_e32 v8, 1, v14
	s_delay_alu instid0(VALU_DEP_1) | instskip(SKIP_2) | instid1(VALU_DEP_2)
	v_cmp_gt_i32_e32 vcc_lo, 32, v8
	v_cndmask_b32_e32 v8, v14, v8, vcc_lo
	v_cmp_eq_u32_e32 vcc_lo, 63, v0
	v_lshlrev_b32_e32 v13, 2, v8
	ds_bpermute_b32 v8, v13, v6
	ds_bpermute_b32 v9, v13, v7
	;; [unrolled: 1-line block ×4, first 2 shown]
	s_and_b32 exec_lo, exec_lo, vcc_lo
	s_cbranch_execz .LBB80_23
; %bb.19:
	s_waitcnt lgkmcnt(2)
	v_add_f64 v[8:9], v[6:7], v[8:9]
	s_waitcnt lgkmcnt(0)
	v_add_f64 v[6:7], v[10:11], v[12:13]
	s_load_b64 s[0:1], s[0:1], 0x38
	s_mov_b32 s2, exec_lo
	v_cmpx_eq_f64_e32 0, v[3:4]
	s_xor_b32 s2, exec_lo, s2
	s_cbranch_execz .LBB80_21
; %bb.20:
	s_delay_alu instid0(VALU_DEP_3) | instskip(NEXT) | instid1(VALU_DEP_3)
	v_mul_f64 v[8:9], v[1:2], v[8:9]
	v_mul_f64 v[10:11], v[1:2], v[6:7]
	v_lshlrev_b32_e32 v0, 1, v5
                                        ; implicit-def: $vgpr5
                                        ; implicit-def: $vgpr3_vgpr4
                                        ; implicit-def: $vgpr6_vgpr7
	s_delay_alu instid0(VALU_DEP_1) | instskip(NEXT) | instid1(VALU_DEP_1)
	v_ashrrev_i32_e32 v1, 31, v0
	v_lshlrev_b64 v[0:1], 3, v[0:1]
	s_waitcnt lgkmcnt(0)
	s_delay_alu instid0(VALU_DEP_1) | instskip(NEXT) | instid1(VALU_DEP_2)
	v_add_co_u32 v0, vcc_lo, s0, v0
	v_add_co_ci_u32_e32 v1, vcc_lo, s1, v1, vcc_lo
	global_store_b128 v[0:1], v[8:11], off
                                        ; implicit-def: $vgpr1_vgpr2
                                        ; implicit-def: $vgpr8_vgpr9
.LBB80_21:
	s_and_not1_saveexec_b32 s2, s2
	s_cbranch_execz .LBB80_23
; %bb.22:
	v_lshlrev_b32_e32 v10, 1, v5
	s_delay_alu instid0(VALU_DEP_4) | instskip(NEXT) | instid1(VALU_DEP_4)
	v_mul_f64 v[8:9], v[1:2], v[8:9]
	v_mul_f64 v[5:6], v[1:2], v[6:7]
	s_delay_alu instid0(VALU_DEP_3) | instskip(NEXT) | instid1(VALU_DEP_1)
	v_ashrrev_i32_e32 v11, 31, v10
	v_lshlrev_b64 v[10:11], 3, v[10:11]
	s_waitcnt lgkmcnt(0)
	s_delay_alu instid0(VALU_DEP_1) | instskip(NEXT) | instid1(VALU_DEP_2)
	v_add_co_u32 v14, vcc_lo, s0, v10
	v_add_co_ci_u32_e32 v15, vcc_lo, s1, v11, vcc_lo
	global_load_b128 v[10:13], v[14:15], off
	s_waitcnt vmcnt(0)
	v_fma_f64 v[0:1], v[3:4], v[10:11], v[8:9]
	v_fma_f64 v[2:3], v[3:4], v[12:13], v[5:6]
	global_store_b128 v[14:15], v[0:3], off
.LBB80_23:
	s_nop 0
	s_sendmsg sendmsg(MSG_DEALLOC_VGPRS)
	s_endpgm
	.section	.rodata,"a",@progbits
	.p2align	6, 0x0
	.amdhsa_kernel _ZN9rocsparseL19gebsrmvn_2xn_kernelILj128ELj1ELj64EdEEvi20rocsparse_direction_NS_24const_host_device_scalarIT2_EEPKiS6_PKS3_S8_S4_PS3_21rocsparse_index_base_b
		.amdhsa_group_segment_fixed_size 0
		.amdhsa_private_segment_fixed_size 0
		.amdhsa_kernarg_size 72
		.amdhsa_user_sgpr_count 15
		.amdhsa_user_sgpr_dispatch_ptr 0
		.amdhsa_user_sgpr_queue_ptr 0
		.amdhsa_user_sgpr_kernarg_segment_ptr 1
		.amdhsa_user_sgpr_dispatch_id 0
		.amdhsa_user_sgpr_private_segment_size 0
		.amdhsa_wavefront_size32 1
		.amdhsa_uses_dynamic_stack 0
		.amdhsa_enable_private_segment 0
		.amdhsa_system_sgpr_workgroup_id_x 1
		.amdhsa_system_sgpr_workgroup_id_y 0
		.amdhsa_system_sgpr_workgroup_id_z 0
		.amdhsa_system_sgpr_workgroup_info 0
		.amdhsa_system_vgpr_workitem_id 0
		.amdhsa_next_free_vgpr 22
		.amdhsa_next_free_sgpr 16
		.amdhsa_reserve_vcc 1
		.amdhsa_float_round_mode_32 0
		.amdhsa_float_round_mode_16_64 0
		.amdhsa_float_denorm_mode_32 3
		.amdhsa_float_denorm_mode_16_64 3
		.amdhsa_dx10_clamp 1
		.amdhsa_ieee_mode 1
		.amdhsa_fp16_overflow 0
		.amdhsa_workgroup_processor_mode 1
		.amdhsa_memory_ordered 1
		.amdhsa_forward_progress 0
		.amdhsa_shared_vgpr_count 0
		.amdhsa_exception_fp_ieee_invalid_op 0
		.amdhsa_exception_fp_denorm_src 0
		.amdhsa_exception_fp_ieee_div_zero 0
		.amdhsa_exception_fp_ieee_overflow 0
		.amdhsa_exception_fp_ieee_underflow 0
		.amdhsa_exception_fp_ieee_inexact 0
		.amdhsa_exception_int_div_zero 0
	.end_amdhsa_kernel
	.section	.text._ZN9rocsparseL19gebsrmvn_2xn_kernelILj128ELj1ELj64EdEEvi20rocsparse_direction_NS_24const_host_device_scalarIT2_EEPKiS6_PKS3_S8_S4_PS3_21rocsparse_index_base_b,"axG",@progbits,_ZN9rocsparseL19gebsrmvn_2xn_kernelILj128ELj1ELj64EdEEvi20rocsparse_direction_NS_24const_host_device_scalarIT2_EEPKiS6_PKS3_S8_S4_PS3_21rocsparse_index_base_b,comdat
.Lfunc_end80:
	.size	_ZN9rocsparseL19gebsrmvn_2xn_kernelILj128ELj1ELj64EdEEvi20rocsparse_direction_NS_24const_host_device_scalarIT2_EEPKiS6_PKS3_S8_S4_PS3_21rocsparse_index_base_b, .Lfunc_end80-_ZN9rocsparseL19gebsrmvn_2xn_kernelILj128ELj1ELj64EdEEvi20rocsparse_direction_NS_24const_host_device_scalarIT2_EEPKiS6_PKS3_S8_S4_PS3_21rocsparse_index_base_b
                                        ; -- End function
	.section	.AMDGPU.csdata,"",@progbits
; Kernel info:
; codeLenInByte = 1468
; NumSgprs: 18
; NumVgprs: 22
; ScratchSize: 0
; MemoryBound: 0
; FloatMode: 240
; IeeeMode: 1
; LDSByteSize: 0 bytes/workgroup (compile time only)
; SGPRBlocks: 2
; VGPRBlocks: 2
; NumSGPRsForWavesPerEU: 18
; NumVGPRsForWavesPerEU: 22
; Occupancy: 16
; WaveLimiterHint : 1
; COMPUTE_PGM_RSRC2:SCRATCH_EN: 0
; COMPUTE_PGM_RSRC2:USER_SGPR: 15
; COMPUTE_PGM_RSRC2:TRAP_HANDLER: 0
; COMPUTE_PGM_RSRC2:TGID_X_EN: 1
; COMPUTE_PGM_RSRC2:TGID_Y_EN: 0
; COMPUTE_PGM_RSRC2:TGID_Z_EN: 0
; COMPUTE_PGM_RSRC2:TIDIG_COMP_CNT: 0
	.section	.text._ZN9rocsparseL19gebsrmvn_2xn_kernelILj128ELj3ELj4EdEEvi20rocsparse_direction_NS_24const_host_device_scalarIT2_EEPKiS6_PKS3_S8_S4_PS3_21rocsparse_index_base_b,"axG",@progbits,_ZN9rocsparseL19gebsrmvn_2xn_kernelILj128ELj3ELj4EdEEvi20rocsparse_direction_NS_24const_host_device_scalarIT2_EEPKiS6_PKS3_S8_S4_PS3_21rocsparse_index_base_b,comdat
	.globl	_ZN9rocsparseL19gebsrmvn_2xn_kernelILj128ELj3ELj4EdEEvi20rocsparse_direction_NS_24const_host_device_scalarIT2_EEPKiS6_PKS3_S8_S4_PS3_21rocsparse_index_base_b ; -- Begin function _ZN9rocsparseL19gebsrmvn_2xn_kernelILj128ELj3ELj4EdEEvi20rocsparse_direction_NS_24const_host_device_scalarIT2_EEPKiS6_PKS3_S8_S4_PS3_21rocsparse_index_base_b
	.p2align	8
	.type	_ZN9rocsparseL19gebsrmvn_2xn_kernelILj128ELj3ELj4EdEEvi20rocsparse_direction_NS_24const_host_device_scalarIT2_EEPKiS6_PKS3_S8_S4_PS3_21rocsparse_index_base_b,@function
_ZN9rocsparseL19gebsrmvn_2xn_kernelILj128ELj3ELj4EdEEvi20rocsparse_direction_NS_24const_host_device_scalarIT2_EEPKiS6_PKS3_S8_S4_PS3_21rocsparse_index_base_b: ; @_ZN9rocsparseL19gebsrmvn_2xn_kernelILj128ELj3ELj4EdEEvi20rocsparse_direction_NS_24const_host_device_scalarIT2_EEPKiS6_PKS3_S8_S4_PS3_21rocsparse_index_base_b
; %bb.0:
	s_clause 0x2
	s_load_b64 s[12:13], s[0:1], 0x40
	s_load_b64 s[4:5], s[0:1], 0x8
	;; [unrolled: 1-line block ×3, first 2 shown]
	s_waitcnt lgkmcnt(0)
	s_bitcmp1_b32 s13, 0
	v_dual_mov_b32 v1, s4 :: v_dual_mov_b32 v2, s5
	s_cselect_b32 s6, -1, 0
	s_delay_alu instid0(SALU_CYCLE_1)
	s_and_b32 vcc_lo, exec_lo, s6
	s_xor_b32 s6, s6, -1
	s_cbranch_vccnz .LBB81_2
; %bb.1:
	v_dual_mov_b32 v1, s4 :: v_dual_mov_b32 v2, s5
	flat_load_b64 v[1:2], v[1:2]
.LBB81_2:
	v_dual_mov_b32 v4, s3 :: v_dual_mov_b32 v3, s2
	s_and_not1_b32 vcc_lo, exec_lo, s6
	s_cbranch_vccnz .LBB81_4
; %bb.3:
	v_dual_mov_b32 v4, s3 :: v_dual_mov_b32 v3, s2
	flat_load_b64 v[3:4], v[3:4]
.LBB81_4:
	s_waitcnt vmcnt(0) lgkmcnt(0)
	v_cmp_neq_f64_e32 vcc_lo, 0, v[1:2]
	v_cmp_neq_f64_e64 s2, 1.0, v[3:4]
	s_delay_alu instid0(VALU_DEP_1) | instskip(NEXT) | instid1(SALU_CYCLE_1)
	s_or_b32 s2, vcc_lo, s2
	s_and_saveexec_b32 s3, s2
	s_cbranch_execz .LBB81_23
; %bb.5:
	s_load_b64 s[2:3], s[0:1], 0x0
	v_lshrrev_b32_e32 v5, 2, v0
	s_delay_alu instid0(VALU_DEP_1) | instskip(SKIP_1) | instid1(VALU_DEP_1)
	v_lshl_or_b32 v5, s15, 5, v5
	s_waitcnt lgkmcnt(0)
	v_cmp_gt_i32_e32 vcc_lo, s2, v5
	s_and_b32 exec_lo, exec_lo, vcc_lo
	s_cbranch_execz .LBB81_23
; %bb.6:
	s_load_b256 s[4:11], s[0:1], 0x10
	v_ashrrev_i32_e32 v6, 31, v5
	v_and_b32_e32 v0, 3, v0
	s_cmp_lg_u32 s3, 0
	s_delay_alu instid0(VALU_DEP_2) | instskip(SKIP_1) | instid1(VALU_DEP_1)
	v_lshlrev_b64 v[6:7], 2, v[5:6]
	s_waitcnt lgkmcnt(0)
	v_add_co_u32 v6, vcc_lo, s4, v6
	s_delay_alu instid0(VALU_DEP_2) | instskip(SKIP_4) | instid1(VALU_DEP_2)
	v_add_co_ci_u32_e32 v7, vcc_lo, s5, v7, vcc_lo
	global_load_b64 v[6:7], v[6:7], off
	s_waitcnt vmcnt(0)
	v_subrev_nc_u32_e32 v6, s12, v6
	v_subrev_nc_u32_e32 v16, s12, v7
	v_add_nc_u32_e32 v8, v6, v0
	s_delay_alu instid0(VALU_DEP_1)
	v_cmp_lt_i32_e64 s2, v8, v16
	s_cbranch_scc0 .LBB81_12
; %bb.7:
	v_mov_b32_e32 v6, 0
	v_mov_b32_e32 v7, 0
	s_delay_alu instid0(VALU_DEP_1)
	v_dual_mov_b32 v11, v7 :: v_dual_mov_b32 v10, v6
	s_and_saveexec_b32 s3, s2
	s_cbranch_execz .LBB81_11
; %bb.8:
	v_dual_mov_b32 v6, 0 :: v_dual_mov_b32 v13, 0
	v_dual_mov_b32 v7, 0 :: v_dual_mov_b32 v14, v8
	v_mul_lo_u32 v12, v8, 6
	s_mov_b32 s4, 0
	s_delay_alu instid0(VALU_DEP_2)
	v_dual_mov_b32 v11, v7 :: v_dual_mov_b32 v10, v6
.LBB81_9:                               ; =>This Inner Loop Header: Depth=1
	s_delay_alu instid0(VALU_DEP_3) | instskip(SKIP_2) | instid1(VALU_DEP_3)
	v_ashrrev_i32_e32 v15, 31, v14
	v_mov_b32_e32 v26, v13
	v_mov_b32_e32 v28, v13
	v_lshlrev_b64 v[17:18], 2, v[14:15]
	v_add_nc_u32_e32 v14, 4, v14
	s_delay_alu instid0(VALU_DEP_2) | instskip(NEXT) | instid1(VALU_DEP_3)
	v_add_co_u32 v17, vcc_lo, s6, v17
	v_add_co_ci_u32_e32 v18, vcc_lo, s7, v18, vcc_lo
	global_load_b32 v9, v[17:18], off
	v_lshlrev_b64 v[17:18], 3, v[12:13]
	s_delay_alu instid0(VALU_DEP_1) | instskip(NEXT) | instid1(VALU_DEP_2)
	v_add_co_u32 v17, vcc_lo, s8, v17
	v_add_co_ci_u32_e32 v18, vcc_lo, s9, v18, vcc_lo
	s_waitcnt vmcnt(0)
	v_subrev_nc_u32_e32 v9, s12, v9
	s_delay_alu instid0(VALU_DEP_1) | instskip(SKIP_1) | instid1(VALU_DEP_2)
	v_lshl_add_u32 v25, v9, 1, v9
	v_mov_b32_e32 v23, v13
	v_lshlrev_b64 v[19:20], 3, v[25:26]
	s_delay_alu instid0(VALU_DEP_1) | instskip(NEXT) | instid1(VALU_DEP_2)
	v_add_co_u32 v21, vcc_lo, s10, v19
	v_add_co_ci_u32_e32 v22, vcc_lo, s11, v20, vcc_lo
	global_load_b128 v[17:20], v[17:18], off
	global_load_b64 v[29:30], v[21:22], off
	v_dual_mov_b32 v22, v13 :: v_dual_add_nc_u32 v21, 2, v12
	s_delay_alu instid0(VALU_DEP_1) | instskip(SKIP_1) | instid1(VALU_DEP_1)
	v_lshlrev_b64 v[26:27], 3, v[21:22]
	v_add_nc_u32_e32 v22, 1, v25
	v_lshlrev_b64 v[23:24], 3, v[22:23]
	s_delay_alu instid0(VALU_DEP_3) | instskip(NEXT) | instid1(VALU_DEP_4)
	v_add_co_u32 v21, vcc_lo, s8, v26
	v_add_co_ci_u32_e32 v22, vcc_lo, s9, v27, vcc_lo
	s_delay_alu instid0(VALU_DEP_3) | instskip(NEXT) | instid1(VALU_DEP_4)
	v_add_co_u32 v26, vcc_lo, s10, v23
	v_add_co_ci_u32_e32 v27, vcc_lo, s11, v24, vcc_lo
	global_load_b128 v[21:24], v[21:22], off
	global_load_b64 v[31:32], v[26:27], off
	v_dual_mov_b32 v27, v13 :: v_dual_add_nc_u32 v26, 4, v12
	v_add_nc_u32_e32 v12, 24, v12
	s_delay_alu instid0(VALU_DEP_2) | instskip(SKIP_1) | instid1(VALU_DEP_1)
	v_lshlrev_b64 v[33:34], 3, v[26:27]
	v_add_nc_u32_e32 v27, 2, v25
	v_lshlrev_b64 v[27:28], 3, v[27:28]
	s_delay_alu instid0(VALU_DEP_3) | instskip(NEXT) | instid1(VALU_DEP_4)
	v_add_co_u32 v25, vcc_lo, s8, v33
	v_add_co_ci_u32_e32 v26, vcc_lo, s9, v34, vcc_lo
	s_delay_alu instid0(VALU_DEP_3) | instskip(NEXT) | instid1(VALU_DEP_4)
	v_add_co_u32 v33, vcc_lo, s10, v27
	v_add_co_ci_u32_e32 v34, vcc_lo, s11, v28, vcc_lo
	global_load_b128 v[25:28], v[25:26], off
	global_load_b64 v[33:34], v[33:34], off
	v_cmp_ge_i32_e32 vcc_lo, v14, v16
	s_or_b32 s4, vcc_lo, s4
	s_waitcnt vmcnt(4)
	v_fma_f64 v[6:7], v[17:18], v[29:30], v[6:7]
	v_fma_f64 v[9:10], v[19:20], v[29:30], v[10:11]
	s_waitcnt vmcnt(2)
	s_delay_alu instid0(VALU_DEP_2) | instskip(NEXT) | instid1(VALU_DEP_2)
	v_fma_f64 v[6:7], v[21:22], v[31:32], v[6:7]
	v_fma_f64 v[9:10], v[23:24], v[31:32], v[9:10]
	s_waitcnt vmcnt(0)
	s_delay_alu instid0(VALU_DEP_2) | instskip(NEXT) | instid1(VALU_DEP_2)
	v_fma_f64 v[6:7], v[25:26], v[33:34], v[6:7]
	v_fma_f64 v[10:11], v[27:28], v[33:34], v[9:10]
	s_and_not1_b32 exec_lo, exec_lo, s4
	s_cbranch_execnz .LBB81_9
; %bb.10:
	s_or_b32 exec_lo, exec_lo, s4
.LBB81_11:
	s_delay_alu instid0(SALU_CYCLE_1)
	s_or_b32 exec_lo, exec_lo, s3
	s_cbranch_execz .LBB81_13
	s_branch .LBB81_18
.LBB81_12:
                                        ; implicit-def: $vgpr6_vgpr7
                                        ; implicit-def: $vgpr10_vgpr11
.LBB81_13:
	v_mov_b32_e32 v6, 0
	v_mov_b32_e32 v7, 0
	s_delay_alu instid0(VALU_DEP_1)
	v_dual_mov_b32 v11, v7 :: v_dual_mov_b32 v10, v6
	s_and_saveexec_b32 s3, s2
	s_cbranch_execz .LBB81_17
; %bb.14:
	v_mov_b32_e32 v6, 0
	v_dual_mov_b32 v7, 0 :: v_dual_mov_b32 v14, 0
	v_mad_u64_u32 v[12:13], null, v8, 6, 5
	s_mov_b32 s2, 0
	s_delay_alu instid0(VALU_DEP_2)
	v_dual_mov_b32 v11, v7 :: v_dual_mov_b32 v10, v6
.LBB81_15:                              ; =>This Inner Loop Header: Depth=1
	v_ashrrev_i32_e32 v9, 31, v8
	s_delay_alu instid0(VALU_DEP_3) | instskip(NEXT) | instid1(VALU_DEP_2)
	v_dual_mov_b32 v22, v14 :: v_dual_add_nc_u32 v13, -5, v12
	v_lshlrev_b64 v[17:18], 2, v[8:9]
	s_delay_alu instid0(VALU_DEP_2) | instskip(SKIP_1) | instid1(VALU_DEP_3)
	v_lshlrev_b64 v[19:20], 3, v[13:14]
	v_add_nc_u32_e32 v8, 4, v8
	v_add_co_u32 v17, vcc_lo, s6, v17
	s_delay_alu instid0(VALU_DEP_4) | instskip(NEXT) | instid1(VALU_DEP_4)
	v_add_co_ci_u32_e32 v18, vcc_lo, s7, v18, vcc_lo
	v_add_co_u32 v19, vcc_lo, s8, v19
	v_add_co_ci_u32_e32 v20, vcc_lo, s9, v20, vcc_lo
	global_load_b32 v9, v[17:18], off
	v_dual_mov_b32 v18, v14 :: v_dual_add_nc_u32 v17, -2, v12
	s_delay_alu instid0(VALU_DEP_1) | instskip(NEXT) | instid1(VALU_DEP_1)
	v_lshlrev_b64 v[17:18], 3, v[17:18]
	v_add_co_u32 v23, vcc_lo, s8, v17
	s_delay_alu instid0(VALU_DEP_2) | instskip(SKIP_2) | instid1(VALU_DEP_1)
	v_add_co_ci_u32_e32 v24, vcc_lo, s9, v18, vcc_lo
	s_waitcnt vmcnt(0)
	v_subrev_nc_u32_e32 v9, s12, v9
	v_lshl_add_u32 v21, v9, 1, v9
	s_delay_alu instid0(VALU_DEP_1) | instskip(SKIP_1) | instid1(VALU_DEP_2)
	v_lshlrev_b64 v[25:26], 3, v[21:22]
	v_add_nc_u32_e32 v13, 1, v21
	v_add_co_u32 v25, vcc_lo, s10, v25
	s_delay_alu instid0(VALU_DEP_3)
	v_add_co_ci_u32_e32 v26, vcc_lo, s11, v26, vcc_lo
	s_clause 0x1
	global_load_b128 v[17:20], v[19:20], off
	global_load_b64 v[22:23], v[23:24], off
	global_load_b64 v[24:25], v[25:26], off
	v_lshlrev_b64 v[26:27], 3, v[13:14]
	v_add_nc_u32_e32 v13, -1, v12
	s_delay_alu instid0(VALU_DEP_1) | instskip(NEXT) | instid1(VALU_DEP_3)
	v_lshlrev_b64 v[28:29], 3, v[13:14]
	v_add_co_u32 v26, vcc_lo, s10, v26
	s_delay_alu instid0(VALU_DEP_4) | instskip(SKIP_1) | instid1(VALU_DEP_4)
	v_add_co_ci_u32_e32 v27, vcc_lo, s11, v27, vcc_lo
	v_mov_b32_e32 v13, v14
	v_add_co_u32 v28, vcc_lo, s8, v28
	v_add_co_ci_u32_e32 v29, vcc_lo, s9, v29, vcc_lo
	global_load_b64 v[26:27], v[26:27], off
	global_load_b64 v[28:29], v[28:29], off
	v_lshlrev_b64 v[30:31], 3, v[12:13]
	v_add_nc_u32_e32 v13, -3, v12
	v_add_nc_u32_e32 v12, 24, v12
	s_delay_alu instid0(VALU_DEP_2) | instskip(SKIP_3) | instid1(VALU_DEP_3)
	v_lshlrev_b64 v[32:33], 3, v[13:14]
	v_add_nc_u32_e32 v13, 2, v21
	v_add_co_u32 v30, vcc_lo, s8, v30
	v_add_co_ci_u32_e32 v31, vcc_lo, s9, v31, vcc_lo
	v_lshlrev_b64 v[34:35], 3, v[13:14]
	v_add_co_u32 v32, vcc_lo, s8, v32
	v_add_co_ci_u32_e32 v33, vcc_lo, s9, v33, vcc_lo
	s_delay_alu instid0(VALU_DEP_3) | instskip(NEXT) | instid1(VALU_DEP_4)
	v_add_co_u32 v34, vcc_lo, s10, v34
	v_add_co_ci_u32_e32 v35, vcc_lo, s11, v35, vcc_lo
	s_clause 0x1
	global_load_b64 v[30:31], v[30:31], off
	global_load_b64 v[32:33], v[32:33], off
	global_load_b64 v[34:35], v[34:35], off
	v_cmp_ge_i32_e32 vcc_lo, v8, v16
	s_or_b32 s2, vcc_lo, s2
	s_waitcnt vmcnt(5)
	v_fma_f64 v[6:7], v[17:18], v[24:25], v[6:7]
	v_fma_f64 v[9:10], v[22:23], v[24:25], v[10:11]
	s_waitcnt vmcnt(4)
	s_delay_alu instid0(VALU_DEP_2) | instskip(SKIP_1) | instid1(VALU_DEP_2)
	v_fma_f64 v[6:7], v[19:20], v[26:27], v[6:7]
	s_waitcnt vmcnt(3)
	v_fma_f64 v[9:10], v[28:29], v[26:27], v[9:10]
	s_waitcnt vmcnt(0)
	s_delay_alu instid0(VALU_DEP_2) | instskip(NEXT) | instid1(VALU_DEP_2)
	v_fma_f64 v[6:7], v[32:33], v[34:35], v[6:7]
	v_fma_f64 v[10:11], v[30:31], v[34:35], v[9:10]
	s_and_not1_b32 exec_lo, exec_lo, s2
	s_cbranch_execnz .LBB81_15
; %bb.16:
	s_or_b32 exec_lo, exec_lo, s2
.LBB81_17:
	s_delay_alu instid0(SALU_CYCLE_1)
	s_or_b32 exec_lo, exec_lo, s3
.LBB81_18:
	v_mbcnt_lo_u32_b32 v14, -1, 0
	s_delay_alu instid0(VALU_DEP_1) | instskip(NEXT) | instid1(VALU_DEP_1)
	v_xor_b32_e32 v8, 2, v14
	v_cmp_gt_i32_e32 vcc_lo, 32, v8
	v_cndmask_b32_e32 v8, v14, v8, vcc_lo
	s_delay_alu instid0(VALU_DEP_1)
	v_lshlrev_b32_e32 v13, 2, v8
	ds_bpermute_b32 v8, v13, v6
	ds_bpermute_b32 v9, v13, v7
	ds_bpermute_b32 v12, v13, v10
	ds_bpermute_b32 v13, v13, v11
	s_waitcnt lgkmcnt(2)
	v_add_f64 v[6:7], v[6:7], v[8:9]
	v_xor_b32_e32 v8, 1, v14
	s_waitcnt lgkmcnt(0)
	v_add_f64 v[10:11], v[10:11], v[12:13]
	s_delay_alu instid0(VALU_DEP_2) | instskip(SKIP_2) | instid1(VALU_DEP_2)
	v_cmp_gt_i32_e32 vcc_lo, 32, v8
	v_cndmask_b32_e32 v8, v14, v8, vcc_lo
	v_cmp_eq_u32_e32 vcc_lo, 3, v0
	v_lshlrev_b32_e32 v13, 2, v8
	ds_bpermute_b32 v8, v13, v6
	ds_bpermute_b32 v9, v13, v7
	ds_bpermute_b32 v12, v13, v10
	ds_bpermute_b32 v13, v13, v11
	s_and_b32 exec_lo, exec_lo, vcc_lo
	s_cbranch_execz .LBB81_23
; %bb.19:
	s_waitcnt lgkmcnt(2)
	v_add_f64 v[8:9], v[6:7], v[8:9]
	s_waitcnt lgkmcnt(0)
	v_add_f64 v[6:7], v[10:11], v[12:13]
	s_load_b64 s[0:1], s[0:1], 0x38
	s_mov_b32 s2, exec_lo
	v_cmpx_eq_f64_e32 0, v[3:4]
	s_xor_b32 s2, exec_lo, s2
	s_cbranch_execz .LBB81_21
; %bb.20:
	s_delay_alu instid0(VALU_DEP_3) | instskip(NEXT) | instid1(VALU_DEP_3)
	v_mul_f64 v[8:9], v[1:2], v[8:9]
	v_mul_f64 v[10:11], v[1:2], v[6:7]
	v_lshlrev_b32_e32 v0, 1, v5
                                        ; implicit-def: $vgpr5
                                        ; implicit-def: $vgpr3_vgpr4
                                        ; implicit-def: $vgpr6_vgpr7
	s_delay_alu instid0(VALU_DEP_1) | instskip(NEXT) | instid1(VALU_DEP_1)
	v_ashrrev_i32_e32 v1, 31, v0
	v_lshlrev_b64 v[0:1], 3, v[0:1]
	s_waitcnt lgkmcnt(0)
	s_delay_alu instid0(VALU_DEP_1) | instskip(NEXT) | instid1(VALU_DEP_2)
	v_add_co_u32 v0, vcc_lo, s0, v0
	v_add_co_ci_u32_e32 v1, vcc_lo, s1, v1, vcc_lo
	global_store_b128 v[0:1], v[8:11], off
                                        ; implicit-def: $vgpr1_vgpr2
                                        ; implicit-def: $vgpr8_vgpr9
.LBB81_21:
	s_and_not1_saveexec_b32 s2, s2
	s_cbranch_execz .LBB81_23
; %bb.22:
	v_lshlrev_b32_e32 v10, 1, v5
	s_delay_alu instid0(VALU_DEP_4) | instskip(NEXT) | instid1(VALU_DEP_4)
	v_mul_f64 v[8:9], v[1:2], v[8:9]
	v_mul_f64 v[5:6], v[1:2], v[6:7]
	s_delay_alu instid0(VALU_DEP_3) | instskip(NEXT) | instid1(VALU_DEP_1)
	v_ashrrev_i32_e32 v11, 31, v10
	v_lshlrev_b64 v[10:11], 3, v[10:11]
	s_waitcnt lgkmcnt(0)
	s_delay_alu instid0(VALU_DEP_1) | instskip(NEXT) | instid1(VALU_DEP_2)
	v_add_co_u32 v14, vcc_lo, s0, v10
	v_add_co_ci_u32_e32 v15, vcc_lo, s1, v11, vcc_lo
	global_load_b128 v[10:13], v[14:15], off
	s_waitcnt vmcnt(0)
	v_fma_f64 v[0:1], v[3:4], v[10:11], v[8:9]
	v_fma_f64 v[2:3], v[3:4], v[12:13], v[5:6]
	global_store_b128 v[14:15], v[0:3], off
.LBB81_23:
	s_nop 0
	s_sendmsg sendmsg(MSG_DEALLOC_VGPRS)
	s_endpgm
	.section	.rodata,"a",@progbits
	.p2align	6, 0x0
	.amdhsa_kernel _ZN9rocsparseL19gebsrmvn_2xn_kernelILj128ELj3ELj4EdEEvi20rocsparse_direction_NS_24const_host_device_scalarIT2_EEPKiS6_PKS3_S8_S4_PS3_21rocsparse_index_base_b
		.amdhsa_group_segment_fixed_size 0
		.amdhsa_private_segment_fixed_size 0
		.amdhsa_kernarg_size 72
		.amdhsa_user_sgpr_count 15
		.amdhsa_user_sgpr_dispatch_ptr 0
		.amdhsa_user_sgpr_queue_ptr 0
		.amdhsa_user_sgpr_kernarg_segment_ptr 1
		.amdhsa_user_sgpr_dispatch_id 0
		.amdhsa_user_sgpr_private_segment_size 0
		.amdhsa_wavefront_size32 1
		.amdhsa_uses_dynamic_stack 0
		.amdhsa_enable_private_segment 0
		.amdhsa_system_sgpr_workgroup_id_x 1
		.amdhsa_system_sgpr_workgroup_id_y 0
		.amdhsa_system_sgpr_workgroup_id_z 0
		.amdhsa_system_sgpr_workgroup_info 0
		.amdhsa_system_vgpr_workitem_id 0
		.amdhsa_next_free_vgpr 36
		.amdhsa_next_free_sgpr 16
		.amdhsa_reserve_vcc 1
		.amdhsa_float_round_mode_32 0
		.amdhsa_float_round_mode_16_64 0
		.amdhsa_float_denorm_mode_32 3
		.amdhsa_float_denorm_mode_16_64 3
		.amdhsa_dx10_clamp 1
		.amdhsa_ieee_mode 1
		.amdhsa_fp16_overflow 0
		.amdhsa_workgroup_processor_mode 1
		.amdhsa_memory_ordered 1
		.amdhsa_forward_progress 0
		.amdhsa_shared_vgpr_count 0
		.amdhsa_exception_fp_ieee_invalid_op 0
		.amdhsa_exception_fp_denorm_src 0
		.amdhsa_exception_fp_ieee_div_zero 0
		.amdhsa_exception_fp_ieee_overflow 0
		.amdhsa_exception_fp_ieee_underflow 0
		.amdhsa_exception_fp_ieee_inexact 0
		.amdhsa_exception_int_div_zero 0
	.end_amdhsa_kernel
	.section	.text._ZN9rocsparseL19gebsrmvn_2xn_kernelILj128ELj3ELj4EdEEvi20rocsparse_direction_NS_24const_host_device_scalarIT2_EEPKiS6_PKS3_S8_S4_PS3_21rocsparse_index_base_b,"axG",@progbits,_ZN9rocsparseL19gebsrmvn_2xn_kernelILj128ELj3ELj4EdEEvi20rocsparse_direction_NS_24const_host_device_scalarIT2_EEPKiS6_PKS3_S8_S4_PS3_21rocsparse_index_base_b,comdat
.Lfunc_end81:
	.size	_ZN9rocsparseL19gebsrmvn_2xn_kernelILj128ELj3ELj4EdEEvi20rocsparse_direction_NS_24const_host_device_scalarIT2_EEPKiS6_PKS3_S8_S4_PS3_21rocsparse_index_base_b, .Lfunc_end81-_ZN9rocsparseL19gebsrmvn_2xn_kernelILj128ELj3ELj4EdEEvi20rocsparse_direction_NS_24const_host_device_scalarIT2_EEPKiS6_PKS3_S8_S4_PS3_21rocsparse_index_base_b
                                        ; -- End function
	.section	.AMDGPU.csdata,"",@progbits
; Kernel info:
; codeLenInByte = 1668
; NumSgprs: 18
; NumVgprs: 36
; ScratchSize: 0
; MemoryBound: 0
; FloatMode: 240
; IeeeMode: 1
; LDSByteSize: 0 bytes/workgroup (compile time only)
; SGPRBlocks: 2
; VGPRBlocks: 4
; NumSGPRsForWavesPerEU: 18
; NumVGPRsForWavesPerEU: 36
; Occupancy: 16
; WaveLimiterHint : 1
; COMPUTE_PGM_RSRC2:SCRATCH_EN: 0
; COMPUTE_PGM_RSRC2:USER_SGPR: 15
; COMPUTE_PGM_RSRC2:TRAP_HANDLER: 0
; COMPUTE_PGM_RSRC2:TGID_X_EN: 1
; COMPUTE_PGM_RSRC2:TGID_Y_EN: 0
; COMPUTE_PGM_RSRC2:TGID_Z_EN: 0
; COMPUTE_PGM_RSRC2:TIDIG_COMP_CNT: 0
	.section	.text._ZN9rocsparseL19gebsrmvn_2xn_kernelILj128ELj3ELj8EdEEvi20rocsparse_direction_NS_24const_host_device_scalarIT2_EEPKiS6_PKS3_S8_S4_PS3_21rocsparse_index_base_b,"axG",@progbits,_ZN9rocsparseL19gebsrmvn_2xn_kernelILj128ELj3ELj8EdEEvi20rocsparse_direction_NS_24const_host_device_scalarIT2_EEPKiS6_PKS3_S8_S4_PS3_21rocsparse_index_base_b,comdat
	.globl	_ZN9rocsparseL19gebsrmvn_2xn_kernelILj128ELj3ELj8EdEEvi20rocsparse_direction_NS_24const_host_device_scalarIT2_EEPKiS6_PKS3_S8_S4_PS3_21rocsparse_index_base_b ; -- Begin function _ZN9rocsparseL19gebsrmvn_2xn_kernelILj128ELj3ELj8EdEEvi20rocsparse_direction_NS_24const_host_device_scalarIT2_EEPKiS6_PKS3_S8_S4_PS3_21rocsparse_index_base_b
	.p2align	8
	.type	_ZN9rocsparseL19gebsrmvn_2xn_kernelILj128ELj3ELj8EdEEvi20rocsparse_direction_NS_24const_host_device_scalarIT2_EEPKiS6_PKS3_S8_S4_PS3_21rocsparse_index_base_b,@function
_ZN9rocsparseL19gebsrmvn_2xn_kernelILj128ELj3ELj8EdEEvi20rocsparse_direction_NS_24const_host_device_scalarIT2_EEPKiS6_PKS3_S8_S4_PS3_21rocsparse_index_base_b: ; @_ZN9rocsparseL19gebsrmvn_2xn_kernelILj128ELj3ELj8EdEEvi20rocsparse_direction_NS_24const_host_device_scalarIT2_EEPKiS6_PKS3_S8_S4_PS3_21rocsparse_index_base_b
; %bb.0:
	s_clause 0x2
	s_load_b64 s[12:13], s[0:1], 0x40
	s_load_b64 s[4:5], s[0:1], 0x8
	;; [unrolled: 1-line block ×3, first 2 shown]
	s_waitcnt lgkmcnt(0)
	s_bitcmp1_b32 s13, 0
	v_dual_mov_b32 v1, s4 :: v_dual_mov_b32 v2, s5
	s_cselect_b32 s6, -1, 0
	s_delay_alu instid0(SALU_CYCLE_1)
	s_and_b32 vcc_lo, exec_lo, s6
	s_xor_b32 s6, s6, -1
	s_cbranch_vccnz .LBB82_2
; %bb.1:
	v_dual_mov_b32 v1, s4 :: v_dual_mov_b32 v2, s5
	flat_load_b64 v[1:2], v[1:2]
.LBB82_2:
	v_dual_mov_b32 v4, s3 :: v_dual_mov_b32 v3, s2
	s_and_not1_b32 vcc_lo, exec_lo, s6
	s_cbranch_vccnz .LBB82_4
; %bb.3:
	v_dual_mov_b32 v4, s3 :: v_dual_mov_b32 v3, s2
	flat_load_b64 v[3:4], v[3:4]
.LBB82_4:
	s_waitcnt vmcnt(0) lgkmcnt(0)
	v_cmp_neq_f64_e32 vcc_lo, 0, v[1:2]
	v_cmp_neq_f64_e64 s2, 1.0, v[3:4]
	s_delay_alu instid0(VALU_DEP_1) | instskip(NEXT) | instid1(SALU_CYCLE_1)
	s_or_b32 s2, vcc_lo, s2
	s_and_saveexec_b32 s3, s2
	s_cbranch_execz .LBB82_23
; %bb.5:
	s_load_b64 s[2:3], s[0:1], 0x0
	v_lshrrev_b32_e32 v5, 3, v0
	s_delay_alu instid0(VALU_DEP_1) | instskip(SKIP_1) | instid1(VALU_DEP_1)
	v_lshl_or_b32 v5, s15, 4, v5
	s_waitcnt lgkmcnt(0)
	v_cmp_gt_i32_e32 vcc_lo, s2, v5
	s_and_b32 exec_lo, exec_lo, vcc_lo
	s_cbranch_execz .LBB82_23
; %bb.6:
	s_load_b256 s[4:11], s[0:1], 0x10
	v_ashrrev_i32_e32 v6, 31, v5
	v_and_b32_e32 v0, 7, v0
	s_cmp_lg_u32 s3, 0
	s_delay_alu instid0(VALU_DEP_2) | instskip(SKIP_1) | instid1(VALU_DEP_1)
	v_lshlrev_b64 v[6:7], 2, v[5:6]
	s_waitcnt lgkmcnt(0)
	v_add_co_u32 v6, vcc_lo, s4, v6
	s_delay_alu instid0(VALU_DEP_2) | instskip(SKIP_4) | instid1(VALU_DEP_2)
	v_add_co_ci_u32_e32 v7, vcc_lo, s5, v7, vcc_lo
	global_load_b64 v[6:7], v[6:7], off
	s_waitcnt vmcnt(0)
	v_subrev_nc_u32_e32 v6, s12, v6
	v_subrev_nc_u32_e32 v15, s12, v7
	v_add_nc_u32_e32 v10, v6, v0
	s_delay_alu instid0(VALU_DEP_1)
	v_cmp_lt_i32_e64 s2, v10, v15
	s_cbranch_scc0 .LBB82_12
; %bb.7:
	v_mov_b32_e32 v6, 0
	v_mov_b32_e32 v7, 0
	s_delay_alu instid0(VALU_DEP_1)
	v_dual_mov_b32 v9, v7 :: v_dual_mov_b32 v8, v6
	s_and_saveexec_b32 s3, s2
	s_cbranch_execz .LBB82_11
; %bb.8:
	v_dual_mov_b32 v6, 0 :: v_dual_mov_b32 v13, v10
	v_dual_mov_b32 v7, 0 :: v_dual_mov_b32 v12, 0
	v_mul_lo_u32 v11, v10, 6
	s_mov_b32 s4, 0
	s_delay_alu instid0(VALU_DEP_2)
	v_dual_mov_b32 v9, v7 :: v_dual_mov_b32 v8, v6
.LBB82_9:                               ; =>This Inner Loop Header: Depth=1
	v_ashrrev_i32_e32 v14, 31, v13
	v_mov_b32_e32 v25, v12
	v_mov_b32_e32 v27, v12
	s_delay_alu instid0(VALU_DEP_3) | instskip(SKIP_1) | instid1(VALU_DEP_2)
	v_lshlrev_b64 v[16:17], 2, v[13:14]
	v_add_nc_u32_e32 v13, 8, v13
	v_add_co_u32 v16, vcc_lo, s6, v16
	s_delay_alu instid0(VALU_DEP_3) | instskip(SKIP_2) | instid1(VALU_DEP_1)
	v_add_co_ci_u32_e32 v17, vcc_lo, s7, v17, vcc_lo
	global_load_b32 v14, v[16:17], off
	v_lshlrev_b64 v[16:17], 3, v[11:12]
	v_add_co_u32 v16, vcc_lo, s8, v16
	s_delay_alu instid0(VALU_DEP_2) | instskip(SKIP_2) | instid1(VALU_DEP_1)
	v_add_co_ci_u32_e32 v17, vcc_lo, s9, v17, vcc_lo
	s_waitcnt vmcnt(0)
	v_subrev_nc_u32_e32 v14, s12, v14
	v_lshl_add_u32 v24, v14, 1, v14
	v_mov_b32_e32 v22, v12
	s_delay_alu instid0(VALU_DEP_2) | instskip(NEXT) | instid1(VALU_DEP_1)
	v_lshlrev_b64 v[18:19], 3, v[24:25]
	v_add_co_u32 v20, vcc_lo, s10, v18
	s_delay_alu instid0(VALU_DEP_2) | instskip(SKIP_3) | instid1(VALU_DEP_1)
	v_add_co_ci_u32_e32 v21, vcc_lo, s11, v19, vcc_lo
	global_load_b128 v[16:19], v[16:17], off
	global_load_b64 v[28:29], v[20:21], off
	v_dual_mov_b32 v21, v12 :: v_dual_add_nc_u32 v20, 2, v11
	v_lshlrev_b64 v[25:26], 3, v[20:21]
	v_add_nc_u32_e32 v21, 1, v24
	s_delay_alu instid0(VALU_DEP_1) | instskip(NEXT) | instid1(VALU_DEP_3)
	v_lshlrev_b64 v[22:23], 3, v[21:22]
	v_add_co_u32 v20, vcc_lo, s8, v25
	s_delay_alu instid0(VALU_DEP_4) | instskip(NEXT) | instid1(VALU_DEP_3)
	v_add_co_ci_u32_e32 v21, vcc_lo, s9, v26, vcc_lo
	v_add_co_u32 v25, vcc_lo, s10, v22
	s_delay_alu instid0(VALU_DEP_4) | instskip(SKIP_4) | instid1(VALU_DEP_2)
	v_add_co_ci_u32_e32 v26, vcc_lo, s11, v23, vcc_lo
	global_load_b128 v[20:23], v[20:21], off
	global_load_b64 v[30:31], v[25:26], off
	v_dual_mov_b32 v26, v12 :: v_dual_add_nc_u32 v25, 4, v11
	v_add_nc_u32_e32 v11, 48, v11
	v_lshlrev_b64 v[32:33], 3, v[25:26]
	v_add_nc_u32_e32 v26, 2, v24
	s_delay_alu instid0(VALU_DEP_1) | instskip(NEXT) | instid1(VALU_DEP_3)
	v_lshlrev_b64 v[26:27], 3, v[26:27]
	v_add_co_u32 v24, vcc_lo, s8, v32
	s_delay_alu instid0(VALU_DEP_4) | instskip(NEXT) | instid1(VALU_DEP_3)
	v_add_co_ci_u32_e32 v25, vcc_lo, s9, v33, vcc_lo
	v_add_co_u32 v32, vcc_lo, s10, v26
	s_delay_alu instid0(VALU_DEP_4)
	v_add_co_ci_u32_e32 v33, vcc_lo, s11, v27, vcc_lo
	global_load_b128 v[24:27], v[24:25], off
	global_load_b64 v[32:33], v[32:33], off
	v_cmp_ge_i32_e32 vcc_lo, v13, v15
	s_or_b32 s4, vcc_lo, s4
	s_waitcnt vmcnt(4)
	v_fma_f64 v[6:7], v[16:17], v[28:29], v[6:7]
	v_fma_f64 v[8:9], v[18:19], v[28:29], v[8:9]
	s_waitcnt vmcnt(2)
	s_delay_alu instid0(VALU_DEP_2) | instskip(NEXT) | instid1(VALU_DEP_2)
	v_fma_f64 v[6:7], v[20:21], v[30:31], v[6:7]
	v_fma_f64 v[8:9], v[22:23], v[30:31], v[8:9]
	s_waitcnt vmcnt(0)
	s_delay_alu instid0(VALU_DEP_2) | instskip(NEXT) | instid1(VALU_DEP_2)
	v_fma_f64 v[6:7], v[24:25], v[32:33], v[6:7]
	v_fma_f64 v[8:9], v[26:27], v[32:33], v[8:9]
	s_and_not1_b32 exec_lo, exec_lo, s4
	s_cbranch_execnz .LBB82_9
; %bb.10:
	s_or_b32 exec_lo, exec_lo, s4
.LBB82_11:
	s_delay_alu instid0(SALU_CYCLE_1)
	s_or_b32 exec_lo, exec_lo, s3
	s_cbranch_execz .LBB82_13
	s_branch .LBB82_18
.LBB82_12:
                                        ; implicit-def: $vgpr6_vgpr7
                                        ; implicit-def: $vgpr8_vgpr9
.LBB82_13:
	v_mov_b32_e32 v6, 0
	v_mov_b32_e32 v7, 0
	s_delay_alu instid0(VALU_DEP_1)
	v_dual_mov_b32 v9, v7 :: v_dual_mov_b32 v8, v6
	s_and_saveexec_b32 s3, s2
	s_cbranch_execz .LBB82_17
; %bb.14:
	v_mov_b32_e32 v6, 0
	v_dual_mov_b32 v7, 0 :: v_dual_mov_b32 v14, 0
	v_mad_u64_u32 v[12:13], null, v10, 6, 5
	s_mov_b32 s2, 0
	s_delay_alu instid0(VALU_DEP_2)
	v_dual_mov_b32 v9, v7 :: v_dual_mov_b32 v8, v6
.LBB82_15:                              ; =>This Inner Loop Header: Depth=1
	v_ashrrev_i32_e32 v11, 31, v10
	s_delay_alu instid0(VALU_DEP_3) | instskip(SKIP_1) | instid1(VALU_DEP_3)
	v_add_nc_u32_e32 v13, -5, v12
	v_mov_b32_e32 v21, v14
	v_lshlrev_b64 v[16:17], 2, v[10:11]
	s_delay_alu instid0(VALU_DEP_3) | instskip(SKIP_1) | instid1(VALU_DEP_3)
	v_lshlrev_b64 v[18:19], 3, v[13:14]
	v_add_nc_u32_e32 v10, 8, v10
	v_add_co_u32 v16, vcc_lo, s6, v16
	s_delay_alu instid0(VALU_DEP_4) | instskip(NEXT) | instid1(VALU_DEP_4)
	v_add_co_ci_u32_e32 v17, vcc_lo, s7, v17, vcc_lo
	v_add_co_u32 v18, vcc_lo, s8, v18
	v_add_co_ci_u32_e32 v19, vcc_lo, s9, v19, vcc_lo
	global_load_b32 v11, v[16:17], off
	v_dual_mov_b32 v17, v14 :: v_dual_add_nc_u32 v16, -2, v12
	s_delay_alu instid0(VALU_DEP_1) | instskip(NEXT) | instid1(VALU_DEP_1)
	v_lshlrev_b64 v[16:17], 3, v[16:17]
	v_add_co_u32 v22, vcc_lo, s8, v16
	s_delay_alu instid0(VALU_DEP_2) | instskip(SKIP_2) | instid1(VALU_DEP_1)
	v_add_co_ci_u32_e32 v23, vcc_lo, s9, v17, vcc_lo
	s_waitcnt vmcnt(0)
	v_subrev_nc_u32_e32 v11, s12, v11
	v_lshl_add_u32 v20, v11, 1, v11
	s_delay_alu instid0(VALU_DEP_1) | instskip(SKIP_1) | instid1(VALU_DEP_2)
	v_lshlrev_b64 v[24:25], 3, v[20:21]
	v_add_nc_u32_e32 v13, 1, v20
	v_add_co_u32 v24, vcc_lo, s10, v24
	s_delay_alu instid0(VALU_DEP_3)
	v_add_co_ci_u32_e32 v25, vcc_lo, s11, v25, vcc_lo
	s_clause 0x1
	global_load_b128 v[16:19], v[18:19], off
	global_load_b64 v[21:22], v[22:23], off
	global_load_b64 v[23:24], v[24:25], off
	v_lshlrev_b64 v[25:26], 3, v[13:14]
	v_add_nc_u32_e32 v13, -1, v12
	s_delay_alu instid0(VALU_DEP_1) | instskip(NEXT) | instid1(VALU_DEP_3)
	v_lshlrev_b64 v[27:28], 3, v[13:14]
	v_add_co_u32 v25, vcc_lo, s10, v25
	s_delay_alu instid0(VALU_DEP_4) | instskip(SKIP_1) | instid1(VALU_DEP_4)
	v_add_co_ci_u32_e32 v26, vcc_lo, s11, v26, vcc_lo
	v_mov_b32_e32 v13, v14
	v_add_co_u32 v27, vcc_lo, s8, v27
	v_add_co_ci_u32_e32 v28, vcc_lo, s9, v28, vcc_lo
	global_load_b64 v[25:26], v[25:26], off
	global_load_b64 v[27:28], v[27:28], off
	v_lshlrev_b64 v[29:30], 3, v[12:13]
	v_add_nc_u32_e32 v13, -3, v12
	v_add_nc_u32_e32 v12, 48, v12
	s_delay_alu instid0(VALU_DEP_2) | instskip(SKIP_3) | instid1(VALU_DEP_3)
	v_lshlrev_b64 v[31:32], 3, v[13:14]
	v_add_nc_u32_e32 v13, 2, v20
	v_add_co_u32 v29, vcc_lo, s8, v29
	v_add_co_ci_u32_e32 v30, vcc_lo, s9, v30, vcc_lo
	v_lshlrev_b64 v[33:34], 3, v[13:14]
	v_add_co_u32 v31, vcc_lo, s8, v31
	v_add_co_ci_u32_e32 v32, vcc_lo, s9, v32, vcc_lo
	s_delay_alu instid0(VALU_DEP_3) | instskip(NEXT) | instid1(VALU_DEP_4)
	v_add_co_u32 v33, vcc_lo, s10, v33
	v_add_co_ci_u32_e32 v34, vcc_lo, s11, v34, vcc_lo
	s_clause 0x1
	global_load_b64 v[29:30], v[29:30], off
	global_load_b64 v[31:32], v[31:32], off
	global_load_b64 v[33:34], v[33:34], off
	v_cmp_ge_i32_e32 vcc_lo, v10, v15
	s_or_b32 s2, vcc_lo, s2
	s_waitcnt vmcnt(5)
	v_fma_f64 v[6:7], v[16:17], v[23:24], v[6:7]
	v_fma_f64 v[8:9], v[21:22], v[23:24], v[8:9]
	s_waitcnt vmcnt(4)
	s_delay_alu instid0(VALU_DEP_2) | instskip(SKIP_1) | instid1(VALU_DEP_2)
	v_fma_f64 v[6:7], v[18:19], v[25:26], v[6:7]
	s_waitcnt vmcnt(3)
	v_fma_f64 v[8:9], v[27:28], v[25:26], v[8:9]
	s_waitcnt vmcnt(0)
	s_delay_alu instid0(VALU_DEP_2) | instskip(NEXT) | instid1(VALU_DEP_2)
	v_fma_f64 v[6:7], v[31:32], v[33:34], v[6:7]
	v_fma_f64 v[8:9], v[29:30], v[33:34], v[8:9]
	s_and_not1_b32 exec_lo, exec_lo, s2
	s_cbranch_execnz .LBB82_15
; %bb.16:
	s_or_b32 exec_lo, exec_lo, s2
.LBB82_17:
	s_delay_alu instid0(SALU_CYCLE_1)
	s_or_b32 exec_lo, exec_lo, s3
.LBB82_18:
	v_mbcnt_lo_u32_b32 v14, -1, 0
	s_delay_alu instid0(VALU_DEP_1) | instskip(NEXT) | instid1(VALU_DEP_1)
	v_xor_b32_e32 v10, 4, v14
	v_cmp_gt_i32_e32 vcc_lo, 32, v10
	v_cndmask_b32_e32 v10, v14, v10, vcc_lo
	s_delay_alu instid0(VALU_DEP_1)
	v_lshlrev_b32_e32 v13, 2, v10
	ds_bpermute_b32 v10, v13, v6
	ds_bpermute_b32 v11, v13, v7
	;; [unrolled: 1-line block ×4, first 2 shown]
	s_waitcnt lgkmcnt(2)
	v_add_f64 v[6:7], v[6:7], v[10:11]
	v_xor_b32_e32 v10, 2, v14
	s_waitcnt lgkmcnt(0)
	v_add_f64 v[8:9], v[8:9], v[12:13]
	s_delay_alu instid0(VALU_DEP_2) | instskip(SKIP_1) | instid1(VALU_DEP_1)
	v_cmp_gt_i32_e32 vcc_lo, 32, v10
	v_cndmask_b32_e32 v10, v14, v10, vcc_lo
	v_lshlrev_b32_e32 v13, 2, v10
	ds_bpermute_b32 v10, v13, v6
	ds_bpermute_b32 v11, v13, v7
	;; [unrolled: 1-line block ×4, first 2 shown]
	s_waitcnt lgkmcnt(2)
	v_add_f64 v[6:7], v[6:7], v[10:11]
	s_waitcnt lgkmcnt(0)
	v_add_f64 v[10:11], v[8:9], v[12:13]
	v_xor_b32_e32 v8, 1, v14
	s_delay_alu instid0(VALU_DEP_1) | instskip(SKIP_2) | instid1(VALU_DEP_2)
	v_cmp_gt_i32_e32 vcc_lo, 32, v8
	v_cndmask_b32_e32 v8, v14, v8, vcc_lo
	v_cmp_eq_u32_e32 vcc_lo, 7, v0
	v_lshlrev_b32_e32 v13, 2, v8
	ds_bpermute_b32 v8, v13, v6
	ds_bpermute_b32 v9, v13, v7
	;; [unrolled: 1-line block ×4, first 2 shown]
	s_and_b32 exec_lo, exec_lo, vcc_lo
	s_cbranch_execz .LBB82_23
; %bb.19:
	s_waitcnt lgkmcnt(2)
	v_add_f64 v[8:9], v[6:7], v[8:9]
	s_waitcnt lgkmcnt(0)
	v_add_f64 v[6:7], v[10:11], v[12:13]
	s_load_b64 s[0:1], s[0:1], 0x38
	s_mov_b32 s2, exec_lo
	v_cmpx_eq_f64_e32 0, v[3:4]
	s_xor_b32 s2, exec_lo, s2
	s_cbranch_execz .LBB82_21
; %bb.20:
	s_delay_alu instid0(VALU_DEP_3) | instskip(NEXT) | instid1(VALU_DEP_3)
	v_mul_f64 v[8:9], v[1:2], v[8:9]
	v_mul_f64 v[10:11], v[1:2], v[6:7]
	v_lshlrev_b32_e32 v0, 1, v5
                                        ; implicit-def: $vgpr5
                                        ; implicit-def: $vgpr3_vgpr4
                                        ; implicit-def: $vgpr6_vgpr7
	s_delay_alu instid0(VALU_DEP_1) | instskip(NEXT) | instid1(VALU_DEP_1)
	v_ashrrev_i32_e32 v1, 31, v0
	v_lshlrev_b64 v[0:1], 3, v[0:1]
	s_waitcnt lgkmcnt(0)
	s_delay_alu instid0(VALU_DEP_1) | instskip(NEXT) | instid1(VALU_DEP_2)
	v_add_co_u32 v0, vcc_lo, s0, v0
	v_add_co_ci_u32_e32 v1, vcc_lo, s1, v1, vcc_lo
	global_store_b128 v[0:1], v[8:11], off
                                        ; implicit-def: $vgpr1_vgpr2
                                        ; implicit-def: $vgpr8_vgpr9
.LBB82_21:
	s_and_not1_saveexec_b32 s2, s2
	s_cbranch_execz .LBB82_23
; %bb.22:
	v_lshlrev_b32_e32 v10, 1, v5
	s_delay_alu instid0(VALU_DEP_4) | instskip(NEXT) | instid1(VALU_DEP_4)
	v_mul_f64 v[8:9], v[1:2], v[8:9]
	v_mul_f64 v[5:6], v[1:2], v[6:7]
	s_delay_alu instid0(VALU_DEP_3) | instskip(NEXT) | instid1(VALU_DEP_1)
	v_ashrrev_i32_e32 v11, 31, v10
	v_lshlrev_b64 v[10:11], 3, v[10:11]
	s_waitcnt lgkmcnt(0)
	s_delay_alu instid0(VALU_DEP_1) | instskip(NEXT) | instid1(VALU_DEP_2)
	v_add_co_u32 v14, vcc_lo, s0, v10
	v_add_co_ci_u32_e32 v15, vcc_lo, s1, v11, vcc_lo
	global_load_b128 v[10:13], v[14:15], off
	s_waitcnt vmcnt(0)
	v_fma_f64 v[0:1], v[3:4], v[10:11], v[8:9]
	v_fma_f64 v[2:3], v[3:4], v[12:13], v[5:6]
	global_store_b128 v[14:15], v[0:3], off
.LBB82_23:
	s_nop 0
	s_sendmsg sendmsg(MSG_DEALLOC_VGPRS)
	s_endpgm
	.section	.rodata,"a",@progbits
	.p2align	6, 0x0
	.amdhsa_kernel _ZN9rocsparseL19gebsrmvn_2xn_kernelILj128ELj3ELj8EdEEvi20rocsparse_direction_NS_24const_host_device_scalarIT2_EEPKiS6_PKS3_S8_S4_PS3_21rocsparse_index_base_b
		.amdhsa_group_segment_fixed_size 0
		.amdhsa_private_segment_fixed_size 0
		.amdhsa_kernarg_size 72
		.amdhsa_user_sgpr_count 15
		.amdhsa_user_sgpr_dispatch_ptr 0
		.amdhsa_user_sgpr_queue_ptr 0
		.amdhsa_user_sgpr_kernarg_segment_ptr 1
		.amdhsa_user_sgpr_dispatch_id 0
		.amdhsa_user_sgpr_private_segment_size 0
		.amdhsa_wavefront_size32 1
		.amdhsa_uses_dynamic_stack 0
		.amdhsa_enable_private_segment 0
		.amdhsa_system_sgpr_workgroup_id_x 1
		.amdhsa_system_sgpr_workgroup_id_y 0
		.amdhsa_system_sgpr_workgroup_id_z 0
		.amdhsa_system_sgpr_workgroup_info 0
		.amdhsa_system_vgpr_workitem_id 0
		.amdhsa_next_free_vgpr 35
		.amdhsa_next_free_sgpr 16
		.amdhsa_reserve_vcc 1
		.amdhsa_float_round_mode_32 0
		.amdhsa_float_round_mode_16_64 0
		.amdhsa_float_denorm_mode_32 3
		.amdhsa_float_denorm_mode_16_64 3
		.amdhsa_dx10_clamp 1
		.amdhsa_ieee_mode 1
		.amdhsa_fp16_overflow 0
		.amdhsa_workgroup_processor_mode 1
		.amdhsa_memory_ordered 1
		.amdhsa_forward_progress 0
		.amdhsa_shared_vgpr_count 0
		.amdhsa_exception_fp_ieee_invalid_op 0
		.amdhsa_exception_fp_denorm_src 0
		.amdhsa_exception_fp_ieee_div_zero 0
		.amdhsa_exception_fp_ieee_overflow 0
		.amdhsa_exception_fp_ieee_underflow 0
		.amdhsa_exception_fp_ieee_inexact 0
		.amdhsa_exception_int_div_zero 0
	.end_amdhsa_kernel
	.section	.text._ZN9rocsparseL19gebsrmvn_2xn_kernelILj128ELj3ELj8EdEEvi20rocsparse_direction_NS_24const_host_device_scalarIT2_EEPKiS6_PKS3_S8_S4_PS3_21rocsparse_index_base_b,"axG",@progbits,_ZN9rocsparseL19gebsrmvn_2xn_kernelILj128ELj3ELj8EdEEvi20rocsparse_direction_NS_24const_host_device_scalarIT2_EEPKiS6_PKS3_S8_S4_PS3_21rocsparse_index_base_b,comdat
.Lfunc_end82:
	.size	_ZN9rocsparseL19gebsrmvn_2xn_kernelILj128ELj3ELj8EdEEvi20rocsparse_direction_NS_24const_host_device_scalarIT2_EEPKiS6_PKS3_S8_S4_PS3_21rocsparse_index_base_b, .Lfunc_end82-_ZN9rocsparseL19gebsrmvn_2xn_kernelILj128ELj3ELj8EdEEvi20rocsparse_direction_NS_24const_host_device_scalarIT2_EEPKiS6_PKS3_S8_S4_PS3_21rocsparse_index_base_b
                                        ; -- End function
	.section	.AMDGPU.csdata,"",@progbits
; Kernel info:
; codeLenInByte = 1744
; NumSgprs: 18
; NumVgprs: 35
; ScratchSize: 0
; MemoryBound: 0
; FloatMode: 240
; IeeeMode: 1
; LDSByteSize: 0 bytes/workgroup (compile time only)
; SGPRBlocks: 2
; VGPRBlocks: 4
; NumSGPRsForWavesPerEU: 18
; NumVGPRsForWavesPerEU: 35
; Occupancy: 16
; WaveLimiterHint : 1
; COMPUTE_PGM_RSRC2:SCRATCH_EN: 0
; COMPUTE_PGM_RSRC2:USER_SGPR: 15
; COMPUTE_PGM_RSRC2:TRAP_HANDLER: 0
; COMPUTE_PGM_RSRC2:TGID_X_EN: 1
; COMPUTE_PGM_RSRC2:TGID_Y_EN: 0
; COMPUTE_PGM_RSRC2:TGID_Z_EN: 0
; COMPUTE_PGM_RSRC2:TIDIG_COMP_CNT: 0
	.section	.text._ZN9rocsparseL19gebsrmvn_2xn_kernelILj128ELj3ELj16EdEEvi20rocsparse_direction_NS_24const_host_device_scalarIT2_EEPKiS6_PKS3_S8_S4_PS3_21rocsparse_index_base_b,"axG",@progbits,_ZN9rocsparseL19gebsrmvn_2xn_kernelILj128ELj3ELj16EdEEvi20rocsparse_direction_NS_24const_host_device_scalarIT2_EEPKiS6_PKS3_S8_S4_PS3_21rocsparse_index_base_b,comdat
	.globl	_ZN9rocsparseL19gebsrmvn_2xn_kernelILj128ELj3ELj16EdEEvi20rocsparse_direction_NS_24const_host_device_scalarIT2_EEPKiS6_PKS3_S8_S4_PS3_21rocsparse_index_base_b ; -- Begin function _ZN9rocsparseL19gebsrmvn_2xn_kernelILj128ELj3ELj16EdEEvi20rocsparse_direction_NS_24const_host_device_scalarIT2_EEPKiS6_PKS3_S8_S4_PS3_21rocsparse_index_base_b
	.p2align	8
	.type	_ZN9rocsparseL19gebsrmvn_2xn_kernelILj128ELj3ELj16EdEEvi20rocsparse_direction_NS_24const_host_device_scalarIT2_EEPKiS6_PKS3_S8_S4_PS3_21rocsparse_index_base_b,@function
_ZN9rocsparseL19gebsrmvn_2xn_kernelILj128ELj3ELj16EdEEvi20rocsparse_direction_NS_24const_host_device_scalarIT2_EEPKiS6_PKS3_S8_S4_PS3_21rocsparse_index_base_b: ; @_ZN9rocsparseL19gebsrmvn_2xn_kernelILj128ELj3ELj16EdEEvi20rocsparse_direction_NS_24const_host_device_scalarIT2_EEPKiS6_PKS3_S8_S4_PS3_21rocsparse_index_base_b
; %bb.0:
	s_clause 0x2
	s_load_b64 s[12:13], s[0:1], 0x40
	s_load_b64 s[4:5], s[0:1], 0x8
	;; [unrolled: 1-line block ×3, first 2 shown]
	s_waitcnt lgkmcnt(0)
	s_bitcmp1_b32 s13, 0
	v_dual_mov_b32 v1, s4 :: v_dual_mov_b32 v2, s5
	s_cselect_b32 s6, -1, 0
	s_delay_alu instid0(SALU_CYCLE_1)
	s_and_b32 vcc_lo, exec_lo, s6
	s_xor_b32 s6, s6, -1
	s_cbranch_vccnz .LBB83_2
; %bb.1:
	v_dual_mov_b32 v1, s4 :: v_dual_mov_b32 v2, s5
	flat_load_b64 v[1:2], v[1:2]
.LBB83_2:
	v_dual_mov_b32 v4, s3 :: v_dual_mov_b32 v3, s2
	s_and_not1_b32 vcc_lo, exec_lo, s6
	s_cbranch_vccnz .LBB83_4
; %bb.3:
	v_dual_mov_b32 v4, s3 :: v_dual_mov_b32 v3, s2
	flat_load_b64 v[3:4], v[3:4]
.LBB83_4:
	s_waitcnt vmcnt(0) lgkmcnt(0)
	v_cmp_neq_f64_e32 vcc_lo, 0, v[1:2]
	v_cmp_neq_f64_e64 s2, 1.0, v[3:4]
	s_delay_alu instid0(VALU_DEP_1) | instskip(NEXT) | instid1(SALU_CYCLE_1)
	s_or_b32 s2, vcc_lo, s2
	s_and_saveexec_b32 s3, s2
	s_cbranch_execz .LBB83_23
; %bb.5:
	s_load_b64 s[2:3], s[0:1], 0x0
	v_lshrrev_b32_e32 v5, 4, v0
	s_delay_alu instid0(VALU_DEP_1) | instskip(SKIP_1) | instid1(VALU_DEP_1)
	v_lshl_or_b32 v5, s15, 3, v5
	s_waitcnt lgkmcnt(0)
	v_cmp_gt_i32_e32 vcc_lo, s2, v5
	s_and_b32 exec_lo, exec_lo, vcc_lo
	s_cbranch_execz .LBB83_23
; %bb.6:
	s_load_b256 s[4:11], s[0:1], 0x10
	v_ashrrev_i32_e32 v6, 31, v5
	v_and_b32_e32 v0, 15, v0
	s_cmp_lg_u32 s3, 0
	s_delay_alu instid0(VALU_DEP_2) | instskip(SKIP_1) | instid1(VALU_DEP_1)
	v_lshlrev_b64 v[6:7], 2, v[5:6]
	s_waitcnt lgkmcnt(0)
	v_add_co_u32 v6, vcc_lo, s4, v6
	s_delay_alu instid0(VALU_DEP_2) | instskip(SKIP_4) | instid1(VALU_DEP_2)
	v_add_co_ci_u32_e32 v7, vcc_lo, s5, v7, vcc_lo
	global_load_b64 v[6:7], v[6:7], off
	s_waitcnt vmcnt(0)
	v_subrev_nc_u32_e32 v6, s12, v6
	v_subrev_nc_u32_e32 v15, s12, v7
	v_add_nc_u32_e32 v10, v6, v0
	s_delay_alu instid0(VALU_DEP_1)
	v_cmp_lt_i32_e64 s2, v10, v15
	s_cbranch_scc0 .LBB83_12
; %bb.7:
	v_mov_b32_e32 v6, 0
	v_mov_b32_e32 v7, 0
	s_delay_alu instid0(VALU_DEP_1)
	v_dual_mov_b32 v9, v7 :: v_dual_mov_b32 v8, v6
	s_and_saveexec_b32 s3, s2
	s_cbranch_execz .LBB83_11
; %bb.8:
	v_dual_mov_b32 v6, 0 :: v_dual_mov_b32 v13, v10
	v_dual_mov_b32 v7, 0 :: v_dual_mov_b32 v12, 0
	v_mul_lo_u32 v11, v10, 6
	s_mov_b32 s4, 0
	s_delay_alu instid0(VALU_DEP_2)
	v_dual_mov_b32 v9, v7 :: v_dual_mov_b32 v8, v6
.LBB83_9:                               ; =>This Inner Loop Header: Depth=1
	v_ashrrev_i32_e32 v14, 31, v13
	v_mov_b32_e32 v25, v12
	v_mov_b32_e32 v27, v12
	s_delay_alu instid0(VALU_DEP_3) | instskip(SKIP_1) | instid1(VALU_DEP_2)
	v_lshlrev_b64 v[16:17], 2, v[13:14]
	v_add_nc_u32_e32 v13, 16, v13
	v_add_co_u32 v16, vcc_lo, s6, v16
	s_delay_alu instid0(VALU_DEP_3) | instskip(SKIP_2) | instid1(VALU_DEP_1)
	v_add_co_ci_u32_e32 v17, vcc_lo, s7, v17, vcc_lo
	global_load_b32 v14, v[16:17], off
	v_lshlrev_b64 v[16:17], 3, v[11:12]
	v_add_co_u32 v16, vcc_lo, s8, v16
	s_delay_alu instid0(VALU_DEP_2) | instskip(SKIP_2) | instid1(VALU_DEP_1)
	v_add_co_ci_u32_e32 v17, vcc_lo, s9, v17, vcc_lo
	s_waitcnt vmcnt(0)
	v_subrev_nc_u32_e32 v14, s12, v14
	v_lshl_add_u32 v24, v14, 1, v14
	v_mov_b32_e32 v22, v12
	s_delay_alu instid0(VALU_DEP_2) | instskip(NEXT) | instid1(VALU_DEP_1)
	v_lshlrev_b64 v[18:19], 3, v[24:25]
	v_add_co_u32 v20, vcc_lo, s10, v18
	s_delay_alu instid0(VALU_DEP_2) | instskip(SKIP_3) | instid1(VALU_DEP_1)
	v_add_co_ci_u32_e32 v21, vcc_lo, s11, v19, vcc_lo
	global_load_b128 v[16:19], v[16:17], off
	global_load_b64 v[28:29], v[20:21], off
	v_dual_mov_b32 v21, v12 :: v_dual_add_nc_u32 v20, 2, v11
	v_lshlrev_b64 v[25:26], 3, v[20:21]
	v_add_nc_u32_e32 v21, 1, v24
	s_delay_alu instid0(VALU_DEP_1) | instskip(NEXT) | instid1(VALU_DEP_3)
	v_lshlrev_b64 v[22:23], 3, v[21:22]
	v_add_co_u32 v20, vcc_lo, s8, v25
	s_delay_alu instid0(VALU_DEP_4) | instskip(NEXT) | instid1(VALU_DEP_3)
	v_add_co_ci_u32_e32 v21, vcc_lo, s9, v26, vcc_lo
	v_add_co_u32 v25, vcc_lo, s10, v22
	s_delay_alu instid0(VALU_DEP_4) | instskip(SKIP_4) | instid1(VALU_DEP_2)
	v_add_co_ci_u32_e32 v26, vcc_lo, s11, v23, vcc_lo
	global_load_b128 v[20:23], v[20:21], off
	global_load_b64 v[30:31], v[25:26], off
	v_dual_mov_b32 v26, v12 :: v_dual_add_nc_u32 v25, 4, v11
	v_add_nc_u32_e32 v11, 0x60, v11
	v_lshlrev_b64 v[32:33], 3, v[25:26]
	v_add_nc_u32_e32 v26, 2, v24
	s_delay_alu instid0(VALU_DEP_1) | instskip(NEXT) | instid1(VALU_DEP_3)
	v_lshlrev_b64 v[26:27], 3, v[26:27]
	v_add_co_u32 v24, vcc_lo, s8, v32
	s_delay_alu instid0(VALU_DEP_4) | instskip(NEXT) | instid1(VALU_DEP_3)
	v_add_co_ci_u32_e32 v25, vcc_lo, s9, v33, vcc_lo
	v_add_co_u32 v32, vcc_lo, s10, v26
	s_delay_alu instid0(VALU_DEP_4)
	v_add_co_ci_u32_e32 v33, vcc_lo, s11, v27, vcc_lo
	global_load_b128 v[24:27], v[24:25], off
	global_load_b64 v[32:33], v[32:33], off
	v_cmp_ge_i32_e32 vcc_lo, v13, v15
	s_or_b32 s4, vcc_lo, s4
	s_waitcnt vmcnt(4)
	v_fma_f64 v[6:7], v[16:17], v[28:29], v[6:7]
	v_fma_f64 v[8:9], v[18:19], v[28:29], v[8:9]
	s_waitcnt vmcnt(2)
	s_delay_alu instid0(VALU_DEP_2) | instskip(NEXT) | instid1(VALU_DEP_2)
	v_fma_f64 v[6:7], v[20:21], v[30:31], v[6:7]
	v_fma_f64 v[8:9], v[22:23], v[30:31], v[8:9]
	s_waitcnt vmcnt(0)
	s_delay_alu instid0(VALU_DEP_2) | instskip(NEXT) | instid1(VALU_DEP_2)
	v_fma_f64 v[6:7], v[24:25], v[32:33], v[6:7]
	v_fma_f64 v[8:9], v[26:27], v[32:33], v[8:9]
	s_and_not1_b32 exec_lo, exec_lo, s4
	s_cbranch_execnz .LBB83_9
; %bb.10:
	s_or_b32 exec_lo, exec_lo, s4
.LBB83_11:
	s_delay_alu instid0(SALU_CYCLE_1)
	s_or_b32 exec_lo, exec_lo, s3
	s_cbranch_execz .LBB83_13
	s_branch .LBB83_18
.LBB83_12:
                                        ; implicit-def: $vgpr6_vgpr7
                                        ; implicit-def: $vgpr8_vgpr9
.LBB83_13:
	v_mov_b32_e32 v6, 0
	v_mov_b32_e32 v7, 0
	s_delay_alu instid0(VALU_DEP_1)
	v_dual_mov_b32 v9, v7 :: v_dual_mov_b32 v8, v6
	s_and_saveexec_b32 s3, s2
	s_cbranch_execz .LBB83_17
; %bb.14:
	v_mov_b32_e32 v6, 0
	v_dual_mov_b32 v7, 0 :: v_dual_mov_b32 v14, 0
	v_mad_u64_u32 v[12:13], null, v10, 6, 5
	s_mov_b32 s2, 0
	s_delay_alu instid0(VALU_DEP_2)
	v_dual_mov_b32 v9, v7 :: v_dual_mov_b32 v8, v6
.LBB83_15:                              ; =>This Inner Loop Header: Depth=1
	v_ashrrev_i32_e32 v11, 31, v10
	s_delay_alu instid0(VALU_DEP_3) | instskip(SKIP_1) | instid1(VALU_DEP_3)
	v_add_nc_u32_e32 v13, -5, v12
	v_mov_b32_e32 v21, v14
	v_lshlrev_b64 v[16:17], 2, v[10:11]
	s_delay_alu instid0(VALU_DEP_3) | instskip(SKIP_1) | instid1(VALU_DEP_3)
	v_lshlrev_b64 v[18:19], 3, v[13:14]
	v_add_nc_u32_e32 v10, 16, v10
	v_add_co_u32 v16, vcc_lo, s6, v16
	s_delay_alu instid0(VALU_DEP_4) | instskip(NEXT) | instid1(VALU_DEP_4)
	v_add_co_ci_u32_e32 v17, vcc_lo, s7, v17, vcc_lo
	v_add_co_u32 v18, vcc_lo, s8, v18
	v_add_co_ci_u32_e32 v19, vcc_lo, s9, v19, vcc_lo
	global_load_b32 v11, v[16:17], off
	v_dual_mov_b32 v17, v14 :: v_dual_add_nc_u32 v16, -2, v12
	s_delay_alu instid0(VALU_DEP_1) | instskip(NEXT) | instid1(VALU_DEP_1)
	v_lshlrev_b64 v[16:17], 3, v[16:17]
	v_add_co_u32 v22, vcc_lo, s8, v16
	s_delay_alu instid0(VALU_DEP_2) | instskip(SKIP_2) | instid1(VALU_DEP_1)
	v_add_co_ci_u32_e32 v23, vcc_lo, s9, v17, vcc_lo
	s_waitcnt vmcnt(0)
	v_subrev_nc_u32_e32 v11, s12, v11
	v_lshl_add_u32 v20, v11, 1, v11
	s_delay_alu instid0(VALU_DEP_1) | instskip(SKIP_1) | instid1(VALU_DEP_2)
	v_lshlrev_b64 v[24:25], 3, v[20:21]
	v_add_nc_u32_e32 v13, 1, v20
	v_add_co_u32 v24, vcc_lo, s10, v24
	s_delay_alu instid0(VALU_DEP_3)
	v_add_co_ci_u32_e32 v25, vcc_lo, s11, v25, vcc_lo
	s_clause 0x1
	global_load_b128 v[16:19], v[18:19], off
	global_load_b64 v[21:22], v[22:23], off
	global_load_b64 v[23:24], v[24:25], off
	v_lshlrev_b64 v[25:26], 3, v[13:14]
	v_add_nc_u32_e32 v13, -1, v12
	s_delay_alu instid0(VALU_DEP_1) | instskip(NEXT) | instid1(VALU_DEP_3)
	v_lshlrev_b64 v[27:28], 3, v[13:14]
	v_add_co_u32 v25, vcc_lo, s10, v25
	s_delay_alu instid0(VALU_DEP_4) | instskip(SKIP_1) | instid1(VALU_DEP_4)
	v_add_co_ci_u32_e32 v26, vcc_lo, s11, v26, vcc_lo
	v_mov_b32_e32 v13, v14
	v_add_co_u32 v27, vcc_lo, s8, v27
	v_add_co_ci_u32_e32 v28, vcc_lo, s9, v28, vcc_lo
	global_load_b64 v[25:26], v[25:26], off
	global_load_b64 v[27:28], v[27:28], off
	v_lshlrev_b64 v[29:30], 3, v[12:13]
	v_add_nc_u32_e32 v13, -3, v12
	v_add_nc_u32_e32 v12, 0x60, v12
	s_delay_alu instid0(VALU_DEP_2) | instskip(SKIP_3) | instid1(VALU_DEP_3)
	v_lshlrev_b64 v[31:32], 3, v[13:14]
	v_add_nc_u32_e32 v13, 2, v20
	v_add_co_u32 v29, vcc_lo, s8, v29
	v_add_co_ci_u32_e32 v30, vcc_lo, s9, v30, vcc_lo
	v_lshlrev_b64 v[33:34], 3, v[13:14]
	v_add_co_u32 v31, vcc_lo, s8, v31
	v_add_co_ci_u32_e32 v32, vcc_lo, s9, v32, vcc_lo
	s_delay_alu instid0(VALU_DEP_3) | instskip(NEXT) | instid1(VALU_DEP_4)
	v_add_co_u32 v33, vcc_lo, s10, v33
	v_add_co_ci_u32_e32 v34, vcc_lo, s11, v34, vcc_lo
	s_clause 0x1
	global_load_b64 v[29:30], v[29:30], off
	global_load_b64 v[31:32], v[31:32], off
	;; [unrolled: 1-line block ×3, first 2 shown]
	v_cmp_ge_i32_e32 vcc_lo, v10, v15
	s_or_b32 s2, vcc_lo, s2
	s_waitcnt vmcnt(5)
	v_fma_f64 v[6:7], v[16:17], v[23:24], v[6:7]
	v_fma_f64 v[8:9], v[21:22], v[23:24], v[8:9]
	s_waitcnt vmcnt(4)
	s_delay_alu instid0(VALU_DEP_2) | instskip(SKIP_1) | instid1(VALU_DEP_2)
	v_fma_f64 v[6:7], v[18:19], v[25:26], v[6:7]
	s_waitcnt vmcnt(3)
	v_fma_f64 v[8:9], v[27:28], v[25:26], v[8:9]
	s_waitcnt vmcnt(0)
	s_delay_alu instid0(VALU_DEP_2) | instskip(NEXT) | instid1(VALU_DEP_2)
	v_fma_f64 v[6:7], v[31:32], v[33:34], v[6:7]
	v_fma_f64 v[8:9], v[29:30], v[33:34], v[8:9]
	s_and_not1_b32 exec_lo, exec_lo, s2
	s_cbranch_execnz .LBB83_15
; %bb.16:
	s_or_b32 exec_lo, exec_lo, s2
.LBB83_17:
	s_delay_alu instid0(SALU_CYCLE_1)
	s_or_b32 exec_lo, exec_lo, s3
.LBB83_18:
	v_mbcnt_lo_u32_b32 v14, -1, 0
	s_delay_alu instid0(VALU_DEP_1) | instskip(NEXT) | instid1(VALU_DEP_1)
	v_xor_b32_e32 v10, 8, v14
	v_cmp_gt_i32_e32 vcc_lo, 32, v10
	v_cndmask_b32_e32 v10, v14, v10, vcc_lo
	s_delay_alu instid0(VALU_DEP_1)
	v_lshlrev_b32_e32 v13, 2, v10
	ds_bpermute_b32 v10, v13, v6
	ds_bpermute_b32 v11, v13, v7
	;; [unrolled: 1-line block ×4, first 2 shown]
	s_waitcnt lgkmcnt(2)
	v_add_f64 v[6:7], v[6:7], v[10:11]
	v_xor_b32_e32 v10, 4, v14
	s_waitcnt lgkmcnt(0)
	v_add_f64 v[8:9], v[8:9], v[12:13]
	s_delay_alu instid0(VALU_DEP_2) | instskip(SKIP_1) | instid1(VALU_DEP_1)
	v_cmp_gt_i32_e32 vcc_lo, 32, v10
	v_cndmask_b32_e32 v10, v14, v10, vcc_lo
	v_lshlrev_b32_e32 v13, 2, v10
	ds_bpermute_b32 v10, v13, v6
	ds_bpermute_b32 v11, v13, v7
	;; [unrolled: 1-line block ×4, first 2 shown]
	s_waitcnt lgkmcnt(2)
	v_add_f64 v[6:7], v[6:7], v[10:11]
	v_xor_b32_e32 v10, 2, v14
	s_waitcnt lgkmcnt(0)
	v_add_f64 v[8:9], v[8:9], v[12:13]
	s_delay_alu instid0(VALU_DEP_2) | instskip(SKIP_1) | instid1(VALU_DEP_1)
	v_cmp_gt_i32_e32 vcc_lo, 32, v10
	v_cndmask_b32_e32 v10, v14, v10, vcc_lo
	v_lshlrev_b32_e32 v13, 2, v10
	ds_bpermute_b32 v10, v13, v6
	ds_bpermute_b32 v11, v13, v7
	;; [unrolled: 1-line block ×4, first 2 shown]
	s_waitcnt lgkmcnt(2)
	v_add_f64 v[6:7], v[6:7], v[10:11]
	s_waitcnt lgkmcnt(0)
	v_add_f64 v[10:11], v[8:9], v[12:13]
	v_xor_b32_e32 v8, 1, v14
	s_delay_alu instid0(VALU_DEP_1) | instskip(SKIP_2) | instid1(VALU_DEP_2)
	v_cmp_gt_i32_e32 vcc_lo, 32, v8
	v_cndmask_b32_e32 v8, v14, v8, vcc_lo
	v_cmp_eq_u32_e32 vcc_lo, 15, v0
	v_lshlrev_b32_e32 v13, 2, v8
	ds_bpermute_b32 v8, v13, v6
	ds_bpermute_b32 v9, v13, v7
	;; [unrolled: 1-line block ×4, first 2 shown]
	s_and_b32 exec_lo, exec_lo, vcc_lo
	s_cbranch_execz .LBB83_23
; %bb.19:
	s_waitcnt lgkmcnt(2)
	v_add_f64 v[8:9], v[6:7], v[8:9]
	s_waitcnt lgkmcnt(0)
	v_add_f64 v[6:7], v[10:11], v[12:13]
	s_load_b64 s[0:1], s[0:1], 0x38
	s_mov_b32 s2, exec_lo
	v_cmpx_eq_f64_e32 0, v[3:4]
	s_xor_b32 s2, exec_lo, s2
	s_cbranch_execz .LBB83_21
; %bb.20:
	s_delay_alu instid0(VALU_DEP_3) | instskip(NEXT) | instid1(VALU_DEP_3)
	v_mul_f64 v[8:9], v[1:2], v[8:9]
	v_mul_f64 v[10:11], v[1:2], v[6:7]
	v_lshlrev_b32_e32 v0, 1, v5
                                        ; implicit-def: $vgpr5
                                        ; implicit-def: $vgpr3_vgpr4
                                        ; implicit-def: $vgpr6_vgpr7
	s_delay_alu instid0(VALU_DEP_1) | instskip(NEXT) | instid1(VALU_DEP_1)
	v_ashrrev_i32_e32 v1, 31, v0
	v_lshlrev_b64 v[0:1], 3, v[0:1]
	s_waitcnt lgkmcnt(0)
	s_delay_alu instid0(VALU_DEP_1) | instskip(NEXT) | instid1(VALU_DEP_2)
	v_add_co_u32 v0, vcc_lo, s0, v0
	v_add_co_ci_u32_e32 v1, vcc_lo, s1, v1, vcc_lo
	global_store_b128 v[0:1], v[8:11], off
                                        ; implicit-def: $vgpr1_vgpr2
                                        ; implicit-def: $vgpr8_vgpr9
.LBB83_21:
	s_and_not1_saveexec_b32 s2, s2
	s_cbranch_execz .LBB83_23
; %bb.22:
	v_lshlrev_b32_e32 v10, 1, v5
	s_delay_alu instid0(VALU_DEP_4) | instskip(NEXT) | instid1(VALU_DEP_4)
	v_mul_f64 v[8:9], v[1:2], v[8:9]
	v_mul_f64 v[5:6], v[1:2], v[6:7]
	s_delay_alu instid0(VALU_DEP_3) | instskip(NEXT) | instid1(VALU_DEP_1)
	v_ashrrev_i32_e32 v11, 31, v10
	v_lshlrev_b64 v[10:11], 3, v[10:11]
	s_waitcnt lgkmcnt(0)
	s_delay_alu instid0(VALU_DEP_1) | instskip(NEXT) | instid1(VALU_DEP_2)
	v_add_co_u32 v14, vcc_lo, s0, v10
	v_add_co_ci_u32_e32 v15, vcc_lo, s1, v11, vcc_lo
	global_load_b128 v[10:13], v[14:15], off
	s_waitcnt vmcnt(0)
	v_fma_f64 v[0:1], v[3:4], v[10:11], v[8:9]
	v_fma_f64 v[2:3], v[3:4], v[12:13], v[5:6]
	global_store_b128 v[14:15], v[0:3], off
.LBB83_23:
	s_nop 0
	s_sendmsg sendmsg(MSG_DEALLOC_VGPRS)
	s_endpgm
	.section	.rodata,"a",@progbits
	.p2align	6, 0x0
	.amdhsa_kernel _ZN9rocsparseL19gebsrmvn_2xn_kernelILj128ELj3ELj16EdEEvi20rocsparse_direction_NS_24const_host_device_scalarIT2_EEPKiS6_PKS3_S8_S4_PS3_21rocsparse_index_base_b
		.amdhsa_group_segment_fixed_size 0
		.amdhsa_private_segment_fixed_size 0
		.amdhsa_kernarg_size 72
		.amdhsa_user_sgpr_count 15
		.amdhsa_user_sgpr_dispatch_ptr 0
		.amdhsa_user_sgpr_queue_ptr 0
		.amdhsa_user_sgpr_kernarg_segment_ptr 1
		.amdhsa_user_sgpr_dispatch_id 0
		.amdhsa_user_sgpr_private_segment_size 0
		.amdhsa_wavefront_size32 1
		.amdhsa_uses_dynamic_stack 0
		.amdhsa_enable_private_segment 0
		.amdhsa_system_sgpr_workgroup_id_x 1
		.amdhsa_system_sgpr_workgroup_id_y 0
		.amdhsa_system_sgpr_workgroup_id_z 0
		.amdhsa_system_sgpr_workgroup_info 0
		.amdhsa_system_vgpr_workitem_id 0
		.amdhsa_next_free_vgpr 35
		.amdhsa_next_free_sgpr 16
		.amdhsa_reserve_vcc 1
		.amdhsa_float_round_mode_32 0
		.amdhsa_float_round_mode_16_64 0
		.amdhsa_float_denorm_mode_32 3
		.amdhsa_float_denorm_mode_16_64 3
		.amdhsa_dx10_clamp 1
		.amdhsa_ieee_mode 1
		.amdhsa_fp16_overflow 0
		.amdhsa_workgroup_processor_mode 1
		.amdhsa_memory_ordered 1
		.amdhsa_forward_progress 0
		.amdhsa_shared_vgpr_count 0
		.amdhsa_exception_fp_ieee_invalid_op 0
		.amdhsa_exception_fp_denorm_src 0
		.amdhsa_exception_fp_ieee_div_zero 0
		.amdhsa_exception_fp_ieee_overflow 0
		.amdhsa_exception_fp_ieee_underflow 0
		.amdhsa_exception_fp_ieee_inexact 0
		.amdhsa_exception_int_div_zero 0
	.end_amdhsa_kernel
	.section	.text._ZN9rocsparseL19gebsrmvn_2xn_kernelILj128ELj3ELj16EdEEvi20rocsparse_direction_NS_24const_host_device_scalarIT2_EEPKiS6_PKS3_S8_S4_PS3_21rocsparse_index_base_b,"axG",@progbits,_ZN9rocsparseL19gebsrmvn_2xn_kernelILj128ELj3ELj16EdEEvi20rocsparse_direction_NS_24const_host_device_scalarIT2_EEPKiS6_PKS3_S8_S4_PS3_21rocsparse_index_base_b,comdat
.Lfunc_end83:
	.size	_ZN9rocsparseL19gebsrmvn_2xn_kernelILj128ELj3ELj16EdEEvi20rocsparse_direction_NS_24const_host_device_scalarIT2_EEPKiS6_PKS3_S8_S4_PS3_21rocsparse_index_base_b, .Lfunc_end83-_ZN9rocsparseL19gebsrmvn_2xn_kernelILj128ELj3ELj16EdEEvi20rocsparse_direction_NS_24const_host_device_scalarIT2_EEPKiS6_PKS3_S8_S4_PS3_21rocsparse_index_base_b
                                        ; -- End function
	.section	.AMDGPU.csdata,"",@progbits
; Kernel info:
; codeLenInByte = 1828
; NumSgprs: 18
; NumVgprs: 35
; ScratchSize: 0
; MemoryBound: 0
; FloatMode: 240
; IeeeMode: 1
; LDSByteSize: 0 bytes/workgroup (compile time only)
; SGPRBlocks: 2
; VGPRBlocks: 4
; NumSGPRsForWavesPerEU: 18
; NumVGPRsForWavesPerEU: 35
; Occupancy: 16
; WaveLimiterHint : 1
; COMPUTE_PGM_RSRC2:SCRATCH_EN: 0
; COMPUTE_PGM_RSRC2:USER_SGPR: 15
; COMPUTE_PGM_RSRC2:TRAP_HANDLER: 0
; COMPUTE_PGM_RSRC2:TGID_X_EN: 1
; COMPUTE_PGM_RSRC2:TGID_Y_EN: 0
; COMPUTE_PGM_RSRC2:TGID_Z_EN: 0
; COMPUTE_PGM_RSRC2:TIDIG_COMP_CNT: 0
	.section	.text._ZN9rocsparseL19gebsrmvn_2xn_kernelILj128ELj3ELj32EdEEvi20rocsparse_direction_NS_24const_host_device_scalarIT2_EEPKiS6_PKS3_S8_S4_PS3_21rocsparse_index_base_b,"axG",@progbits,_ZN9rocsparseL19gebsrmvn_2xn_kernelILj128ELj3ELj32EdEEvi20rocsparse_direction_NS_24const_host_device_scalarIT2_EEPKiS6_PKS3_S8_S4_PS3_21rocsparse_index_base_b,comdat
	.globl	_ZN9rocsparseL19gebsrmvn_2xn_kernelILj128ELj3ELj32EdEEvi20rocsparse_direction_NS_24const_host_device_scalarIT2_EEPKiS6_PKS3_S8_S4_PS3_21rocsparse_index_base_b ; -- Begin function _ZN9rocsparseL19gebsrmvn_2xn_kernelILj128ELj3ELj32EdEEvi20rocsparse_direction_NS_24const_host_device_scalarIT2_EEPKiS6_PKS3_S8_S4_PS3_21rocsparse_index_base_b
	.p2align	8
	.type	_ZN9rocsparseL19gebsrmvn_2xn_kernelILj128ELj3ELj32EdEEvi20rocsparse_direction_NS_24const_host_device_scalarIT2_EEPKiS6_PKS3_S8_S4_PS3_21rocsparse_index_base_b,@function
_ZN9rocsparseL19gebsrmvn_2xn_kernelILj128ELj3ELj32EdEEvi20rocsparse_direction_NS_24const_host_device_scalarIT2_EEPKiS6_PKS3_S8_S4_PS3_21rocsparse_index_base_b: ; @_ZN9rocsparseL19gebsrmvn_2xn_kernelILj128ELj3ELj32EdEEvi20rocsparse_direction_NS_24const_host_device_scalarIT2_EEPKiS6_PKS3_S8_S4_PS3_21rocsparse_index_base_b
; %bb.0:
	s_clause 0x2
	s_load_b64 s[12:13], s[0:1], 0x40
	s_load_b64 s[4:5], s[0:1], 0x8
	;; [unrolled: 1-line block ×3, first 2 shown]
	s_waitcnt lgkmcnt(0)
	s_bitcmp1_b32 s13, 0
	v_dual_mov_b32 v1, s4 :: v_dual_mov_b32 v2, s5
	s_cselect_b32 s6, -1, 0
	s_delay_alu instid0(SALU_CYCLE_1)
	s_and_b32 vcc_lo, exec_lo, s6
	s_xor_b32 s6, s6, -1
	s_cbranch_vccnz .LBB84_2
; %bb.1:
	v_dual_mov_b32 v1, s4 :: v_dual_mov_b32 v2, s5
	flat_load_b64 v[1:2], v[1:2]
.LBB84_2:
	v_dual_mov_b32 v4, s3 :: v_dual_mov_b32 v3, s2
	s_and_not1_b32 vcc_lo, exec_lo, s6
	s_cbranch_vccnz .LBB84_4
; %bb.3:
	v_dual_mov_b32 v4, s3 :: v_dual_mov_b32 v3, s2
	flat_load_b64 v[3:4], v[3:4]
.LBB84_4:
	s_waitcnt vmcnt(0) lgkmcnt(0)
	v_cmp_neq_f64_e32 vcc_lo, 0, v[1:2]
	v_cmp_neq_f64_e64 s2, 1.0, v[3:4]
	s_delay_alu instid0(VALU_DEP_1) | instskip(NEXT) | instid1(SALU_CYCLE_1)
	s_or_b32 s2, vcc_lo, s2
	s_and_saveexec_b32 s3, s2
	s_cbranch_execz .LBB84_23
; %bb.5:
	s_load_b64 s[2:3], s[0:1], 0x0
	v_lshrrev_b32_e32 v5, 5, v0
	s_delay_alu instid0(VALU_DEP_1) | instskip(SKIP_1) | instid1(VALU_DEP_1)
	v_lshl_or_b32 v5, s15, 2, v5
	s_waitcnt lgkmcnt(0)
	v_cmp_gt_i32_e32 vcc_lo, s2, v5
	s_and_b32 exec_lo, exec_lo, vcc_lo
	s_cbranch_execz .LBB84_23
; %bb.6:
	s_load_b256 s[4:11], s[0:1], 0x10
	v_ashrrev_i32_e32 v6, 31, v5
	v_and_b32_e32 v0, 31, v0
	s_cmp_lg_u32 s3, 0
	s_delay_alu instid0(VALU_DEP_2) | instskip(SKIP_1) | instid1(VALU_DEP_1)
	v_lshlrev_b64 v[6:7], 2, v[5:6]
	s_waitcnt lgkmcnt(0)
	v_add_co_u32 v6, vcc_lo, s4, v6
	s_delay_alu instid0(VALU_DEP_2) | instskip(SKIP_4) | instid1(VALU_DEP_2)
	v_add_co_ci_u32_e32 v7, vcc_lo, s5, v7, vcc_lo
	global_load_b64 v[6:7], v[6:7], off
	s_waitcnt vmcnt(0)
	v_subrev_nc_u32_e32 v6, s12, v6
	v_subrev_nc_u32_e32 v15, s12, v7
	v_add_nc_u32_e32 v10, v6, v0
	s_delay_alu instid0(VALU_DEP_1)
	v_cmp_lt_i32_e64 s2, v10, v15
	s_cbranch_scc0 .LBB84_12
; %bb.7:
	v_mov_b32_e32 v6, 0
	v_mov_b32_e32 v7, 0
	s_delay_alu instid0(VALU_DEP_1)
	v_dual_mov_b32 v9, v7 :: v_dual_mov_b32 v8, v6
	s_and_saveexec_b32 s3, s2
	s_cbranch_execz .LBB84_11
; %bb.8:
	v_dual_mov_b32 v6, 0 :: v_dual_mov_b32 v13, v10
	v_dual_mov_b32 v7, 0 :: v_dual_mov_b32 v12, 0
	v_mul_lo_u32 v11, v10, 6
	s_mov_b32 s4, 0
	s_delay_alu instid0(VALU_DEP_2)
	v_dual_mov_b32 v9, v7 :: v_dual_mov_b32 v8, v6
.LBB84_9:                               ; =>This Inner Loop Header: Depth=1
	v_ashrrev_i32_e32 v14, 31, v13
	v_mov_b32_e32 v25, v12
	v_mov_b32_e32 v27, v12
	s_delay_alu instid0(VALU_DEP_3) | instskip(SKIP_1) | instid1(VALU_DEP_2)
	v_lshlrev_b64 v[16:17], 2, v[13:14]
	v_add_nc_u32_e32 v13, 32, v13
	v_add_co_u32 v16, vcc_lo, s6, v16
	s_delay_alu instid0(VALU_DEP_3) | instskip(SKIP_2) | instid1(VALU_DEP_1)
	v_add_co_ci_u32_e32 v17, vcc_lo, s7, v17, vcc_lo
	global_load_b32 v14, v[16:17], off
	v_lshlrev_b64 v[16:17], 3, v[11:12]
	v_add_co_u32 v16, vcc_lo, s8, v16
	s_delay_alu instid0(VALU_DEP_2) | instskip(SKIP_2) | instid1(VALU_DEP_1)
	v_add_co_ci_u32_e32 v17, vcc_lo, s9, v17, vcc_lo
	s_waitcnt vmcnt(0)
	v_subrev_nc_u32_e32 v14, s12, v14
	v_lshl_add_u32 v24, v14, 1, v14
	v_mov_b32_e32 v22, v12
	s_delay_alu instid0(VALU_DEP_2) | instskip(NEXT) | instid1(VALU_DEP_1)
	v_lshlrev_b64 v[18:19], 3, v[24:25]
	v_add_co_u32 v20, vcc_lo, s10, v18
	s_delay_alu instid0(VALU_DEP_2) | instskip(SKIP_3) | instid1(VALU_DEP_1)
	v_add_co_ci_u32_e32 v21, vcc_lo, s11, v19, vcc_lo
	global_load_b128 v[16:19], v[16:17], off
	global_load_b64 v[28:29], v[20:21], off
	v_dual_mov_b32 v21, v12 :: v_dual_add_nc_u32 v20, 2, v11
	v_lshlrev_b64 v[25:26], 3, v[20:21]
	v_add_nc_u32_e32 v21, 1, v24
	s_delay_alu instid0(VALU_DEP_1) | instskip(NEXT) | instid1(VALU_DEP_3)
	v_lshlrev_b64 v[22:23], 3, v[21:22]
	v_add_co_u32 v20, vcc_lo, s8, v25
	s_delay_alu instid0(VALU_DEP_4) | instskip(NEXT) | instid1(VALU_DEP_3)
	v_add_co_ci_u32_e32 v21, vcc_lo, s9, v26, vcc_lo
	v_add_co_u32 v25, vcc_lo, s10, v22
	s_delay_alu instid0(VALU_DEP_4) | instskip(SKIP_4) | instid1(VALU_DEP_2)
	v_add_co_ci_u32_e32 v26, vcc_lo, s11, v23, vcc_lo
	global_load_b128 v[20:23], v[20:21], off
	global_load_b64 v[30:31], v[25:26], off
	v_dual_mov_b32 v26, v12 :: v_dual_add_nc_u32 v25, 4, v11
	v_add_nc_u32_e32 v11, 0xc0, v11
	v_lshlrev_b64 v[32:33], 3, v[25:26]
	v_add_nc_u32_e32 v26, 2, v24
	s_delay_alu instid0(VALU_DEP_1) | instskip(NEXT) | instid1(VALU_DEP_3)
	v_lshlrev_b64 v[26:27], 3, v[26:27]
	v_add_co_u32 v24, vcc_lo, s8, v32
	s_delay_alu instid0(VALU_DEP_4) | instskip(NEXT) | instid1(VALU_DEP_3)
	v_add_co_ci_u32_e32 v25, vcc_lo, s9, v33, vcc_lo
	v_add_co_u32 v32, vcc_lo, s10, v26
	s_delay_alu instid0(VALU_DEP_4)
	v_add_co_ci_u32_e32 v33, vcc_lo, s11, v27, vcc_lo
	global_load_b128 v[24:27], v[24:25], off
	global_load_b64 v[32:33], v[32:33], off
	v_cmp_ge_i32_e32 vcc_lo, v13, v15
	s_or_b32 s4, vcc_lo, s4
	s_waitcnt vmcnt(4)
	v_fma_f64 v[6:7], v[16:17], v[28:29], v[6:7]
	v_fma_f64 v[8:9], v[18:19], v[28:29], v[8:9]
	s_waitcnt vmcnt(2)
	s_delay_alu instid0(VALU_DEP_2) | instskip(NEXT) | instid1(VALU_DEP_2)
	v_fma_f64 v[6:7], v[20:21], v[30:31], v[6:7]
	v_fma_f64 v[8:9], v[22:23], v[30:31], v[8:9]
	s_waitcnt vmcnt(0)
	s_delay_alu instid0(VALU_DEP_2) | instskip(NEXT) | instid1(VALU_DEP_2)
	v_fma_f64 v[6:7], v[24:25], v[32:33], v[6:7]
	v_fma_f64 v[8:9], v[26:27], v[32:33], v[8:9]
	s_and_not1_b32 exec_lo, exec_lo, s4
	s_cbranch_execnz .LBB84_9
; %bb.10:
	s_or_b32 exec_lo, exec_lo, s4
.LBB84_11:
	s_delay_alu instid0(SALU_CYCLE_1)
	s_or_b32 exec_lo, exec_lo, s3
	s_cbranch_execz .LBB84_13
	s_branch .LBB84_18
.LBB84_12:
                                        ; implicit-def: $vgpr6_vgpr7
                                        ; implicit-def: $vgpr8_vgpr9
.LBB84_13:
	v_mov_b32_e32 v6, 0
	v_mov_b32_e32 v7, 0
	s_delay_alu instid0(VALU_DEP_1)
	v_dual_mov_b32 v9, v7 :: v_dual_mov_b32 v8, v6
	s_and_saveexec_b32 s3, s2
	s_cbranch_execz .LBB84_17
; %bb.14:
	v_mov_b32_e32 v6, 0
	v_dual_mov_b32 v7, 0 :: v_dual_mov_b32 v14, 0
	v_mad_u64_u32 v[12:13], null, v10, 6, 5
	s_mov_b32 s2, 0
	s_delay_alu instid0(VALU_DEP_2)
	v_dual_mov_b32 v9, v7 :: v_dual_mov_b32 v8, v6
.LBB84_15:                              ; =>This Inner Loop Header: Depth=1
	v_ashrrev_i32_e32 v11, 31, v10
	s_delay_alu instid0(VALU_DEP_3) | instskip(SKIP_1) | instid1(VALU_DEP_3)
	v_add_nc_u32_e32 v13, -5, v12
	v_mov_b32_e32 v21, v14
	v_lshlrev_b64 v[16:17], 2, v[10:11]
	s_delay_alu instid0(VALU_DEP_3) | instskip(SKIP_1) | instid1(VALU_DEP_3)
	v_lshlrev_b64 v[18:19], 3, v[13:14]
	v_add_nc_u32_e32 v10, 32, v10
	v_add_co_u32 v16, vcc_lo, s6, v16
	s_delay_alu instid0(VALU_DEP_4) | instskip(NEXT) | instid1(VALU_DEP_4)
	v_add_co_ci_u32_e32 v17, vcc_lo, s7, v17, vcc_lo
	v_add_co_u32 v18, vcc_lo, s8, v18
	v_add_co_ci_u32_e32 v19, vcc_lo, s9, v19, vcc_lo
	global_load_b32 v11, v[16:17], off
	v_dual_mov_b32 v17, v14 :: v_dual_add_nc_u32 v16, -2, v12
	s_delay_alu instid0(VALU_DEP_1) | instskip(NEXT) | instid1(VALU_DEP_1)
	v_lshlrev_b64 v[16:17], 3, v[16:17]
	v_add_co_u32 v22, vcc_lo, s8, v16
	s_delay_alu instid0(VALU_DEP_2) | instskip(SKIP_2) | instid1(VALU_DEP_1)
	v_add_co_ci_u32_e32 v23, vcc_lo, s9, v17, vcc_lo
	s_waitcnt vmcnt(0)
	v_subrev_nc_u32_e32 v11, s12, v11
	v_lshl_add_u32 v20, v11, 1, v11
	s_delay_alu instid0(VALU_DEP_1) | instskip(SKIP_1) | instid1(VALU_DEP_2)
	v_lshlrev_b64 v[24:25], 3, v[20:21]
	v_add_nc_u32_e32 v13, 1, v20
	v_add_co_u32 v24, vcc_lo, s10, v24
	s_delay_alu instid0(VALU_DEP_3)
	v_add_co_ci_u32_e32 v25, vcc_lo, s11, v25, vcc_lo
	s_clause 0x1
	global_load_b128 v[16:19], v[18:19], off
	global_load_b64 v[21:22], v[22:23], off
	global_load_b64 v[23:24], v[24:25], off
	v_lshlrev_b64 v[25:26], 3, v[13:14]
	v_add_nc_u32_e32 v13, -1, v12
	s_delay_alu instid0(VALU_DEP_1) | instskip(NEXT) | instid1(VALU_DEP_3)
	v_lshlrev_b64 v[27:28], 3, v[13:14]
	v_add_co_u32 v25, vcc_lo, s10, v25
	s_delay_alu instid0(VALU_DEP_4) | instskip(SKIP_1) | instid1(VALU_DEP_4)
	v_add_co_ci_u32_e32 v26, vcc_lo, s11, v26, vcc_lo
	v_mov_b32_e32 v13, v14
	v_add_co_u32 v27, vcc_lo, s8, v27
	v_add_co_ci_u32_e32 v28, vcc_lo, s9, v28, vcc_lo
	global_load_b64 v[25:26], v[25:26], off
	global_load_b64 v[27:28], v[27:28], off
	v_lshlrev_b64 v[29:30], 3, v[12:13]
	v_add_nc_u32_e32 v13, -3, v12
	v_add_nc_u32_e32 v12, 0xc0, v12
	s_delay_alu instid0(VALU_DEP_2) | instskip(SKIP_3) | instid1(VALU_DEP_3)
	v_lshlrev_b64 v[31:32], 3, v[13:14]
	v_add_nc_u32_e32 v13, 2, v20
	v_add_co_u32 v29, vcc_lo, s8, v29
	v_add_co_ci_u32_e32 v30, vcc_lo, s9, v30, vcc_lo
	v_lshlrev_b64 v[33:34], 3, v[13:14]
	v_add_co_u32 v31, vcc_lo, s8, v31
	v_add_co_ci_u32_e32 v32, vcc_lo, s9, v32, vcc_lo
	s_delay_alu instid0(VALU_DEP_3) | instskip(NEXT) | instid1(VALU_DEP_4)
	v_add_co_u32 v33, vcc_lo, s10, v33
	v_add_co_ci_u32_e32 v34, vcc_lo, s11, v34, vcc_lo
	s_clause 0x1
	global_load_b64 v[29:30], v[29:30], off
	global_load_b64 v[31:32], v[31:32], off
	;; [unrolled: 1-line block ×3, first 2 shown]
	v_cmp_ge_i32_e32 vcc_lo, v10, v15
	s_or_b32 s2, vcc_lo, s2
	s_waitcnt vmcnt(5)
	v_fma_f64 v[6:7], v[16:17], v[23:24], v[6:7]
	v_fma_f64 v[8:9], v[21:22], v[23:24], v[8:9]
	s_waitcnt vmcnt(4)
	s_delay_alu instid0(VALU_DEP_2) | instskip(SKIP_1) | instid1(VALU_DEP_2)
	v_fma_f64 v[6:7], v[18:19], v[25:26], v[6:7]
	s_waitcnt vmcnt(3)
	v_fma_f64 v[8:9], v[27:28], v[25:26], v[8:9]
	s_waitcnt vmcnt(0)
	s_delay_alu instid0(VALU_DEP_2) | instskip(NEXT) | instid1(VALU_DEP_2)
	v_fma_f64 v[6:7], v[31:32], v[33:34], v[6:7]
	v_fma_f64 v[8:9], v[29:30], v[33:34], v[8:9]
	s_and_not1_b32 exec_lo, exec_lo, s2
	s_cbranch_execnz .LBB84_15
; %bb.16:
	s_or_b32 exec_lo, exec_lo, s2
.LBB84_17:
	s_delay_alu instid0(SALU_CYCLE_1)
	s_or_b32 exec_lo, exec_lo, s3
.LBB84_18:
	v_mbcnt_lo_u32_b32 v14, -1, 0
	s_delay_alu instid0(VALU_DEP_1) | instskip(NEXT) | instid1(VALU_DEP_1)
	v_xor_b32_e32 v10, 16, v14
	v_cmp_gt_i32_e32 vcc_lo, 32, v10
	v_cndmask_b32_e32 v10, v14, v10, vcc_lo
	s_delay_alu instid0(VALU_DEP_1)
	v_lshlrev_b32_e32 v13, 2, v10
	ds_bpermute_b32 v10, v13, v6
	ds_bpermute_b32 v11, v13, v7
	ds_bpermute_b32 v12, v13, v8
	ds_bpermute_b32 v13, v13, v9
	s_waitcnt lgkmcnt(2)
	v_add_f64 v[6:7], v[6:7], v[10:11]
	v_xor_b32_e32 v10, 8, v14
	s_waitcnt lgkmcnt(0)
	v_add_f64 v[8:9], v[8:9], v[12:13]
	s_delay_alu instid0(VALU_DEP_2) | instskip(SKIP_1) | instid1(VALU_DEP_1)
	v_cmp_gt_i32_e32 vcc_lo, 32, v10
	v_cndmask_b32_e32 v10, v14, v10, vcc_lo
	v_lshlrev_b32_e32 v13, 2, v10
	ds_bpermute_b32 v10, v13, v6
	ds_bpermute_b32 v11, v13, v7
	ds_bpermute_b32 v12, v13, v8
	ds_bpermute_b32 v13, v13, v9
	s_waitcnt lgkmcnt(2)
	v_add_f64 v[6:7], v[6:7], v[10:11]
	v_xor_b32_e32 v10, 4, v14
	s_waitcnt lgkmcnt(0)
	v_add_f64 v[8:9], v[8:9], v[12:13]
	s_delay_alu instid0(VALU_DEP_2) | instskip(SKIP_1) | instid1(VALU_DEP_1)
	v_cmp_gt_i32_e32 vcc_lo, 32, v10
	v_cndmask_b32_e32 v10, v14, v10, vcc_lo
	;; [unrolled: 13-line block ×3, first 2 shown]
	v_lshlrev_b32_e32 v13, 2, v10
	ds_bpermute_b32 v10, v13, v6
	ds_bpermute_b32 v11, v13, v7
	;; [unrolled: 1-line block ×4, first 2 shown]
	s_waitcnt lgkmcnt(2)
	v_add_f64 v[6:7], v[6:7], v[10:11]
	s_waitcnt lgkmcnt(0)
	v_add_f64 v[10:11], v[8:9], v[12:13]
	v_xor_b32_e32 v8, 1, v14
	s_delay_alu instid0(VALU_DEP_1) | instskip(SKIP_2) | instid1(VALU_DEP_2)
	v_cmp_gt_i32_e32 vcc_lo, 32, v8
	v_cndmask_b32_e32 v8, v14, v8, vcc_lo
	v_cmp_eq_u32_e32 vcc_lo, 31, v0
	v_lshlrev_b32_e32 v13, 2, v8
	ds_bpermute_b32 v8, v13, v6
	ds_bpermute_b32 v9, v13, v7
	;; [unrolled: 1-line block ×4, first 2 shown]
	s_and_b32 exec_lo, exec_lo, vcc_lo
	s_cbranch_execz .LBB84_23
; %bb.19:
	s_waitcnt lgkmcnt(2)
	v_add_f64 v[8:9], v[6:7], v[8:9]
	s_waitcnt lgkmcnt(0)
	v_add_f64 v[6:7], v[10:11], v[12:13]
	s_load_b64 s[0:1], s[0:1], 0x38
	s_mov_b32 s2, exec_lo
	v_cmpx_eq_f64_e32 0, v[3:4]
	s_xor_b32 s2, exec_lo, s2
	s_cbranch_execz .LBB84_21
; %bb.20:
	s_delay_alu instid0(VALU_DEP_3) | instskip(NEXT) | instid1(VALU_DEP_3)
	v_mul_f64 v[8:9], v[1:2], v[8:9]
	v_mul_f64 v[10:11], v[1:2], v[6:7]
	v_lshlrev_b32_e32 v0, 1, v5
                                        ; implicit-def: $vgpr5
                                        ; implicit-def: $vgpr3_vgpr4
                                        ; implicit-def: $vgpr6_vgpr7
	s_delay_alu instid0(VALU_DEP_1) | instskip(NEXT) | instid1(VALU_DEP_1)
	v_ashrrev_i32_e32 v1, 31, v0
	v_lshlrev_b64 v[0:1], 3, v[0:1]
	s_waitcnt lgkmcnt(0)
	s_delay_alu instid0(VALU_DEP_1) | instskip(NEXT) | instid1(VALU_DEP_2)
	v_add_co_u32 v0, vcc_lo, s0, v0
	v_add_co_ci_u32_e32 v1, vcc_lo, s1, v1, vcc_lo
	global_store_b128 v[0:1], v[8:11], off
                                        ; implicit-def: $vgpr1_vgpr2
                                        ; implicit-def: $vgpr8_vgpr9
.LBB84_21:
	s_and_not1_saveexec_b32 s2, s2
	s_cbranch_execz .LBB84_23
; %bb.22:
	v_lshlrev_b32_e32 v10, 1, v5
	s_delay_alu instid0(VALU_DEP_4) | instskip(NEXT) | instid1(VALU_DEP_4)
	v_mul_f64 v[8:9], v[1:2], v[8:9]
	v_mul_f64 v[5:6], v[1:2], v[6:7]
	s_delay_alu instid0(VALU_DEP_3) | instskip(NEXT) | instid1(VALU_DEP_1)
	v_ashrrev_i32_e32 v11, 31, v10
	v_lshlrev_b64 v[10:11], 3, v[10:11]
	s_waitcnt lgkmcnt(0)
	s_delay_alu instid0(VALU_DEP_1) | instskip(NEXT) | instid1(VALU_DEP_2)
	v_add_co_u32 v14, vcc_lo, s0, v10
	v_add_co_ci_u32_e32 v15, vcc_lo, s1, v11, vcc_lo
	global_load_b128 v[10:13], v[14:15], off
	s_waitcnt vmcnt(0)
	v_fma_f64 v[0:1], v[3:4], v[10:11], v[8:9]
	v_fma_f64 v[2:3], v[3:4], v[12:13], v[5:6]
	global_store_b128 v[14:15], v[0:3], off
.LBB84_23:
	s_nop 0
	s_sendmsg sendmsg(MSG_DEALLOC_VGPRS)
	s_endpgm
	.section	.rodata,"a",@progbits
	.p2align	6, 0x0
	.amdhsa_kernel _ZN9rocsparseL19gebsrmvn_2xn_kernelILj128ELj3ELj32EdEEvi20rocsparse_direction_NS_24const_host_device_scalarIT2_EEPKiS6_PKS3_S8_S4_PS3_21rocsparse_index_base_b
		.amdhsa_group_segment_fixed_size 0
		.amdhsa_private_segment_fixed_size 0
		.amdhsa_kernarg_size 72
		.amdhsa_user_sgpr_count 15
		.amdhsa_user_sgpr_dispatch_ptr 0
		.amdhsa_user_sgpr_queue_ptr 0
		.amdhsa_user_sgpr_kernarg_segment_ptr 1
		.amdhsa_user_sgpr_dispatch_id 0
		.amdhsa_user_sgpr_private_segment_size 0
		.amdhsa_wavefront_size32 1
		.amdhsa_uses_dynamic_stack 0
		.amdhsa_enable_private_segment 0
		.amdhsa_system_sgpr_workgroup_id_x 1
		.amdhsa_system_sgpr_workgroup_id_y 0
		.amdhsa_system_sgpr_workgroup_id_z 0
		.amdhsa_system_sgpr_workgroup_info 0
		.amdhsa_system_vgpr_workitem_id 0
		.amdhsa_next_free_vgpr 35
		.amdhsa_next_free_sgpr 16
		.amdhsa_reserve_vcc 1
		.amdhsa_float_round_mode_32 0
		.amdhsa_float_round_mode_16_64 0
		.amdhsa_float_denorm_mode_32 3
		.amdhsa_float_denorm_mode_16_64 3
		.amdhsa_dx10_clamp 1
		.amdhsa_ieee_mode 1
		.amdhsa_fp16_overflow 0
		.amdhsa_workgroup_processor_mode 1
		.amdhsa_memory_ordered 1
		.amdhsa_forward_progress 0
		.amdhsa_shared_vgpr_count 0
		.amdhsa_exception_fp_ieee_invalid_op 0
		.amdhsa_exception_fp_denorm_src 0
		.amdhsa_exception_fp_ieee_div_zero 0
		.amdhsa_exception_fp_ieee_overflow 0
		.amdhsa_exception_fp_ieee_underflow 0
		.amdhsa_exception_fp_ieee_inexact 0
		.amdhsa_exception_int_div_zero 0
	.end_amdhsa_kernel
	.section	.text._ZN9rocsparseL19gebsrmvn_2xn_kernelILj128ELj3ELj32EdEEvi20rocsparse_direction_NS_24const_host_device_scalarIT2_EEPKiS6_PKS3_S8_S4_PS3_21rocsparse_index_base_b,"axG",@progbits,_ZN9rocsparseL19gebsrmvn_2xn_kernelILj128ELj3ELj32EdEEvi20rocsparse_direction_NS_24const_host_device_scalarIT2_EEPKiS6_PKS3_S8_S4_PS3_21rocsparse_index_base_b,comdat
.Lfunc_end84:
	.size	_ZN9rocsparseL19gebsrmvn_2xn_kernelILj128ELj3ELj32EdEEvi20rocsparse_direction_NS_24const_host_device_scalarIT2_EEPKiS6_PKS3_S8_S4_PS3_21rocsparse_index_base_b, .Lfunc_end84-_ZN9rocsparseL19gebsrmvn_2xn_kernelILj128ELj3ELj32EdEEvi20rocsparse_direction_NS_24const_host_device_scalarIT2_EEPKiS6_PKS3_S8_S4_PS3_21rocsparse_index_base_b
                                        ; -- End function
	.section	.AMDGPU.csdata,"",@progbits
; Kernel info:
; codeLenInByte = 1904
; NumSgprs: 18
; NumVgprs: 35
; ScratchSize: 0
; MemoryBound: 0
; FloatMode: 240
; IeeeMode: 1
; LDSByteSize: 0 bytes/workgroup (compile time only)
; SGPRBlocks: 2
; VGPRBlocks: 4
; NumSGPRsForWavesPerEU: 18
; NumVGPRsForWavesPerEU: 35
; Occupancy: 16
; WaveLimiterHint : 1
; COMPUTE_PGM_RSRC2:SCRATCH_EN: 0
; COMPUTE_PGM_RSRC2:USER_SGPR: 15
; COMPUTE_PGM_RSRC2:TRAP_HANDLER: 0
; COMPUTE_PGM_RSRC2:TGID_X_EN: 1
; COMPUTE_PGM_RSRC2:TGID_Y_EN: 0
; COMPUTE_PGM_RSRC2:TGID_Z_EN: 0
; COMPUTE_PGM_RSRC2:TIDIG_COMP_CNT: 0
	.section	.text._ZN9rocsparseL19gebsrmvn_2xn_kernelILj128ELj3ELj64EdEEvi20rocsparse_direction_NS_24const_host_device_scalarIT2_EEPKiS6_PKS3_S8_S4_PS3_21rocsparse_index_base_b,"axG",@progbits,_ZN9rocsparseL19gebsrmvn_2xn_kernelILj128ELj3ELj64EdEEvi20rocsparse_direction_NS_24const_host_device_scalarIT2_EEPKiS6_PKS3_S8_S4_PS3_21rocsparse_index_base_b,comdat
	.globl	_ZN9rocsparseL19gebsrmvn_2xn_kernelILj128ELj3ELj64EdEEvi20rocsparse_direction_NS_24const_host_device_scalarIT2_EEPKiS6_PKS3_S8_S4_PS3_21rocsparse_index_base_b ; -- Begin function _ZN9rocsparseL19gebsrmvn_2xn_kernelILj128ELj3ELj64EdEEvi20rocsparse_direction_NS_24const_host_device_scalarIT2_EEPKiS6_PKS3_S8_S4_PS3_21rocsparse_index_base_b
	.p2align	8
	.type	_ZN9rocsparseL19gebsrmvn_2xn_kernelILj128ELj3ELj64EdEEvi20rocsparse_direction_NS_24const_host_device_scalarIT2_EEPKiS6_PKS3_S8_S4_PS3_21rocsparse_index_base_b,@function
_ZN9rocsparseL19gebsrmvn_2xn_kernelILj128ELj3ELj64EdEEvi20rocsparse_direction_NS_24const_host_device_scalarIT2_EEPKiS6_PKS3_S8_S4_PS3_21rocsparse_index_base_b: ; @_ZN9rocsparseL19gebsrmvn_2xn_kernelILj128ELj3ELj64EdEEvi20rocsparse_direction_NS_24const_host_device_scalarIT2_EEPKiS6_PKS3_S8_S4_PS3_21rocsparse_index_base_b
; %bb.0:
	s_clause 0x2
	s_load_b64 s[12:13], s[0:1], 0x40
	s_load_b64 s[4:5], s[0:1], 0x8
	;; [unrolled: 1-line block ×3, first 2 shown]
	s_waitcnt lgkmcnt(0)
	s_bitcmp1_b32 s13, 0
	v_dual_mov_b32 v1, s4 :: v_dual_mov_b32 v2, s5
	s_cselect_b32 s6, -1, 0
	s_delay_alu instid0(SALU_CYCLE_1)
	s_and_b32 vcc_lo, exec_lo, s6
	s_xor_b32 s6, s6, -1
	s_cbranch_vccnz .LBB85_2
; %bb.1:
	v_dual_mov_b32 v1, s4 :: v_dual_mov_b32 v2, s5
	flat_load_b64 v[1:2], v[1:2]
.LBB85_2:
	v_dual_mov_b32 v4, s3 :: v_dual_mov_b32 v3, s2
	s_and_not1_b32 vcc_lo, exec_lo, s6
	s_cbranch_vccnz .LBB85_4
; %bb.3:
	v_dual_mov_b32 v4, s3 :: v_dual_mov_b32 v3, s2
	flat_load_b64 v[3:4], v[3:4]
.LBB85_4:
	s_waitcnt vmcnt(0) lgkmcnt(0)
	v_cmp_neq_f64_e32 vcc_lo, 0, v[1:2]
	v_cmp_neq_f64_e64 s2, 1.0, v[3:4]
	s_delay_alu instid0(VALU_DEP_1) | instskip(NEXT) | instid1(SALU_CYCLE_1)
	s_or_b32 s2, vcc_lo, s2
	s_and_saveexec_b32 s3, s2
	s_cbranch_execz .LBB85_23
; %bb.5:
	s_load_b64 s[2:3], s[0:1], 0x0
	v_lshrrev_b32_e32 v5, 6, v0
	s_delay_alu instid0(VALU_DEP_1) | instskip(SKIP_1) | instid1(VALU_DEP_1)
	v_lshl_or_b32 v5, s15, 1, v5
	s_waitcnt lgkmcnt(0)
	v_cmp_gt_i32_e32 vcc_lo, s2, v5
	s_and_b32 exec_lo, exec_lo, vcc_lo
	s_cbranch_execz .LBB85_23
; %bb.6:
	s_load_b256 s[4:11], s[0:1], 0x10
	v_ashrrev_i32_e32 v6, 31, v5
	v_and_b32_e32 v0, 63, v0
	s_cmp_lg_u32 s3, 0
	s_delay_alu instid0(VALU_DEP_2) | instskip(SKIP_1) | instid1(VALU_DEP_1)
	v_lshlrev_b64 v[6:7], 2, v[5:6]
	s_waitcnt lgkmcnt(0)
	v_add_co_u32 v6, vcc_lo, s4, v6
	s_delay_alu instid0(VALU_DEP_2) | instskip(SKIP_4) | instid1(VALU_DEP_2)
	v_add_co_ci_u32_e32 v7, vcc_lo, s5, v7, vcc_lo
	global_load_b64 v[6:7], v[6:7], off
	s_waitcnt vmcnt(0)
	v_subrev_nc_u32_e32 v6, s12, v6
	v_subrev_nc_u32_e32 v15, s12, v7
	v_add_nc_u32_e32 v10, v6, v0
	s_delay_alu instid0(VALU_DEP_1)
	v_cmp_lt_i32_e64 s2, v10, v15
	s_cbranch_scc0 .LBB85_12
; %bb.7:
	v_mov_b32_e32 v6, 0
	v_mov_b32_e32 v7, 0
	s_delay_alu instid0(VALU_DEP_1)
	v_dual_mov_b32 v9, v7 :: v_dual_mov_b32 v8, v6
	s_and_saveexec_b32 s3, s2
	s_cbranch_execz .LBB85_11
; %bb.8:
	v_dual_mov_b32 v6, 0 :: v_dual_mov_b32 v13, v10
	v_dual_mov_b32 v7, 0 :: v_dual_mov_b32 v12, 0
	v_mul_lo_u32 v11, v10, 6
	s_mov_b32 s4, 0
	s_delay_alu instid0(VALU_DEP_2)
	v_dual_mov_b32 v9, v7 :: v_dual_mov_b32 v8, v6
.LBB85_9:                               ; =>This Inner Loop Header: Depth=1
	v_ashrrev_i32_e32 v14, 31, v13
	v_mov_b32_e32 v25, v12
	v_mov_b32_e32 v27, v12
	s_delay_alu instid0(VALU_DEP_3) | instskip(SKIP_1) | instid1(VALU_DEP_2)
	v_lshlrev_b64 v[16:17], 2, v[13:14]
	v_add_nc_u32_e32 v13, 64, v13
	v_add_co_u32 v16, vcc_lo, s6, v16
	s_delay_alu instid0(VALU_DEP_3) | instskip(SKIP_2) | instid1(VALU_DEP_1)
	v_add_co_ci_u32_e32 v17, vcc_lo, s7, v17, vcc_lo
	global_load_b32 v14, v[16:17], off
	v_lshlrev_b64 v[16:17], 3, v[11:12]
	v_add_co_u32 v16, vcc_lo, s8, v16
	s_delay_alu instid0(VALU_DEP_2) | instskip(SKIP_2) | instid1(VALU_DEP_1)
	v_add_co_ci_u32_e32 v17, vcc_lo, s9, v17, vcc_lo
	s_waitcnt vmcnt(0)
	v_subrev_nc_u32_e32 v14, s12, v14
	v_lshl_add_u32 v24, v14, 1, v14
	v_mov_b32_e32 v22, v12
	s_delay_alu instid0(VALU_DEP_2) | instskip(NEXT) | instid1(VALU_DEP_1)
	v_lshlrev_b64 v[18:19], 3, v[24:25]
	v_add_co_u32 v20, vcc_lo, s10, v18
	s_delay_alu instid0(VALU_DEP_2) | instskip(SKIP_3) | instid1(VALU_DEP_1)
	v_add_co_ci_u32_e32 v21, vcc_lo, s11, v19, vcc_lo
	global_load_b128 v[16:19], v[16:17], off
	global_load_b64 v[28:29], v[20:21], off
	v_dual_mov_b32 v21, v12 :: v_dual_add_nc_u32 v20, 2, v11
	v_lshlrev_b64 v[25:26], 3, v[20:21]
	v_add_nc_u32_e32 v21, 1, v24
	s_delay_alu instid0(VALU_DEP_1) | instskip(NEXT) | instid1(VALU_DEP_3)
	v_lshlrev_b64 v[22:23], 3, v[21:22]
	v_add_co_u32 v20, vcc_lo, s8, v25
	s_delay_alu instid0(VALU_DEP_4) | instskip(NEXT) | instid1(VALU_DEP_3)
	v_add_co_ci_u32_e32 v21, vcc_lo, s9, v26, vcc_lo
	v_add_co_u32 v25, vcc_lo, s10, v22
	s_delay_alu instid0(VALU_DEP_4) | instskip(SKIP_4) | instid1(VALU_DEP_2)
	v_add_co_ci_u32_e32 v26, vcc_lo, s11, v23, vcc_lo
	global_load_b128 v[20:23], v[20:21], off
	global_load_b64 v[30:31], v[25:26], off
	v_dual_mov_b32 v26, v12 :: v_dual_add_nc_u32 v25, 4, v11
	v_add_nc_u32_e32 v11, 0x180, v11
	v_lshlrev_b64 v[32:33], 3, v[25:26]
	v_add_nc_u32_e32 v26, 2, v24
	s_delay_alu instid0(VALU_DEP_1) | instskip(NEXT) | instid1(VALU_DEP_3)
	v_lshlrev_b64 v[26:27], 3, v[26:27]
	v_add_co_u32 v24, vcc_lo, s8, v32
	s_delay_alu instid0(VALU_DEP_4) | instskip(NEXT) | instid1(VALU_DEP_3)
	v_add_co_ci_u32_e32 v25, vcc_lo, s9, v33, vcc_lo
	v_add_co_u32 v32, vcc_lo, s10, v26
	s_delay_alu instid0(VALU_DEP_4)
	v_add_co_ci_u32_e32 v33, vcc_lo, s11, v27, vcc_lo
	global_load_b128 v[24:27], v[24:25], off
	global_load_b64 v[32:33], v[32:33], off
	v_cmp_ge_i32_e32 vcc_lo, v13, v15
	s_or_b32 s4, vcc_lo, s4
	s_waitcnt vmcnt(4)
	v_fma_f64 v[6:7], v[16:17], v[28:29], v[6:7]
	v_fma_f64 v[8:9], v[18:19], v[28:29], v[8:9]
	s_waitcnt vmcnt(2)
	s_delay_alu instid0(VALU_DEP_2) | instskip(NEXT) | instid1(VALU_DEP_2)
	v_fma_f64 v[6:7], v[20:21], v[30:31], v[6:7]
	v_fma_f64 v[8:9], v[22:23], v[30:31], v[8:9]
	s_waitcnt vmcnt(0)
	s_delay_alu instid0(VALU_DEP_2) | instskip(NEXT) | instid1(VALU_DEP_2)
	v_fma_f64 v[6:7], v[24:25], v[32:33], v[6:7]
	v_fma_f64 v[8:9], v[26:27], v[32:33], v[8:9]
	s_and_not1_b32 exec_lo, exec_lo, s4
	s_cbranch_execnz .LBB85_9
; %bb.10:
	s_or_b32 exec_lo, exec_lo, s4
.LBB85_11:
	s_delay_alu instid0(SALU_CYCLE_1)
	s_or_b32 exec_lo, exec_lo, s3
	s_cbranch_execz .LBB85_13
	s_branch .LBB85_18
.LBB85_12:
                                        ; implicit-def: $vgpr6_vgpr7
                                        ; implicit-def: $vgpr8_vgpr9
.LBB85_13:
	v_mov_b32_e32 v6, 0
	v_mov_b32_e32 v7, 0
	s_delay_alu instid0(VALU_DEP_1)
	v_dual_mov_b32 v9, v7 :: v_dual_mov_b32 v8, v6
	s_and_saveexec_b32 s3, s2
	s_cbranch_execz .LBB85_17
; %bb.14:
	v_mov_b32_e32 v6, 0
	v_dual_mov_b32 v7, 0 :: v_dual_mov_b32 v14, 0
	v_mad_u64_u32 v[12:13], null, v10, 6, 5
	s_mov_b32 s2, 0
	s_delay_alu instid0(VALU_DEP_2)
	v_dual_mov_b32 v9, v7 :: v_dual_mov_b32 v8, v6
.LBB85_15:                              ; =>This Inner Loop Header: Depth=1
	v_ashrrev_i32_e32 v11, 31, v10
	s_delay_alu instid0(VALU_DEP_3) | instskip(SKIP_1) | instid1(VALU_DEP_3)
	v_add_nc_u32_e32 v13, -5, v12
	v_mov_b32_e32 v21, v14
	v_lshlrev_b64 v[16:17], 2, v[10:11]
	s_delay_alu instid0(VALU_DEP_3) | instskip(SKIP_1) | instid1(VALU_DEP_3)
	v_lshlrev_b64 v[18:19], 3, v[13:14]
	v_add_nc_u32_e32 v10, 64, v10
	v_add_co_u32 v16, vcc_lo, s6, v16
	s_delay_alu instid0(VALU_DEP_4) | instskip(NEXT) | instid1(VALU_DEP_4)
	v_add_co_ci_u32_e32 v17, vcc_lo, s7, v17, vcc_lo
	v_add_co_u32 v18, vcc_lo, s8, v18
	v_add_co_ci_u32_e32 v19, vcc_lo, s9, v19, vcc_lo
	global_load_b32 v11, v[16:17], off
	v_dual_mov_b32 v17, v14 :: v_dual_add_nc_u32 v16, -2, v12
	s_delay_alu instid0(VALU_DEP_1) | instskip(NEXT) | instid1(VALU_DEP_1)
	v_lshlrev_b64 v[16:17], 3, v[16:17]
	v_add_co_u32 v22, vcc_lo, s8, v16
	s_delay_alu instid0(VALU_DEP_2) | instskip(SKIP_2) | instid1(VALU_DEP_1)
	v_add_co_ci_u32_e32 v23, vcc_lo, s9, v17, vcc_lo
	s_waitcnt vmcnt(0)
	v_subrev_nc_u32_e32 v11, s12, v11
	v_lshl_add_u32 v20, v11, 1, v11
	s_delay_alu instid0(VALU_DEP_1) | instskip(SKIP_1) | instid1(VALU_DEP_2)
	v_lshlrev_b64 v[24:25], 3, v[20:21]
	v_add_nc_u32_e32 v13, 1, v20
	v_add_co_u32 v24, vcc_lo, s10, v24
	s_delay_alu instid0(VALU_DEP_3)
	v_add_co_ci_u32_e32 v25, vcc_lo, s11, v25, vcc_lo
	s_clause 0x1
	global_load_b128 v[16:19], v[18:19], off
	global_load_b64 v[21:22], v[22:23], off
	global_load_b64 v[23:24], v[24:25], off
	v_lshlrev_b64 v[25:26], 3, v[13:14]
	v_add_nc_u32_e32 v13, -1, v12
	s_delay_alu instid0(VALU_DEP_1) | instskip(NEXT) | instid1(VALU_DEP_3)
	v_lshlrev_b64 v[27:28], 3, v[13:14]
	v_add_co_u32 v25, vcc_lo, s10, v25
	s_delay_alu instid0(VALU_DEP_4) | instskip(SKIP_1) | instid1(VALU_DEP_4)
	v_add_co_ci_u32_e32 v26, vcc_lo, s11, v26, vcc_lo
	v_mov_b32_e32 v13, v14
	v_add_co_u32 v27, vcc_lo, s8, v27
	v_add_co_ci_u32_e32 v28, vcc_lo, s9, v28, vcc_lo
	global_load_b64 v[25:26], v[25:26], off
	global_load_b64 v[27:28], v[27:28], off
	v_lshlrev_b64 v[29:30], 3, v[12:13]
	v_add_nc_u32_e32 v13, -3, v12
	v_add_nc_u32_e32 v12, 0x180, v12
	s_delay_alu instid0(VALU_DEP_2) | instskip(SKIP_3) | instid1(VALU_DEP_3)
	v_lshlrev_b64 v[31:32], 3, v[13:14]
	v_add_nc_u32_e32 v13, 2, v20
	v_add_co_u32 v29, vcc_lo, s8, v29
	v_add_co_ci_u32_e32 v30, vcc_lo, s9, v30, vcc_lo
	v_lshlrev_b64 v[33:34], 3, v[13:14]
	v_add_co_u32 v31, vcc_lo, s8, v31
	v_add_co_ci_u32_e32 v32, vcc_lo, s9, v32, vcc_lo
	s_delay_alu instid0(VALU_DEP_3) | instskip(NEXT) | instid1(VALU_DEP_4)
	v_add_co_u32 v33, vcc_lo, s10, v33
	v_add_co_ci_u32_e32 v34, vcc_lo, s11, v34, vcc_lo
	s_clause 0x1
	global_load_b64 v[29:30], v[29:30], off
	global_load_b64 v[31:32], v[31:32], off
	;; [unrolled: 1-line block ×3, first 2 shown]
	v_cmp_ge_i32_e32 vcc_lo, v10, v15
	s_or_b32 s2, vcc_lo, s2
	s_waitcnt vmcnt(5)
	v_fma_f64 v[6:7], v[16:17], v[23:24], v[6:7]
	v_fma_f64 v[8:9], v[21:22], v[23:24], v[8:9]
	s_waitcnt vmcnt(4)
	s_delay_alu instid0(VALU_DEP_2) | instskip(SKIP_1) | instid1(VALU_DEP_2)
	v_fma_f64 v[6:7], v[18:19], v[25:26], v[6:7]
	s_waitcnt vmcnt(3)
	v_fma_f64 v[8:9], v[27:28], v[25:26], v[8:9]
	s_waitcnt vmcnt(0)
	s_delay_alu instid0(VALU_DEP_2) | instskip(NEXT) | instid1(VALU_DEP_2)
	v_fma_f64 v[6:7], v[31:32], v[33:34], v[6:7]
	v_fma_f64 v[8:9], v[29:30], v[33:34], v[8:9]
	s_and_not1_b32 exec_lo, exec_lo, s2
	s_cbranch_execnz .LBB85_15
; %bb.16:
	s_or_b32 exec_lo, exec_lo, s2
.LBB85_17:
	s_delay_alu instid0(SALU_CYCLE_1)
	s_or_b32 exec_lo, exec_lo, s3
.LBB85_18:
	v_mbcnt_lo_u32_b32 v14, -1, 0
	s_delay_alu instid0(VALU_DEP_1) | instskip(NEXT) | instid1(VALU_DEP_1)
	v_or_b32_e32 v10, 32, v14
	v_cmp_gt_i32_e32 vcc_lo, 32, v10
	v_cndmask_b32_e32 v10, v14, v10, vcc_lo
	s_delay_alu instid0(VALU_DEP_1)
	v_lshlrev_b32_e32 v13, 2, v10
	ds_bpermute_b32 v10, v13, v6
	ds_bpermute_b32 v11, v13, v7
	ds_bpermute_b32 v12, v13, v8
	ds_bpermute_b32 v13, v13, v9
	s_waitcnt lgkmcnt(2)
	v_add_f64 v[6:7], v[6:7], v[10:11]
	v_xor_b32_e32 v10, 16, v14
	s_waitcnt lgkmcnt(0)
	v_add_f64 v[8:9], v[8:9], v[12:13]
	s_delay_alu instid0(VALU_DEP_2) | instskip(SKIP_1) | instid1(VALU_DEP_1)
	v_cmp_gt_i32_e32 vcc_lo, 32, v10
	v_cndmask_b32_e32 v10, v14, v10, vcc_lo
	v_lshlrev_b32_e32 v13, 2, v10
	ds_bpermute_b32 v10, v13, v6
	ds_bpermute_b32 v11, v13, v7
	ds_bpermute_b32 v12, v13, v8
	ds_bpermute_b32 v13, v13, v9
	s_waitcnt lgkmcnt(2)
	v_add_f64 v[6:7], v[6:7], v[10:11]
	v_xor_b32_e32 v10, 8, v14
	s_waitcnt lgkmcnt(0)
	v_add_f64 v[8:9], v[8:9], v[12:13]
	s_delay_alu instid0(VALU_DEP_2) | instskip(SKIP_1) | instid1(VALU_DEP_1)
	v_cmp_gt_i32_e32 vcc_lo, 32, v10
	v_cndmask_b32_e32 v10, v14, v10, vcc_lo
	;; [unrolled: 13-line block ×4, first 2 shown]
	v_lshlrev_b32_e32 v13, 2, v10
	ds_bpermute_b32 v10, v13, v6
	ds_bpermute_b32 v11, v13, v7
	;; [unrolled: 1-line block ×4, first 2 shown]
	s_waitcnt lgkmcnt(2)
	v_add_f64 v[6:7], v[6:7], v[10:11]
	s_waitcnt lgkmcnt(0)
	v_add_f64 v[10:11], v[8:9], v[12:13]
	v_xor_b32_e32 v8, 1, v14
	s_delay_alu instid0(VALU_DEP_1) | instskip(SKIP_2) | instid1(VALU_DEP_2)
	v_cmp_gt_i32_e32 vcc_lo, 32, v8
	v_cndmask_b32_e32 v8, v14, v8, vcc_lo
	v_cmp_eq_u32_e32 vcc_lo, 63, v0
	v_lshlrev_b32_e32 v13, 2, v8
	ds_bpermute_b32 v8, v13, v6
	ds_bpermute_b32 v9, v13, v7
	;; [unrolled: 1-line block ×4, first 2 shown]
	s_and_b32 exec_lo, exec_lo, vcc_lo
	s_cbranch_execz .LBB85_23
; %bb.19:
	s_waitcnt lgkmcnt(2)
	v_add_f64 v[8:9], v[6:7], v[8:9]
	s_waitcnt lgkmcnt(0)
	v_add_f64 v[6:7], v[10:11], v[12:13]
	s_load_b64 s[0:1], s[0:1], 0x38
	s_mov_b32 s2, exec_lo
	v_cmpx_eq_f64_e32 0, v[3:4]
	s_xor_b32 s2, exec_lo, s2
	s_cbranch_execz .LBB85_21
; %bb.20:
	s_delay_alu instid0(VALU_DEP_3) | instskip(NEXT) | instid1(VALU_DEP_3)
	v_mul_f64 v[8:9], v[1:2], v[8:9]
	v_mul_f64 v[10:11], v[1:2], v[6:7]
	v_lshlrev_b32_e32 v0, 1, v5
                                        ; implicit-def: $vgpr5
                                        ; implicit-def: $vgpr3_vgpr4
                                        ; implicit-def: $vgpr6_vgpr7
	s_delay_alu instid0(VALU_DEP_1) | instskip(NEXT) | instid1(VALU_DEP_1)
	v_ashrrev_i32_e32 v1, 31, v0
	v_lshlrev_b64 v[0:1], 3, v[0:1]
	s_waitcnt lgkmcnt(0)
	s_delay_alu instid0(VALU_DEP_1) | instskip(NEXT) | instid1(VALU_DEP_2)
	v_add_co_u32 v0, vcc_lo, s0, v0
	v_add_co_ci_u32_e32 v1, vcc_lo, s1, v1, vcc_lo
	global_store_b128 v[0:1], v[8:11], off
                                        ; implicit-def: $vgpr1_vgpr2
                                        ; implicit-def: $vgpr8_vgpr9
.LBB85_21:
	s_and_not1_saveexec_b32 s2, s2
	s_cbranch_execz .LBB85_23
; %bb.22:
	v_lshlrev_b32_e32 v10, 1, v5
	s_delay_alu instid0(VALU_DEP_4) | instskip(NEXT) | instid1(VALU_DEP_4)
	v_mul_f64 v[8:9], v[1:2], v[8:9]
	v_mul_f64 v[5:6], v[1:2], v[6:7]
	s_delay_alu instid0(VALU_DEP_3) | instskip(NEXT) | instid1(VALU_DEP_1)
	v_ashrrev_i32_e32 v11, 31, v10
	v_lshlrev_b64 v[10:11], 3, v[10:11]
	s_waitcnt lgkmcnt(0)
	s_delay_alu instid0(VALU_DEP_1) | instskip(NEXT) | instid1(VALU_DEP_2)
	v_add_co_u32 v14, vcc_lo, s0, v10
	v_add_co_ci_u32_e32 v15, vcc_lo, s1, v11, vcc_lo
	global_load_b128 v[10:13], v[14:15], off
	s_waitcnt vmcnt(0)
	v_fma_f64 v[0:1], v[3:4], v[10:11], v[8:9]
	v_fma_f64 v[2:3], v[3:4], v[12:13], v[5:6]
	global_store_b128 v[14:15], v[0:3], off
.LBB85_23:
	s_nop 0
	s_sendmsg sendmsg(MSG_DEALLOC_VGPRS)
	s_endpgm
	.section	.rodata,"a",@progbits
	.p2align	6, 0x0
	.amdhsa_kernel _ZN9rocsparseL19gebsrmvn_2xn_kernelILj128ELj3ELj64EdEEvi20rocsparse_direction_NS_24const_host_device_scalarIT2_EEPKiS6_PKS3_S8_S4_PS3_21rocsparse_index_base_b
		.amdhsa_group_segment_fixed_size 0
		.amdhsa_private_segment_fixed_size 0
		.amdhsa_kernarg_size 72
		.amdhsa_user_sgpr_count 15
		.amdhsa_user_sgpr_dispatch_ptr 0
		.amdhsa_user_sgpr_queue_ptr 0
		.amdhsa_user_sgpr_kernarg_segment_ptr 1
		.amdhsa_user_sgpr_dispatch_id 0
		.amdhsa_user_sgpr_private_segment_size 0
		.amdhsa_wavefront_size32 1
		.amdhsa_uses_dynamic_stack 0
		.amdhsa_enable_private_segment 0
		.amdhsa_system_sgpr_workgroup_id_x 1
		.amdhsa_system_sgpr_workgroup_id_y 0
		.amdhsa_system_sgpr_workgroup_id_z 0
		.amdhsa_system_sgpr_workgroup_info 0
		.amdhsa_system_vgpr_workitem_id 0
		.amdhsa_next_free_vgpr 35
		.amdhsa_next_free_sgpr 16
		.amdhsa_reserve_vcc 1
		.amdhsa_float_round_mode_32 0
		.amdhsa_float_round_mode_16_64 0
		.amdhsa_float_denorm_mode_32 3
		.amdhsa_float_denorm_mode_16_64 3
		.amdhsa_dx10_clamp 1
		.amdhsa_ieee_mode 1
		.amdhsa_fp16_overflow 0
		.amdhsa_workgroup_processor_mode 1
		.amdhsa_memory_ordered 1
		.amdhsa_forward_progress 0
		.amdhsa_shared_vgpr_count 0
		.amdhsa_exception_fp_ieee_invalid_op 0
		.amdhsa_exception_fp_denorm_src 0
		.amdhsa_exception_fp_ieee_div_zero 0
		.amdhsa_exception_fp_ieee_overflow 0
		.amdhsa_exception_fp_ieee_underflow 0
		.amdhsa_exception_fp_ieee_inexact 0
		.amdhsa_exception_int_div_zero 0
	.end_amdhsa_kernel
	.section	.text._ZN9rocsparseL19gebsrmvn_2xn_kernelILj128ELj3ELj64EdEEvi20rocsparse_direction_NS_24const_host_device_scalarIT2_EEPKiS6_PKS3_S8_S4_PS3_21rocsparse_index_base_b,"axG",@progbits,_ZN9rocsparseL19gebsrmvn_2xn_kernelILj128ELj3ELj64EdEEvi20rocsparse_direction_NS_24const_host_device_scalarIT2_EEPKiS6_PKS3_S8_S4_PS3_21rocsparse_index_base_b,comdat
.Lfunc_end85:
	.size	_ZN9rocsparseL19gebsrmvn_2xn_kernelILj128ELj3ELj64EdEEvi20rocsparse_direction_NS_24const_host_device_scalarIT2_EEPKiS6_PKS3_S8_S4_PS3_21rocsparse_index_base_b, .Lfunc_end85-_ZN9rocsparseL19gebsrmvn_2xn_kernelILj128ELj3ELj64EdEEvi20rocsparse_direction_NS_24const_host_device_scalarIT2_EEPKiS6_PKS3_S8_S4_PS3_21rocsparse_index_base_b
                                        ; -- End function
	.section	.AMDGPU.csdata,"",@progbits
; Kernel info:
; codeLenInByte = 1980
; NumSgprs: 18
; NumVgprs: 35
; ScratchSize: 0
; MemoryBound: 0
; FloatMode: 240
; IeeeMode: 1
; LDSByteSize: 0 bytes/workgroup (compile time only)
; SGPRBlocks: 2
; VGPRBlocks: 4
; NumSGPRsForWavesPerEU: 18
; NumVGPRsForWavesPerEU: 35
; Occupancy: 16
; WaveLimiterHint : 1
; COMPUTE_PGM_RSRC2:SCRATCH_EN: 0
; COMPUTE_PGM_RSRC2:USER_SGPR: 15
; COMPUTE_PGM_RSRC2:TRAP_HANDLER: 0
; COMPUTE_PGM_RSRC2:TGID_X_EN: 1
; COMPUTE_PGM_RSRC2:TGID_Y_EN: 0
; COMPUTE_PGM_RSRC2:TGID_Z_EN: 0
; COMPUTE_PGM_RSRC2:TIDIG_COMP_CNT: 0
	.section	.text._ZN9rocsparseL19gebsrmvn_2xn_kernelILj128ELj4ELj4EdEEvi20rocsparse_direction_NS_24const_host_device_scalarIT2_EEPKiS6_PKS3_S8_S4_PS3_21rocsparse_index_base_b,"axG",@progbits,_ZN9rocsparseL19gebsrmvn_2xn_kernelILj128ELj4ELj4EdEEvi20rocsparse_direction_NS_24const_host_device_scalarIT2_EEPKiS6_PKS3_S8_S4_PS3_21rocsparse_index_base_b,comdat
	.globl	_ZN9rocsparseL19gebsrmvn_2xn_kernelILj128ELj4ELj4EdEEvi20rocsparse_direction_NS_24const_host_device_scalarIT2_EEPKiS6_PKS3_S8_S4_PS3_21rocsparse_index_base_b ; -- Begin function _ZN9rocsparseL19gebsrmvn_2xn_kernelILj128ELj4ELj4EdEEvi20rocsparse_direction_NS_24const_host_device_scalarIT2_EEPKiS6_PKS3_S8_S4_PS3_21rocsparse_index_base_b
	.p2align	8
	.type	_ZN9rocsparseL19gebsrmvn_2xn_kernelILj128ELj4ELj4EdEEvi20rocsparse_direction_NS_24const_host_device_scalarIT2_EEPKiS6_PKS3_S8_S4_PS3_21rocsparse_index_base_b,@function
_ZN9rocsparseL19gebsrmvn_2xn_kernelILj128ELj4ELj4EdEEvi20rocsparse_direction_NS_24const_host_device_scalarIT2_EEPKiS6_PKS3_S8_S4_PS3_21rocsparse_index_base_b: ; @_ZN9rocsparseL19gebsrmvn_2xn_kernelILj128ELj4ELj4EdEEvi20rocsparse_direction_NS_24const_host_device_scalarIT2_EEPKiS6_PKS3_S8_S4_PS3_21rocsparse_index_base_b
; %bb.0:
	s_clause 0x2
	s_load_b64 s[12:13], s[0:1], 0x40
	s_load_b64 s[4:5], s[0:1], 0x8
	;; [unrolled: 1-line block ×3, first 2 shown]
	s_waitcnt lgkmcnt(0)
	s_bitcmp1_b32 s13, 0
	v_dual_mov_b32 v1, s4 :: v_dual_mov_b32 v2, s5
	s_cselect_b32 s6, -1, 0
	s_delay_alu instid0(SALU_CYCLE_1)
	s_and_b32 vcc_lo, exec_lo, s6
	s_xor_b32 s6, s6, -1
	s_cbranch_vccnz .LBB86_2
; %bb.1:
	v_dual_mov_b32 v1, s4 :: v_dual_mov_b32 v2, s5
	flat_load_b64 v[1:2], v[1:2]
.LBB86_2:
	v_dual_mov_b32 v4, s3 :: v_dual_mov_b32 v3, s2
	s_and_not1_b32 vcc_lo, exec_lo, s6
	s_cbranch_vccnz .LBB86_4
; %bb.3:
	v_dual_mov_b32 v4, s3 :: v_dual_mov_b32 v3, s2
	flat_load_b64 v[3:4], v[3:4]
.LBB86_4:
	s_waitcnt vmcnt(0) lgkmcnt(0)
	v_cmp_neq_f64_e32 vcc_lo, 0, v[1:2]
	v_cmp_neq_f64_e64 s2, 1.0, v[3:4]
	s_delay_alu instid0(VALU_DEP_1) | instskip(NEXT) | instid1(SALU_CYCLE_1)
	s_or_b32 s2, vcc_lo, s2
	s_and_saveexec_b32 s3, s2
	s_cbranch_execz .LBB86_23
; %bb.5:
	s_load_b64 s[2:3], s[0:1], 0x0
	v_lshrrev_b32_e32 v5, 2, v0
	s_delay_alu instid0(VALU_DEP_1) | instskip(SKIP_1) | instid1(VALU_DEP_1)
	v_lshl_or_b32 v5, s15, 5, v5
	s_waitcnt lgkmcnt(0)
	v_cmp_gt_i32_e32 vcc_lo, s2, v5
	s_and_b32 exec_lo, exec_lo, vcc_lo
	s_cbranch_execz .LBB86_23
; %bb.6:
	s_load_b256 s[4:11], s[0:1], 0x10
	v_ashrrev_i32_e32 v6, 31, v5
	v_and_b32_e32 v0, 3, v0
	s_cmp_lg_u32 s3, 0
	s_delay_alu instid0(VALU_DEP_2) | instskip(SKIP_1) | instid1(VALU_DEP_1)
	v_lshlrev_b64 v[6:7], 2, v[5:6]
	s_waitcnt lgkmcnt(0)
	v_add_co_u32 v6, vcc_lo, s4, v6
	s_delay_alu instid0(VALU_DEP_2) | instskip(SKIP_4) | instid1(VALU_DEP_2)
	v_add_co_ci_u32_e32 v7, vcc_lo, s5, v7, vcc_lo
	global_load_b64 v[6:7], v[6:7], off
	s_waitcnt vmcnt(0)
	v_subrev_nc_u32_e32 v6, s12, v6
	v_subrev_nc_u32_e32 v16, s12, v7
	v_add_nc_u32_e32 v8, v6, v0
	s_delay_alu instid0(VALU_DEP_1)
	v_cmp_lt_i32_e64 s2, v8, v16
	s_cbranch_scc0 .LBB86_12
; %bb.7:
	v_mov_b32_e32 v6, 0
	v_mov_b32_e32 v7, 0
	s_delay_alu instid0(VALU_DEP_1)
	v_dual_mov_b32 v11, v7 :: v_dual_mov_b32 v10, v6
	s_and_saveexec_b32 s3, s2
	s_cbranch_execz .LBB86_11
; %bb.8:
	v_dual_mov_b32 v6, 0 :: v_dual_mov_b32 v13, 0
	v_dual_mov_b32 v7, 0 :: v_dual_lshlrev_b32 v12, 3, v8
	v_mov_b32_e32 v14, v8
	s_mov_b32 s4, 0
	s_delay_alu instid0(VALU_DEP_2)
	v_dual_mov_b32 v11, v7 :: v_dual_mov_b32 v10, v6
.LBB86_9:                               ; =>This Inner Loop Header: Depth=1
	s_delay_alu instid0(VALU_DEP_2) | instskip(NEXT) | instid1(VALU_DEP_1)
	v_ashrrev_i32_e32 v15, 31, v14
	v_lshlrev_b64 v[17:18], 2, v[14:15]
	v_add_nc_u32_e32 v14, 4, v14
	s_delay_alu instid0(VALU_DEP_2) | instskip(NEXT) | instid1(VALU_DEP_3)
	v_add_co_u32 v17, vcc_lo, s6, v17
	v_add_co_ci_u32_e32 v18, vcc_lo, s7, v18, vcc_lo
	global_load_b32 v9, v[17:18], off
	v_lshlrev_b64 v[17:18], 3, v[12:13]
	v_add_nc_u32_e32 v12, 32, v12
	s_delay_alu instid0(VALU_DEP_2) | instskip(NEXT) | instid1(VALU_DEP_3)
	v_add_co_u32 v37, vcc_lo, s8, v17
	v_add_co_ci_u32_e32 v38, vcc_lo, s9, v18, vcc_lo
	s_waitcnt vmcnt(0)
	v_subrev_nc_u32_e32 v9, s12, v9
	s_delay_alu instid0(VALU_DEP_1) | instskip(NEXT) | instid1(VALU_DEP_1)
	v_dual_mov_b32 v20, v13 :: v_dual_lshlrev_b32 v19, 2, v9
	v_lshlrev_b64 v[19:20], 3, v[19:20]
	s_delay_alu instid0(VALU_DEP_1) | instskip(NEXT) | instid1(VALU_DEP_2)
	v_add_co_u32 v29, vcc_lo, s10, v19
	v_add_co_ci_u32_e32 v30, vcc_lo, s11, v20, vcc_lo
	v_cmp_ge_i32_e32 vcc_lo, v14, v16
	s_clause 0x1
	global_load_b128 v[17:20], v[37:38], off offset:16
	global_load_b128 v[21:24], v[37:38], off
	s_clause 0x1
	global_load_b128 v[25:28], v[29:30], off
	global_load_b128 v[29:32], v[29:30], off offset:16
	s_clause 0x1
	global_load_b128 v[33:36], v[37:38], off offset:32
	global_load_b128 v[37:40], v[37:38], off offset:48
	s_or_b32 s4, vcc_lo, s4
	s_waitcnt vmcnt(3)
	v_fma_f64 v[6:7], v[21:22], v[25:26], v[6:7]
	v_fma_f64 v[9:10], v[23:24], v[25:26], v[10:11]
	s_delay_alu instid0(VALU_DEP_2) | instskip(NEXT) | instid1(VALU_DEP_2)
	v_fma_f64 v[6:7], v[17:18], v[27:28], v[6:7]
	v_fma_f64 v[9:10], v[19:20], v[27:28], v[9:10]
	s_waitcnt vmcnt(1)
	s_delay_alu instid0(VALU_DEP_2) | instskip(NEXT) | instid1(VALU_DEP_2)
	v_fma_f64 v[6:7], v[33:34], v[29:30], v[6:7]
	v_fma_f64 v[9:10], v[35:36], v[29:30], v[9:10]
	s_waitcnt vmcnt(0)
	s_delay_alu instid0(VALU_DEP_2) | instskip(NEXT) | instid1(VALU_DEP_2)
	v_fma_f64 v[6:7], v[37:38], v[31:32], v[6:7]
	v_fma_f64 v[10:11], v[39:40], v[31:32], v[9:10]
	s_and_not1_b32 exec_lo, exec_lo, s4
	s_cbranch_execnz .LBB86_9
; %bb.10:
	s_or_b32 exec_lo, exec_lo, s4
.LBB86_11:
	s_delay_alu instid0(SALU_CYCLE_1)
	s_or_b32 exec_lo, exec_lo, s3
	s_cbranch_execz .LBB86_13
	s_branch .LBB86_18
.LBB86_12:
                                        ; implicit-def: $vgpr6_vgpr7
                                        ; implicit-def: $vgpr10_vgpr11
.LBB86_13:
	v_mov_b32_e32 v6, 0
	v_mov_b32_e32 v7, 0
	s_delay_alu instid0(VALU_DEP_1)
	v_dual_mov_b32 v11, v7 :: v_dual_mov_b32 v10, v6
	s_and_saveexec_b32 s3, s2
	s_cbranch_execz .LBB86_17
; %bb.14:
	v_dual_mov_b32 v6, 0 :: v_dual_mov_b32 v13, 0
	v_dual_mov_b32 v7, 0 :: v_dual_lshlrev_b32 v12, 3, v8
	s_mov_b32 s2, 0
	s_delay_alu instid0(VALU_DEP_1)
	v_dual_mov_b32 v11, v7 :: v_dual_mov_b32 v10, v6
.LBB86_15:                              ; =>This Inner Loop Header: Depth=1
	v_ashrrev_i32_e32 v9, 31, v8
	s_delay_alu instid0(VALU_DEP_1) | instskip(SKIP_1) | instid1(VALU_DEP_2)
	v_lshlrev_b64 v[14:15], 2, v[8:9]
	v_add_nc_u32_e32 v8, 4, v8
	v_add_co_u32 v14, vcc_lo, s6, v14
	s_delay_alu instid0(VALU_DEP_3) | instskip(SKIP_3) | instid1(VALU_DEP_2)
	v_add_co_ci_u32_e32 v15, vcc_lo, s7, v15, vcc_lo
	global_load_b32 v9, v[14:15], off
	v_lshlrev_b64 v[14:15], 3, v[12:13]
	v_add_nc_u32_e32 v12, 32, v12
	v_add_co_u32 v14, vcc_lo, s8, v14
	s_delay_alu instid0(VALU_DEP_3) | instskip(SKIP_2) | instid1(VALU_DEP_1)
	v_add_co_ci_u32_e32 v15, vcc_lo, s9, v15, vcc_lo
	s_waitcnt vmcnt(0)
	v_subrev_nc_u32_e32 v9, s12, v9
	v_dual_mov_b32 v18, v13 :: v_dual_lshlrev_b32 v17, 2, v9
	s_delay_alu instid0(VALU_DEP_1)
	v_lshlrev_b64 v[21:22], 3, v[17:18]
	global_load_b128 v[17:20], v[14:15], off offset:48
	v_add_co_u32 v37, vcc_lo, s10, v21
	v_add_co_ci_u32_e32 v38, vcc_lo, s11, v22, vcc_lo
	s_clause 0x2
	global_load_b128 v[21:24], v[14:15], off offset:32
	global_load_b128 v[25:28], v[14:15], off offset:16
	global_load_b128 v[29:32], v[14:15], off
	s_clause 0x1
	global_load_b128 v[33:36], v[37:38], off
	global_load_b128 v[37:40], v[37:38], off offset:16
	v_cmp_ge_i32_e32 vcc_lo, v8, v16
	s_or_b32 s2, vcc_lo, s2
	s_waitcnt vmcnt(1)
	v_fma_f64 v[6:7], v[29:30], v[33:34], v[6:7]
	v_fma_f64 v[9:10], v[21:22], v[33:34], v[10:11]
	s_delay_alu instid0(VALU_DEP_2) | instskip(NEXT) | instid1(VALU_DEP_2)
	v_fma_f64 v[6:7], v[31:32], v[35:36], v[6:7]
	v_fma_f64 v[9:10], v[23:24], v[35:36], v[9:10]
	s_waitcnt vmcnt(0)
	s_delay_alu instid0(VALU_DEP_2) | instskip(NEXT) | instid1(VALU_DEP_2)
	v_fma_f64 v[6:7], v[25:26], v[37:38], v[6:7]
	v_fma_f64 v[9:10], v[17:18], v[37:38], v[9:10]
	s_delay_alu instid0(VALU_DEP_2) | instskip(NEXT) | instid1(VALU_DEP_2)
	v_fma_f64 v[6:7], v[27:28], v[39:40], v[6:7]
	v_fma_f64 v[10:11], v[19:20], v[39:40], v[9:10]
	s_and_not1_b32 exec_lo, exec_lo, s2
	s_cbranch_execnz .LBB86_15
; %bb.16:
	s_or_b32 exec_lo, exec_lo, s2
.LBB86_17:
	s_delay_alu instid0(SALU_CYCLE_1)
	s_or_b32 exec_lo, exec_lo, s3
.LBB86_18:
	v_mbcnt_lo_u32_b32 v14, -1, 0
	s_delay_alu instid0(VALU_DEP_1) | instskip(NEXT) | instid1(VALU_DEP_1)
	v_xor_b32_e32 v8, 2, v14
	v_cmp_gt_i32_e32 vcc_lo, 32, v8
	v_cndmask_b32_e32 v8, v14, v8, vcc_lo
	s_delay_alu instid0(VALU_DEP_1)
	v_lshlrev_b32_e32 v13, 2, v8
	ds_bpermute_b32 v8, v13, v6
	ds_bpermute_b32 v9, v13, v7
	;; [unrolled: 1-line block ×4, first 2 shown]
	s_waitcnt lgkmcnt(2)
	v_add_f64 v[6:7], v[6:7], v[8:9]
	v_xor_b32_e32 v8, 1, v14
	s_waitcnt lgkmcnt(0)
	v_add_f64 v[10:11], v[10:11], v[12:13]
	s_delay_alu instid0(VALU_DEP_2) | instskip(SKIP_2) | instid1(VALU_DEP_2)
	v_cmp_gt_i32_e32 vcc_lo, 32, v8
	v_cndmask_b32_e32 v8, v14, v8, vcc_lo
	v_cmp_eq_u32_e32 vcc_lo, 3, v0
	v_lshlrev_b32_e32 v13, 2, v8
	ds_bpermute_b32 v8, v13, v6
	ds_bpermute_b32 v9, v13, v7
	;; [unrolled: 1-line block ×4, first 2 shown]
	s_and_b32 exec_lo, exec_lo, vcc_lo
	s_cbranch_execz .LBB86_23
; %bb.19:
	s_waitcnt lgkmcnt(2)
	v_add_f64 v[8:9], v[6:7], v[8:9]
	s_waitcnt lgkmcnt(0)
	v_add_f64 v[6:7], v[10:11], v[12:13]
	s_load_b64 s[0:1], s[0:1], 0x38
	s_mov_b32 s2, exec_lo
	v_cmpx_eq_f64_e32 0, v[3:4]
	s_xor_b32 s2, exec_lo, s2
	s_cbranch_execz .LBB86_21
; %bb.20:
	s_delay_alu instid0(VALU_DEP_3) | instskip(NEXT) | instid1(VALU_DEP_3)
	v_mul_f64 v[8:9], v[1:2], v[8:9]
	v_mul_f64 v[10:11], v[1:2], v[6:7]
	v_lshlrev_b32_e32 v0, 1, v5
                                        ; implicit-def: $vgpr5
                                        ; implicit-def: $vgpr3_vgpr4
                                        ; implicit-def: $vgpr6_vgpr7
	s_delay_alu instid0(VALU_DEP_1) | instskip(NEXT) | instid1(VALU_DEP_1)
	v_ashrrev_i32_e32 v1, 31, v0
	v_lshlrev_b64 v[0:1], 3, v[0:1]
	s_waitcnt lgkmcnt(0)
	s_delay_alu instid0(VALU_DEP_1) | instskip(NEXT) | instid1(VALU_DEP_2)
	v_add_co_u32 v0, vcc_lo, s0, v0
	v_add_co_ci_u32_e32 v1, vcc_lo, s1, v1, vcc_lo
	global_store_b128 v[0:1], v[8:11], off
                                        ; implicit-def: $vgpr1_vgpr2
                                        ; implicit-def: $vgpr8_vgpr9
.LBB86_21:
	s_and_not1_saveexec_b32 s2, s2
	s_cbranch_execz .LBB86_23
; %bb.22:
	v_lshlrev_b32_e32 v10, 1, v5
	s_delay_alu instid0(VALU_DEP_4) | instskip(NEXT) | instid1(VALU_DEP_4)
	v_mul_f64 v[8:9], v[1:2], v[8:9]
	v_mul_f64 v[5:6], v[1:2], v[6:7]
	s_delay_alu instid0(VALU_DEP_3) | instskip(NEXT) | instid1(VALU_DEP_1)
	v_ashrrev_i32_e32 v11, 31, v10
	v_lshlrev_b64 v[10:11], 3, v[10:11]
	s_waitcnt lgkmcnt(0)
	s_delay_alu instid0(VALU_DEP_1) | instskip(NEXT) | instid1(VALU_DEP_2)
	v_add_co_u32 v14, vcc_lo, s0, v10
	v_add_co_ci_u32_e32 v15, vcc_lo, s1, v11, vcc_lo
	global_load_b128 v[10:13], v[14:15], off
	s_waitcnt vmcnt(0)
	v_fma_f64 v[0:1], v[3:4], v[10:11], v[8:9]
	v_fma_f64 v[2:3], v[3:4], v[12:13], v[5:6]
	global_store_b128 v[14:15], v[0:3], off
.LBB86_23:
	s_nop 0
	s_sendmsg sendmsg(MSG_DEALLOC_VGPRS)
	s_endpgm
	.section	.rodata,"a",@progbits
	.p2align	6, 0x0
	.amdhsa_kernel _ZN9rocsparseL19gebsrmvn_2xn_kernelILj128ELj4ELj4EdEEvi20rocsparse_direction_NS_24const_host_device_scalarIT2_EEPKiS6_PKS3_S8_S4_PS3_21rocsparse_index_base_b
		.amdhsa_group_segment_fixed_size 0
		.amdhsa_private_segment_fixed_size 0
		.amdhsa_kernarg_size 72
		.amdhsa_user_sgpr_count 15
		.amdhsa_user_sgpr_dispatch_ptr 0
		.amdhsa_user_sgpr_queue_ptr 0
		.amdhsa_user_sgpr_kernarg_segment_ptr 1
		.amdhsa_user_sgpr_dispatch_id 0
		.amdhsa_user_sgpr_private_segment_size 0
		.amdhsa_wavefront_size32 1
		.amdhsa_uses_dynamic_stack 0
		.amdhsa_enable_private_segment 0
		.amdhsa_system_sgpr_workgroup_id_x 1
		.amdhsa_system_sgpr_workgroup_id_y 0
		.amdhsa_system_sgpr_workgroup_id_z 0
		.amdhsa_system_sgpr_workgroup_info 0
		.amdhsa_system_vgpr_workitem_id 0
		.amdhsa_next_free_vgpr 41
		.amdhsa_next_free_sgpr 16
		.amdhsa_reserve_vcc 1
		.amdhsa_float_round_mode_32 0
		.amdhsa_float_round_mode_16_64 0
		.amdhsa_float_denorm_mode_32 3
		.amdhsa_float_denorm_mode_16_64 3
		.amdhsa_dx10_clamp 1
		.amdhsa_ieee_mode 1
		.amdhsa_fp16_overflow 0
		.amdhsa_workgroup_processor_mode 1
		.amdhsa_memory_ordered 1
		.amdhsa_forward_progress 0
		.amdhsa_shared_vgpr_count 0
		.amdhsa_exception_fp_ieee_invalid_op 0
		.amdhsa_exception_fp_denorm_src 0
		.amdhsa_exception_fp_ieee_div_zero 0
		.amdhsa_exception_fp_ieee_overflow 0
		.amdhsa_exception_fp_ieee_underflow 0
		.amdhsa_exception_fp_ieee_inexact 0
		.amdhsa_exception_int_div_zero 0
	.end_amdhsa_kernel
	.section	.text._ZN9rocsparseL19gebsrmvn_2xn_kernelILj128ELj4ELj4EdEEvi20rocsparse_direction_NS_24const_host_device_scalarIT2_EEPKiS6_PKS3_S8_S4_PS3_21rocsparse_index_base_b,"axG",@progbits,_ZN9rocsparseL19gebsrmvn_2xn_kernelILj128ELj4ELj4EdEEvi20rocsparse_direction_NS_24const_host_device_scalarIT2_EEPKiS6_PKS3_S8_S4_PS3_21rocsparse_index_base_b,comdat
.Lfunc_end86:
	.size	_ZN9rocsparseL19gebsrmvn_2xn_kernelILj128ELj4ELj4EdEEvi20rocsparse_direction_NS_24const_host_device_scalarIT2_EEPKiS6_PKS3_S8_S4_PS3_21rocsparse_index_base_b, .Lfunc_end86-_ZN9rocsparseL19gebsrmvn_2xn_kernelILj128ELj4ELj4EdEEvi20rocsparse_direction_NS_24const_host_device_scalarIT2_EEPKiS6_PKS3_S8_S4_PS3_21rocsparse_index_base_b
                                        ; -- End function
	.section	.AMDGPU.csdata,"",@progbits
; Kernel info:
; codeLenInByte = 1364
; NumSgprs: 18
; NumVgprs: 41
; ScratchSize: 0
; MemoryBound: 1
; FloatMode: 240
; IeeeMode: 1
; LDSByteSize: 0 bytes/workgroup (compile time only)
; SGPRBlocks: 2
; VGPRBlocks: 5
; NumSGPRsForWavesPerEU: 18
; NumVGPRsForWavesPerEU: 41
; Occupancy: 16
; WaveLimiterHint : 1
; COMPUTE_PGM_RSRC2:SCRATCH_EN: 0
; COMPUTE_PGM_RSRC2:USER_SGPR: 15
; COMPUTE_PGM_RSRC2:TRAP_HANDLER: 0
; COMPUTE_PGM_RSRC2:TGID_X_EN: 1
; COMPUTE_PGM_RSRC2:TGID_Y_EN: 0
; COMPUTE_PGM_RSRC2:TGID_Z_EN: 0
; COMPUTE_PGM_RSRC2:TIDIG_COMP_CNT: 0
	.section	.text._ZN9rocsparseL19gebsrmvn_2xn_kernelILj128ELj4ELj8EdEEvi20rocsparse_direction_NS_24const_host_device_scalarIT2_EEPKiS6_PKS3_S8_S4_PS3_21rocsparse_index_base_b,"axG",@progbits,_ZN9rocsparseL19gebsrmvn_2xn_kernelILj128ELj4ELj8EdEEvi20rocsparse_direction_NS_24const_host_device_scalarIT2_EEPKiS6_PKS3_S8_S4_PS3_21rocsparse_index_base_b,comdat
	.globl	_ZN9rocsparseL19gebsrmvn_2xn_kernelILj128ELj4ELj8EdEEvi20rocsparse_direction_NS_24const_host_device_scalarIT2_EEPKiS6_PKS3_S8_S4_PS3_21rocsparse_index_base_b ; -- Begin function _ZN9rocsparseL19gebsrmvn_2xn_kernelILj128ELj4ELj8EdEEvi20rocsparse_direction_NS_24const_host_device_scalarIT2_EEPKiS6_PKS3_S8_S4_PS3_21rocsparse_index_base_b
	.p2align	8
	.type	_ZN9rocsparseL19gebsrmvn_2xn_kernelILj128ELj4ELj8EdEEvi20rocsparse_direction_NS_24const_host_device_scalarIT2_EEPKiS6_PKS3_S8_S4_PS3_21rocsparse_index_base_b,@function
_ZN9rocsparseL19gebsrmvn_2xn_kernelILj128ELj4ELj8EdEEvi20rocsparse_direction_NS_24const_host_device_scalarIT2_EEPKiS6_PKS3_S8_S4_PS3_21rocsparse_index_base_b: ; @_ZN9rocsparseL19gebsrmvn_2xn_kernelILj128ELj4ELj8EdEEvi20rocsparse_direction_NS_24const_host_device_scalarIT2_EEPKiS6_PKS3_S8_S4_PS3_21rocsparse_index_base_b
; %bb.0:
	s_clause 0x2
	s_load_b64 s[12:13], s[0:1], 0x40
	s_load_b64 s[4:5], s[0:1], 0x8
	;; [unrolled: 1-line block ×3, first 2 shown]
	s_waitcnt lgkmcnt(0)
	s_bitcmp1_b32 s13, 0
	v_dual_mov_b32 v1, s4 :: v_dual_mov_b32 v2, s5
	s_cselect_b32 s6, -1, 0
	s_delay_alu instid0(SALU_CYCLE_1)
	s_and_b32 vcc_lo, exec_lo, s6
	s_xor_b32 s6, s6, -1
	s_cbranch_vccnz .LBB87_2
; %bb.1:
	v_dual_mov_b32 v1, s4 :: v_dual_mov_b32 v2, s5
	flat_load_b64 v[1:2], v[1:2]
.LBB87_2:
	v_dual_mov_b32 v4, s3 :: v_dual_mov_b32 v3, s2
	s_and_not1_b32 vcc_lo, exec_lo, s6
	s_cbranch_vccnz .LBB87_4
; %bb.3:
	v_dual_mov_b32 v4, s3 :: v_dual_mov_b32 v3, s2
	flat_load_b64 v[3:4], v[3:4]
.LBB87_4:
	s_waitcnt vmcnt(0) lgkmcnt(0)
	v_cmp_neq_f64_e32 vcc_lo, 0, v[1:2]
	v_cmp_neq_f64_e64 s2, 1.0, v[3:4]
	s_delay_alu instid0(VALU_DEP_1) | instskip(NEXT) | instid1(SALU_CYCLE_1)
	s_or_b32 s2, vcc_lo, s2
	s_and_saveexec_b32 s3, s2
	s_cbranch_execz .LBB87_23
; %bb.5:
	s_load_b64 s[2:3], s[0:1], 0x0
	v_lshrrev_b32_e32 v5, 3, v0
	s_delay_alu instid0(VALU_DEP_1) | instskip(SKIP_1) | instid1(VALU_DEP_1)
	v_lshl_or_b32 v5, s15, 4, v5
	s_waitcnt lgkmcnt(0)
	v_cmp_gt_i32_e32 vcc_lo, s2, v5
	s_and_b32 exec_lo, exec_lo, vcc_lo
	s_cbranch_execz .LBB87_23
; %bb.6:
	s_load_b256 s[4:11], s[0:1], 0x10
	v_ashrrev_i32_e32 v6, 31, v5
	v_and_b32_e32 v0, 7, v0
	s_cmp_lg_u32 s3, 0
	s_delay_alu instid0(VALU_DEP_2) | instskip(SKIP_1) | instid1(VALU_DEP_1)
	v_lshlrev_b64 v[6:7], 2, v[5:6]
	s_waitcnt lgkmcnt(0)
	v_add_co_u32 v6, vcc_lo, s4, v6
	s_delay_alu instid0(VALU_DEP_2) | instskip(SKIP_4) | instid1(VALU_DEP_2)
	v_add_co_ci_u32_e32 v7, vcc_lo, s5, v7, vcc_lo
	global_load_b64 v[6:7], v[6:7], off
	s_waitcnt vmcnt(0)
	v_subrev_nc_u32_e32 v6, s12, v6
	v_subrev_nc_u32_e32 v16, s12, v7
	v_add_nc_u32_e32 v8, v6, v0
	s_delay_alu instid0(VALU_DEP_1)
	v_cmp_lt_i32_e64 s2, v8, v16
	s_cbranch_scc0 .LBB87_12
; %bb.7:
	v_mov_b32_e32 v6, 0
	v_mov_b32_e32 v7, 0
	s_delay_alu instid0(VALU_DEP_1)
	v_dual_mov_b32 v11, v7 :: v_dual_mov_b32 v10, v6
	s_and_saveexec_b32 s3, s2
	s_cbranch_execz .LBB87_11
; %bb.8:
	v_dual_mov_b32 v6, 0 :: v_dual_mov_b32 v13, 0
	v_dual_mov_b32 v7, 0 :: v_dual_lshlrev_b32 v12, 3, v8
	v_mov_b32_e32 v14, v8
	s_mov_b32 s4, 0
	s_delay_alu instid0(VALU_DEP_2)
	v_dual_mov_b32 v11, v7 :: v_dual_mov_b32 v10, v6
.LBB87_9:                               ; =>This Inner Loop Header: Depth=1
	s_delay_alu instid0(VALU_DEP_2) | instskip(NEXT) | instid1(VALU_DEP_1)
	v_ashrrev_i32_e32 v15, 31, v14
	v_lshlrev_b64 v[17:18], 2, v[14:15]
	v_add_nc_u32_e32 v14, 8, v14
	s_delay_alu instid0(VALU_DEP_2) | instskip(NEXT) | instid1(VALU_DEP_3)
	v_add_co_u32 v17, vcc_lo, s6, v17
	v_add_co_ci_u32_e32 v18, vcc_lo, s7, v18, vcc_lo
	global_load_b32 v9, v[17:18], off
	v_lshlrev_b64 v[17:18], 3, v[12:13]
	v_add_nc_u32_e32 v12, 64, v12
	s_delay_alu instid0(VALU_DEP_2) | instskip(NEXT) | instid1(VALU_DEP_3)
	v_add_co_u32 v37, vcc_lo, s8, v17
	v_add_co_ci_u32_e32 v38, vcc_lo, s9, v18, vcc_lo
	s_waitcnt vmcnt(0)
	v_subrev_nc_u32_e32 v9, s12, v9
	s_delay_alu instid0(VALU_DEP_1) | instskip(NEXT) | instid1(VALU_DEP_1)
	v_dual_mov_b32 v20, v13 :: v_dual_lshlrev_b32 v19, 2, v9
	v_lshlrev_b64 v[19:20], 3, v[19:20]
	s_delay_alu instid0(VALU_DEP_1) | instskip(NEXT) | instid1(VALU_DEP_2)
	v_add_co_u32 v29, vcc_lo, s10, v19
	v_add_co_ci_u32_e32 v30, vcc_lo, s11, v20, vcc_lo
	v_cmp_ge_i32_e32 vcc_lo, v14, v16
	s_clause 0x1
	global_load_b128 v[17:20], v[37:38], off offset:16
	global_load_b128 v[21:24], v[37:38], off
	s_clause 0x1
	global_load_b128 v[25:28], v[29:30], off
	global_load_b128 v[29:32], v[29:30], off offset:16
	s_clause 0x1
	global_load_b128 v[33:36], v[37:38], off offset:32
	global_load_b128 v[37:40], v[37:38], off offset:48
	s_or_b32 s4, vcc_lo, s4
	s_waitcnt vmcnt(3)
	v_fma_f64 v[6:7], v[21:22], v[25:26], v[6:7]
	v_fma_f64 v[9:10], v[23:24], v[25:26], v[10:11]
	s_delay_alu instid0(VALU_DEP_2) | instskip(NEXT) | instid1(VALU_DEP_2)
	v_fma_f64 v[6:7], v[17:18], v[27:28], v[6:7]
	v_fma_f64 v[9:10], v[19:20], v[27:28], v[9:10]
	s_waitcnt vmcnt(1)
	s_delay_alu instid0(VALU_DEP_2) | instskip(NEXT) | instid1(VALU_DEP_2)
	v_fma_f64 v[6:7], v[33:34], v[29:30], v[6:7]
	v_fma_f64 v[9:10], v[35:36], v[29:30], v[9:10]
	s_waitcnt vmcnt(0)
	s_delay_alu instid0(VALU_DEP_2) | instskip(NEXT) | instid1(VALU_DEP_2)
	v_fma_f64 v[6:7], v[37:38], v[31:32], v[6:7]
	v_fma_f64 v[10:11], v[39:40], v[31:32], v[9:10]
	s_and_not1_b32 exec_lo, exec_lo, s4
	s_cbranch_execnz .LBB87_9
; %bb.10:
	s_or_b32 exec_lo, exec_lo, s4
.LBB87_11:
	s_delay_alu instid0(SALU_CYCLE_1)
	s_or_b32 exec_lo, exec_lo, s3
	s_cbranch_execz .LBB87_13
	s_branch .LBB87_18
.LBB87_12:
                                        ; implicit-def: $vgpr6_vgpr7
                                        ; implicit-def: $vgpr10_vgpr11
.LBB87_13:
	v_mov_b32_e32 v6, 0
	v_mov_b32_e32 v7, 0
	s_delay_alu instid0(VALU_DEP_1)
	v_dual_mov_b32 v11, v7 :: v_dual_mov_b32 v10, v6
	s_and_saveexec_b32 s3, s2
	s_cbranch_execz .LBB87_17
; %bb.14:
	v_dual_mov_b32 v6, 0 :: v_dual_mov_b32 v13, 0
	v_dual_mov_b32 v7, 0 :: v_dual_lshlrev_b32 v12, 3, v8
	s_mov_b32 s2, 0
	s_delay_alu instid0(VALU_DEP_1)
	v_dual_mov_b32 v11, v7 :: v_dual_mov_b32 v10, v6
.LBB87_15:                              ; =>This Inner Loop Header: Depth=1
	v_ashrrev_i32_e32 v9, 31, v8
	s_delay_alu instid0(VALU_DEP_1) | instskip(SKIP_1) | instid1(VALU_DEP_2)
	v_lshlrev_b64 v[14:15], 2, v[8:9]
	v_add_nc_u32_e32 v8, 8, v8
	v_add_co_u32 v14, vcc_lo, s6, v14
	s_delay_alu instid0(VALU_DEP_3) | instskip(SKIP_3) | instid1(VALU_DEP_2)
	v_add_co_ci_u32_e32 v15, vcc_lo, s7, v15, vcc_lo
	global_load_b32 v9, v[14:15], off
	v_lshlrev_b64 v[14:15], 3, v[12:13]
	v_add_nc_u32_e32 v12, 64, v12
	v_add_co_u32 v14, vcc_lo, s8, v14
	s_delay_alu instid0(VALU_DEP_3) | instskip(SKIP_2) | instid1(VALU_DEP_1)
	v_add_co_ci_u32_e32 v15, vcc_lo, s9, v15, vcc_lo
	s_waitcnt vmcnt(0)
	v_subrev_nc_u32_e32 v9, s12, v9
	v_dual_mov_b32 v18, v13 :: v_dual_lshlrev_b32 v17, 2, v9
	s_delay_alu instid0(VALU_DEP_1)
	v_lshlrev_b64 v[21:22], 3, v[17:18]
	global_load_b128 v[17:20], v[14:15], off offset:48
	v_add_co_u32 v37, vcc_lo, s10, v21
	v_add_co_ci_u32_e32 v38, vcc_lo, s11, v22, vcc_lo
	s_clause 0x2
	global_load_b128 v[21:24], v[14:15], off offset:32
	global_load_b128 v[25:28], v[14:15], off offset:16
	global_load_b128 v[29:32], v[14:15], off
	s_clause 0x1
	global_load_b128 v[33:36], v[37:38], off
	global_load_b128 v[37:40], v[37:38], off offset:16
	v_cmp_ge_i32_e32 vcc_lo, v8, v16
	s_or_b32 s2, vcc_lo, s2
	s_waitcnt vmcnt(1)
	v_fma_f64 v[6:7], v[29:30], v[33:34], v[6:7]
	v_fma_f64 v[9:10], v[21:22], v[33:34], v[10:11]
	s_delay_alu instid0(VALU_DEP_2) | instskip(NEXT) | instid1(VALU_DEP_2)
	v_fma_f64 v[6:7], v[31:32], v[35:36], v[6:7]
	v_fma_f64 v[9:10], v[23:24], v[35:36], v[9:10]
	s_waitcnt vmcnt(0)
	s_delay_alu instid0(VALU_DEP_2) | instskip(NEXT) | instid1(VALU_DEP_2)
	v_fma_f64 v[6:7], v[25:26], v[37:38], v[6:7]
	v_fma_f64 v[9:10], v[17:18], v[37:38], v[9:10]
	s_delay_alu instid0(VALU_DEP_2) | instskip(NEXT) | instid1(VALU_DEP_2)
	v_fma_f64 v[6:7], v[27:28], v[39:40], v[6:7]
	v_fma_f64 v[10:11], v[19:20], v[39:40], v[9:10]
	s_and_not1_b32 exec_lo, exec_lo, s2
	s_cbranch_execnz .LBB87_15
; %bb.16:
	s_or_b32 exec_lo, exec_lo, s2
.LBB87_17:
	s_delay_alu instid0(SALU_CYCLE_1)
	s_or_b32 exec_lo, exec_lo, s3
.LBB87_18:
	v_mbcnt_lo_u32_b32 v14, -1, 0
	s_delay_alu instid0(VALU_DEP_1) | instskip(NEXT) | instid1(VALU_DEP_1)
	v_xor_b32_e32 v8, 4, v14
	v_cmp_gt_i32_e32 vcc_lo, 32, v8
	v_cndmask_b32_e32 v8, v14, v8, vcc_lo
	s_delay_alu instid0(VALU_DEP_1)
	v_lshlrev_b32_e32 v13, 2, v8
	ds_bpermute_b32 v8, v13, v6
	ds_bpermute_b32 v9, v13, v7
	;; [unrolled: 1-line block ×4, first 2 shown]
	s_waitcnt lgkmcnt(2)
	v_add_f64 v[6:7], v[6:7], v[8:9]
	s_waitcnt lgkmcnt(0)
	v_add_f64 v[8:9], v[10:11], v[12:13]
	v_xor_b32_e32 v10, 2, v14
	s_delay_alu instid0(VALU_DEP_1) | instskip(SKIP_1) | instid1(VALU_DEP_1)
	v_cmp_gt_i32_e32 vcc_lo, 32, v10
	v_cndmask_b32_e32 v10, v14, v10, vcc_lo
	v_lshlrev_b32_e32 v13, 2, v10
	ds_bpermute_b32 v10, v13, v6
	ds_bpermute_b32 v11, v13, v7
	;; [unrolled: 1-line block ×4, first 2 shown]
	s_waitcnt lgkmcnt(2)
	v_add_f64 v[6:7], v[6:7], v[10:11]
	s_waitcnt lgkmcnt(0)
	v_add_f64 v[10:11], v[8:9], v[12:13]
	v_xor_b32_e32 v8, 1, v14
	s_delay_alu instid0(VALU_DEP_1) | instskip(SKIP_2) | instid1(VALU_DEP_2)
	v_cmp_gt_i32_e32 vcc_lo, 32, v8
	v_cndmask_b32_e32 v8, v14, v8, vcc_lo
	v_cmp_eq_u32_e32 vcc_lo, 7, v0
	v_lshlrev_b32_e32 v13, 2, v8
	ds_bpermute_b32 v8, v13, v6
	ds_bpermute_b32 v9, v13, v7
	;; [unrolled: 1-line block ×4, first 2 shown]
	s_and_b32 exec_lo, exec_lo, vcc_lo
	s_cbranch_execz .LBB87_23
; %bb.19:
	s_waitcnt lgkmcnt(2)
	v_add_f64 v[8:9], v[6:7], v[8:9]
	s_waitcnt lgkmcnt(0)
	v_add_f64 v[6:7], v[10:11], v[12:13]
	s_load_b64 s[0:1], s[0:1], 0x38
	s_mov_b32 s2, exec_lo
	v_cmpx_eq_f64_e32 0, v[3:4]
	s_xor_b32 s2, exec_lo, s2
	s_cbranch_execz .LBB87_21
; %bb.20:
	s_delay_alu instid0(VALU_DEP_3) | instskip(NEXT) | instid1(VALU_DEP_3)
	v_mul_f64 v[8:9], v[1:2], v[8:9]
	v_mul_f64 v[10:11], v[1:2], v[6:7]
	v_lshlrev_b32_e32 v0, 1, v5
                                        ; implicit-def: $vgpr5
                                        ; implicit-def: $vgpr3_vgpr4
                                        ; implicit-def: $vgpr6_vgpr7
	s_delay_alu instid0(VALU_DEP_1) | instskip(NEXT) | instid1(VALU_DEP_1)
	v_ashrrev_i32_e32 v1, 31, v0
	v_lshlrev_b64 v[0:1], 3, v[0:1]
	s_waitcnt lgkmcnt(0)
	s_delay_alu instid0(VALU_DEP_1) | instskip(NEXT) | instid1(VALU_DEP_2)
	v_add_co_u32 v0, vcc_lo, s0, v0
	v_add_co_ci_u32_e32 v1, vcc_lo, s1, v1, vcc_lo
	global_store_b128 v[0:1], v[8:11], off
                                        ; implicit-def: $vgpr1_vgpr2
                                        ; implicit-def: $vgpr8_vgpr9
.LBB87_21:
	s_and_not1_saveexec_b32 s2, s2
	s_cbranch_execz .LBB87_23
; %bb.22:
	v_lshlrev_b32_e32 v10, 1, v5
	s_delay_alu instid0(VALU_DEP_4) | instskip(NEXT) | instid1(VALU_DEP_4)
	v_mul_f64 v[8:9], v[1:2], v[8:9]
	v_mul_f64 v[5:6], v[1:2], v[6:7]
	s_delay_alu instid0(VALU_DEP_3) | instskip(NEXT) | instid1(VALU_DEP_1)
	v_ashrrev_i32_e32 v11, 31, v10
	v_lshlrev_b64 v[10:11], 3, v[10:11]
	s_waitcnt lgkmcnt(0)
	s_delay_alu instid0(VALU_DEP_1) | instskip(NEXT) | instid1(VALU_DEP_2)
	v_add_co_u32 v14, vcc_lo, s0, v10
	v_add_co_ci_u32_e32 v15, vcc_lo, s1, v11, vcc_lo
	global_load_b128 v[10:13], v[14:15], off
	s_waitcnt vmcnt(0)
	v_fma_f64 v[0:1], v[3:4], v[10:11], v[8:9]
	v_fma_f64 v[2:3], v[3:4], v[12:13], v[5:6]
	global_store_b128 v[14:15], v[0:3], off
.LBB87_23:
	s_nop 0
	s_sendmsg sendmsg(MSG_DEALLOC_VGPRS)
	s_endpgm
	.section	.rodata,"a",@progbits
	.p2align	6, 0x0
	.amdhsa_kernel _ZN9rocsparseL19gebsrmvn_2xn_kernelILj128ELj4ELj8EdEEvi20rocsparse_direction_NS_24const_host_device_scalarIT2_EEPKiS6_PKS3_S8_S4_PS3_21rocsparse_index_base_b
		.amdhsa_group_segment_fixed_size 0
		.amdhsa_private_segment_fixed_size 0
		.amdhsa_kernarg_size 72
		.amdhsa_user_sgpr_count 15
		.amdhsa_user_sgpr_dispatch_ptr 0
		.amdhsa_user_sgpr_queue_ptr 0
		.amdhsa_user_sgpr_kernarg_segment_ptr 1
		.amdhsa_user_sgpr_dispatch_id 0
		.amdhsa_user_sgpr_private_segment_size 0
		.amdhsa_wavefront_size32 1
		.amdhsa_uses_dynamic_stack 0
		.amdhsa_enable_private_segment 0
		.amdhsa_system_sgpr_workgroup_id_x 1
		.amdhsa_system_sgpr_workgroup_id_y 0
		.amdhsa_system_sgpr_workgroup_id_z 0
		.amdhsa_system_sgpr_workgroup_info 0
		.amdhsa_system_vgpr_workitem_id 0
		.amdhsa_next_free_vgpr 41
		.amdhsa_next_free_sgpr 16
		.amdhsa_reserve_vcc 1
		.amdhsa_float_round_mode_32 0
		.amdhsa_float_round_mode_16_64 0
		.amdhsa_float_denorm_mode_32 3
		.amdhsa_float_denorm_mode_16_64 3
		.amdhsa_dx10_clamp 1
		.amdhsa_ieee_mode 1
		.amdhsa_fp16_overflow 0
		.amdhsa_workgroup_processor_mode 1
		.amdhsa_memory_ordered 1
		.amdhsa_forward_progress 0
		.amdhsa_shared_vgpr_count 0
		.amdhsa_exception_fp_ieee_invalid_op 0
		.amdhsa_exception_fp_denorm_src 0
		.amdhsa_exception_fp_ieee_div_zero 0
		.amdhsa_exception_fp_ieee_overflow 0
		.amdhsa_exception_fp_ieee_underflow 0
		.amdhsa_exception_fp_ieee_inexact 0
		.amdhsa_exception_int_div_zero 0
	.end_amdhsa_kernel
	.section	.text._ZN9rocsparseL19gebsrmvn_2xn_kernelILj128ELj4ELj8EdEEvi20rocsparse_direction_NS_24const_host_device_scalarIT2_EEPKiS6_PKS3_S8_S4_PS3_21rocsparse_index_base_b,"axG",@progbits,_ZN9rocsparseL19gebsrmvn_2xn_kernelILj128ELj4ELj8EdEEvi20rocsparse_direction_NS_24const_host_device_scalarIT2_EEPKiS6_PKS3_S8_S4_PS3_21rocsparse_index_base_b,comdat
.Lfunc_end87:
	.size	_ZN9rocsparseL19gebsrmvn_2xn_kernelILj128ELj4ELj8EdEEvi20rocsparse_direction_NS_24const_host_device_scalarIT2_EEPKiS6_PKS3_S8_S4_PS3_21rocsparse_index_base_b, .Lfunc_end87-_ZN9rocsparseL19gebsrmvn_2xn_kernelILj128ELj4ELj8EdEEvi20rocsparse_direction_NS_24const_host_device_scalarIT2_EEPKiS6_PKS3_S8_S4_PS3_21rocsparse_index_base_b
                                        ; -- End function
	.section	.AMDGPU.csdata,"",@progbits
; Kernel info:
; codeLenInByte = 1440
; NumSgprs: 18
; NumVgprs: 41
; ScratchSize: 0
; MemoryBound: 1
; FloatMode: 240
; IeeeMode: 1
; LDSByteSize: 0 bytes/workgroup (compile time only)
; SGPRBlocks: 2
; VGPRBlocks: 5
; NumSGPRsForWavesPerEU: 18
; NumVGPRsForWavesPerEU: 41
; Occupancy: 16
; WaveLimiterHint : 1
; COMPUTE_PGM_RSRC2:SCRATCH_EN: 0
; COMPUTE_PGM_RSRC2:USER_SGPR: 15
; COMPUTE_PGM_RSRC2:TRAP_HANDLER: 0
; COMPUTE_PGM_RSRC2:TGID_X_EN: 1
; COMPUTE_PGM_RSRC2:TGID_Y_EN: 0
; COMPUTE_PGM_RSRC2:TGID_Z_EN: 0
; COMPUTE_PGM_RSRC2:TIDIG_COMP_CNT: 0
	.section	.text._ZN9rocsparseL19gebsrmvn_2xn_kernelILj128ELj4ELj16EdEEvi20rocsparse_direction_NS_24const_host_device_scalarIT2_EEPKiS6_PKS3_S8_S4_PS3_21rocsparse_index_base_b,"axG",@progbits,_ZN9rocsparseL19gebsrmvn_2xn_kernelILj128ELj4ELj16EdEEvi20rocsparse_direction_NS_24const_host_device_scalarIT2_EEPKiS6_PKS3_S8_S4_PS3_21rocsparse_index_base_b,comdat
	.globl	_ZN9rocsparseL19gebsrmvn_2xn_kernelILj128ELj4ELj16EdEEvi20rocsparse_direction_NS_24const_host_device_scalarIT2_EEPKiS6_PKS3_S8_S4_PS3_21rocsparse_index_base_b ; -- Begin function _ZN9rocsparseL19gebsrmvn_2xn_kernelILj128ELj4ELj16EdEEvi20rocsparse_direction_NS_24const_host_device_scalarIT2_EEPKiS6_PKS3_S8_S4_PS3_21rocsparse_index_base_b
	.p2align	8
	.type	_ZN9rocsparseL19gebsrmvn_2xn_kernelILj128ELj4ELj16EdEEvi20rocsparse_direction_NS_24const_host_device_scalarIT2_EEPKiS6_PKS3_S8_S4_PS3_21rocsparse_index_base_b,@function
_ZN9rocsparseL19gebsrmvn_2xn_kernelILj128ELj4ELj16EdEEvi20rocsparse_direction_NS_24const_host_device_scalarIT2_EEPKiS6_PKS3_S8_S4_PS3_21rocsparse_index_base_b: ; @_ZN9rocsparseL19gebsrmvn_2xn_kernelILj128ELj4ELj16EdEEvi20rocsparse_direction_NS_24const_host_device_scalarIT2_EEPKiS6_PKS3_S8_S4_PS3_21rocsparse_index_base_b
; %bb.0:
	s_clause 0x2
	s_load_b64 s[12:13], s[0:1], 0x40
	s_load_b64 s[4:5], s[0:1], 0x8
	;; [unrolled: 1-line block ×3, first 2 shown]
	s_waitcnt lgkmcnt(0)
	s_bitcmp1_b32 s13, 0
	v_dual_mov_b32 v1, s4 :: v_dual_mov_b32 v2, s5
	s_cselect_b32 s6, -1, 0
	s_delay_alu instid0(SALU_CYCLE_1)
	s_and_b32 vcc_lo, exec_lo, s6
	s_xor_b32 s6, s6, -1
	s_cbranch_vccnz .LBB88_2
; %bb.1:
	v_dual_mov_b32 v1, s4 :: v_dual_mov_b32 v2, s5
	flat_load_b64 v[1:2], v[1:2]
.LBB88_2:
	v_dual_mov_b32 v4, s3 :: v_dual_mov_b32 v3, s2
	s_and_not1_b32 vcc_lo, exec_lo, s6
	s_cbranch_vccnz .LBB88_4
; %bb.3:
	v_dual_mov_b32 v4, s3 :: v_dual_mov_b32 v3, s2
	flat_load_b64 v[3:4], v[3:4]
.LBB88_4:
	s_waitcnt vmcnt(0) lgkmcnt(0)
	v_cmp_neq_f64_e32 vcc_lo, 0, v[1:2]
	v_cmp_neq_f64_e64 s2, 1.0, v[3:4]
	s_delay_alu instid0(VALU_DEP_1) | instskip(NEXT) | instid1(SALU_CYCLE_1)
	s_or_b32 s2, vcc_lo, s2
	s_and_saveexec_b32 s3, s2
	s_cbranch_execz .LBB88_23
; %bb.5:
	s_load_b64 s[2:3], s[0:1], 0x0
	v_lshrrev_b32_e32 v5, 4, v0
	s_delay_alu instid0(VALU_DEP_1) | instskip(SKIP_1) | instid1(VALU_DEP_1)
	v_lshl_or_b32 v5, s15, 3, v5
	s_waitcnt lgkmcnt(0)
	v_cmp_gt_i32_e32 vcc_lo, s2, v5
	s_and_b32 exec_lo, exec_lo, vcc_lo
	s_cbranch_execz .LBB88_23
; %bb.6:
	s_load_b256 s[4:11], s[0:1], 0x10
	v_ashrrev_i32_e32 v6, 31, v5
	v_and_b32_e32 v0, 15, v0
	s_cmp_lg_u32 s3, 0
	s_delay_alu instid0(VALU_DEP_2) | instskip(SKIP_1) | instid1(VALU_DEP_1)
	v_lshlrev_b64 v[6:7], 2, v[5:6]
	s_waitcnt lgkmcnt(0)
	v_add_co_u32 v6, vcc_lo, s4, v6
	s_delay_alu instid0(VALU_DEP_2) | instskip(SKIP_4) | instid1(VALU_DEP_2)
	v_add_co_ci_u32_e32 v7, vcc_lo, s5, v7, vcc_lo
	global_load_b64 v[6:7], v[6:7], off
	s_waitcnt vmcnt(0)
	v_subrev_nc_u32_e32 v6, s12, v6
	v_subrev_nc_u32_e32 v15, s12, v7
	v_add_nc_u32_e32 v10, v6, v0
	s_delay_alu instid0(VALU_DEP_1)
	v_cmp_lt_i32_e64 s2, v10, v15
	s_cbranch_scc0 .LBB88_12
; %bb.7:
	v_mov_b32_e32 v6, 0
	v_mov_b32_e32 v7, 0
	s_delay_alu instid0(VALU_DEP_1)
	v_dual_mov_b32 v9, v7 :: v_dual_mov_b32 v8, v6
	s_and_saveexec_b32 s3, s2
	s_cbranch_execz .LBB88_11
; %bb.8:
	v_dual_mov_b32 v6, 0 :: v_dual_lshlrev_b32 v11, 3, v10
	v_dual_mov_b32 v7, 0 :: v_dual_mov_b32 v12, 0
	v_mov_b32_e32 v13, v10
	s_mov_b32 s4, 0
	s_delay_alu instid0(VALU_DEP_2)
	v_dual_mov_b32 v9, v7 :: v_dual_mov_b32 v8, v6
.LBB88_9:                               ; =>This Inner Loop Header: Depth=1
	s_delay_alu instid0(VALU_DEP_2) | instskip(NEXT) | instid1(VALU_DEP_1)
	v_ashrrev_i32_e32 v14, 31, v13
	v_lshlrev_b64 v[16:17], 2, v[13:14]
	v_add_nc_u32_e32 v13, 16, v13
	s_delay_alu instid0(VALU_DEP_2) | instskip(NEXT) | instid1(VALU_DEP_3)
	v_add_co_u32 v16, vcc_lo, s6, v16
	v_add_co_ci_u32_e32 v17, vcc_lo, s7, v17, vcc_lo
	global_load_b32 v14, v[16:17], off
	v_lshlrev_b64 v[16:17], 3, v[11:12]
	v_add_nc_u32_e32 v11, 0x80, v11
	s_delay_alu instid0(VALU_DEP_2) | instskip(NEXT) | instid1(VALU_DEP_3)
	v_add_co_u32 v36, vcc_lo, s8, v16
	v_add_co_ci_u32_e32 v37, vcc_lo, s9, v17, vcc_lo
	s_waitcnt vmcnt(0)
	v_subrev_nc_u32_e32 v14, s12, v14
	s_delay_alu instid0(VALU_DEP_1) | instskip(NEXT) | instid1(VALU_DEP_1)
	v_dual_mov_b32 v19, v12 :: v_dual_lshlrev_b32 v18, 2, v14
	v_lshlrev_b64 v[18:19], 3, v[18:19]
	s_delay_alu instid0(VALU_DEP_1) | instskip(NEXT) | instid1(VALU_DEP_2)
	v_add_co_u32 v28, vcc_lo, s10, v18
	v_add_co_ci_u32_e32 v29, vcc_lo, s11, v19, vcc_lo
	v_cmp_ge_i32_e32 vcc_lo, v13, v15
	s_clause 0x1
	global_load_b128 v[16:19], v[36:37], off offset:16
	global_load_b128 v[20:23], v[36:37], off
	s_clause 0x1
	global_load_b128 v[24:27], v[28:29], off
	global_load_b128 v[28:31], v[28:29], off offset:16
	s_clause 0x1
	global_load_b128 v[32:35], v[36:37], off offset:32
	global_load_b128 v[36:39], v[36:37], off offset:48
	s_or_b32 s4, vcc_lo, s4
	s_waitcnt vmcnt(3)
	v_fma_f64 v[6:7], v[20:21], v[24:25], v[6:7]
	v_fma_f64 v[8:9], v[22:23], v[24:25], v[8:9]
	s_delay_alu instid0(VALU_DEP_2) | instskip(NEXT) | instid1(VALU_DEP_2)
	v_fma_f64 v[6:7], v[16:17], v[26:27], v[6:7]
	v_fma_f64 v[8:9], v[18:19], v[26:27], v[8:9]
	s_waitcnt vmcnt(1)
	s_delay_alu instid0(VALU_DEP_2) | instskip(NEXT) | instid1(VALU_DEP_2)
	v_fma_f64 v[6:7], v[32:33], v[28:29], v[6:7]
	v_fma_f64 v[8:9], v[34:35], v[28:29], v[8:9]
	s_waitcnt vmcnt(0)
	s_delay_alu instid0(VALU_DEP_2) | instskip(NEXT) | instid1(VALU_DEP_2)
	v_fma_f64 v[6:7], v[36:37], v[30:31], v[6:7]
	v_fma_f64 v[8:9], v[38:39], v[30:31], v[8:9]
	s_and_not1_b32 exec_lo, exec_lo, s4
	s_cbranch_execnz .LBB88_9
; %bb.10:
	s_or_b32 exec_lo, exec_lo, s4
.LBB88_11:
	s_delay_alu instid0(SALU_CYCLE_1)
	s_or_b32 exec_lo, exec_lo, s3
	s_cbranch_execz .LBB88_13
	s_branch .LBB88_18
.LBB88_12:
                                        ; implicit-def: $vgpr6_vgpr7
                                        ; implicit-def: $vgpr8_vgpr9
.LBB88_13:
	v_mov_b32_e32 v6, 0
	v_mov_b32_e32 v7, 0
	s_delay_alu instid0(VALU_DEP_1)
	v_dual_mov_b32 v9, v7 :: v_dual_mov_b32 v8, v6
	s_and_saveexec_b32 s3, s2
	s_cbranch_execz .LBB88_17
; %bb.14:
	v_dual_mov_b32 v6, 0 :: v_dual_mov_b32 v13, 0
	v_dual_mov_b32 v7, 0 :: v_dual_lshlrev_b32 v12, 3, v10
	s_mov_b32 s2, 0
	s_delay_alu instid0(VALU_DEP_1)
	v_dual_mov_b32 v9, v7 :: v_dual_mov_b32 v8, v6
.LBB88_15:                              ; =>This Inner Loop Header: Depth=1
	v_ashrrev_i32_e32 v11, 31, v10
	s_delay_alu instid0(VALU_DEP_1) | instskip(SKIP_1) | instid1(VALU_DEP_2)
	v_lshlrev_b64 v[16:17], 2, v[10:11]
	v_add_nc_u32_e32 v10, 16, v10
	v_add_co_u32 v16, vcc_lo, s6, v16
	s_delay_alu instid0(VALU_DEP_3) | instskip(SKIP_3) | instid1(VALU_DEP_2)
	v_add_co_ci_u32_e32 v17, vcc_lo, s7, v17, vcc_lo
	global_load_b32 v11, v[16:17], off
	v_lshlrev_b64 v[16:17], 3, v[12:13]
	v_add_nc_u32_e32 v12, 0x80, v12
	v_add_co_u32 v28, vcc_lo, s8, v16
	s_delay_alu instid0(VALU_DEP_3) | instskip(SKIP_2) | instid1(VALU_DEP_1)
	v_add_co_ci_u32_e32 v29, vcc_lo, s9, v17, vcc_lo
	s_waitcnt vmcnt(0)
	v_subrev_nc_u32_e32 v11, s12, v11
	v_dual_mov_b32 v19, v13 :: v_dual_lshlrev_b32 v18, 2, v11
	s_delay_alu instid0(VALU_DEP_1)
	v_lshlrev_b64 v[20:21], 3, v[18:19]
	global_load_b128 v[16:19], v[28:29], off offset:48
	v_add_co_u32 v36, vcc_lo, s10, v20
	v_add_co_ci_u32_e32 v37, vcc_lo, s11, v21, vcc_lo
	s_clause 0x2
	global_load_b128 v[20:23], v[28:29], off offset:32
	global_load_b128 v[24:27], v[28:29], off offset:16
	global_load_b128 v[28:31], v[28:29], off
	s_clause 0x1
	global_load_b128 v[32:35], v[36:37], off
	global_load_b128 v[36:39], v[36:37], off offset:16
	v_cmp_ge_i32_e32 vcc_lo, v10, v15
	s_or_b32 s2, vcc_lo, s2
	s_waitcnt vmcnt(1)
	v_fma_f64 v[6:7], v[28:29], v[32:33], v[6:7]
	v_fma_f64 v[8:9], v[20:21], v[32:33], v[8:9]
	s_delay_alu instid0(VALU_DEP_2) | instskip(NEXT) | instid1(VALU_DEP_2)
	v_fma_f64 v[6:7], v[30:31], v[34:35], v[6:7]
	v_fma_f64 v[8:9], v[22:23], v[34:35], v[8:9]
	s_waitcnt vmcnt(0)
	s_delay_alu instid0(VALU_DEP_2) | instskip(NEXT) | instid1(VALU_DEP_2)
	v_fma_f64 v[6:7], v[24:25], v[36:37], v[6:7]
	v_fma_f64 v[8:9], v[16:17], v[36:37], v[8:9]
	s_delay_alu instid0(VALU_DEP_2) | instskip(NEXT) | instid1(VALU_DEP_2)
	v_fma_f64 v[6:7], v[26:27], v[38:39], v[6:7]
	v_fma_f64 v[8:9], v[18:19], v[38:39], v[8:9]
	s_and_not1_b32 exec_lo, exec_lo, s2
	s_cbranch_execnz .LBB88_15
; %bb.16:
	s_or_b32 exec_lo, exec_lo, s2
.LBB88_17:
	s_delay_alu instid0(SALU_CYCLE_1)
	s_or_b32 exec_lo, exec_lo, s3
.LBB88_18:
	v_mbcnt_lo_u32_b32 v14, -1, 0
	s_delay_alu instid0(VALU_DEP_1) | instskip(NEXT) | instid1(VALU_DEP_1)
	v_xor_b32_e32 v10, 8, v14
	v_cmp_gt_i32_e32 vcc_lo, 32, v10
	v_cndmask_b32_e32 v10, v14, v10, vcc_lo
	s_delay_alu instid0(VALU_DEP_1)
	v_lshlrev_b32_e32 v13, 2, v10
	ds_bpermute_b32 v10, v13, v6
	ds_bpermute_b32 v11, v13, v7
	;; [unrolled: 1-line block ×4, first 2 shown]
	s_waitcnt lgkmcnt(2)
	v_add_f64 v[6:7], v[6:7], v[10:11]
	v_xor_b32_e32 v10, 4, v14
	s_waitcnt lgkmcnt(0)
	v_add_f64 v[8:9], v[8:9], v[12:13]
	s_delay_alu instid0(VALU_DEP_2) | instskip(SKIP_1) | instid1(VALU_DEP_1)
	v_cmp_gt_i32_e32 vcc_lo, 32, v10
	v_cndmask_b32_e32 v10, v14, v10, vcc_lo
	v_lshlrev_b32_e32 v13, 2, v10
	ds_bpermute_b32 v10, v13, v6
	ds_bpermute_b32 v11, v13, v7
	;; [unrolled: 1-line block ×4, first 2 shown]
	s_waitcnt lgkmcnt(2)
	v_add_f64 v[6:7], v[6:7], v[10:11]
	v_xor_b32_e32 v10, 2, v14
	s_waitcnt lgkmcnt(0)
	v_add_f64 v[8:9], v[8:9], v[12:13]
	s_delay_alu instid0(VALU_DEP_2) | instskip(SKIP_1) | instid1(VALU_DEP_1)
	v_cmp_gt_i32_e32 vcc_lo, 32, v10
	v_cndmask_b32_e32 v10, v14, v10, vcc_lo
	v_lshlrev_b32_e32 v13, 2, v10
	ds_bpermute_b32 v10, v13, v6
	ds_bpermute_b32 v11, v13, v7
	;; [unrolled: 1-line block ×4, first 2 shown]
	s_waitcnt lgkmcnt(2)
	v_add_f64 v[6:7], v[6:7], v[10:11]
	s_waitcnt lgkmcnt(0)
	v_add_f64 v[10:11], v[8:9], v[12:13]
	v_xor_b32_e32 v8, 1, v14
	s_delay_alu instid0(VALU_DEP_1) | instskip(SKIP_2) | instid1(VALU_DEP_2)
	v_cmp_gt_i32_e32 vcc_lo, 32, v8
	v_cndmask_b32_e32 v8, v14, v8, vcc_lo
	v_cmp_eq_u32_e32 vcc_lo, 15, v0
	v_lshlrev_b32_e32 v13, 2, v8
	ds_bpermute_b32 v8, v13, v6
	ds_bpermute_b32 v9, v13, v7
	;; [unrolled: 1-line block ×4, first 2 shown]
	s_and_b32 exec_lo, exec_lo, vcc_lo
	s_cbranch_execz .LBB88_23
; %bb.19:
	s_waitcnt lgkmcnt(2)
	v_add_f64 v[8:9], v[6:7], v[8:9]
	s_waitcnt lgkmcnt(0)
	v_add_f64 v[6:7], v[10:11], v[12:13]
	s_load_b64 s[0:1], s[0:1], 0x38
	s_mov_b32 s2, exec_lo
	v_cmpx_eq_f64_e32 0, v[3:4]
	s_xor_b32 s2, exec_lo, s2
	s_cbranch_execz .LBB88_21
; %bb.20:
	s_delay_alu instid0(VALU_DEP_3) | instskip(NEXT) | instid1(VALU_DEP_3)
	v_mul_f64 v[8:9], v[1:2], v[8:9]
	v_mul_f64 v[10:11], v[1:2], v[6:7]
	v_lshlrev_b32_e32 v0, 1, v5
                                        ; implicit-def: $vgpr5
                                        ; implicit-def: $vgpr3_vgpr4
                                        ; implicit-def: $vgpr6_vgpr7
	s_delay_alu instid0(VALU_DEP_1) | instskip(NEXT) | instid1(VALU_DEP_1)
	v_ashrrev_i32_e32 v1, 31, v0
	v_lshlrev_b64 v[0:1], 3, v[0:1]
	s_waitcnt lgkmcnt(0)
	s_delay_alu instid0(VALU_DEP_1) | instskip(NEXT) | instid1(VALU_DEP_2)
	v_add_co_u32 v0, vcc_lo, s0, v0
	v_add_co_ci_u32_e32 v1, vcc_lo, s1, v1, vcc_lo
	global_store_b128 v[0:1], v[8:11], off
                                        ; implicit-def: $vgpr1_vgpr2
                                        ; implicit-def: $vgpr8_vgpr9
.LBB88_21:
	s_and_not1_saveexec_b32 s2, s2
	s_cbranch_execz .LBB88_23
; %bb.22:
	v_lshlrev_b32_e32 v10, 1, v5
	s_delay_alu instid0(VALU_DEP_4) | instskip(NEXT) | instid1(VALU_DEP_4)
	v_mul_f64 v[8:9], v[1:2], v[8:9]
	v_mul_f64 v[5:6], v[1:2], v[6:7]
	s_delay_alu instid0(VALU_DEP_3) | instskip(NEXT) | instid1(VALU_DEP_1)
	v_ashrrev_i32_e32 v11, 31, v10
	v_lshlrev_b64 v[10:11], 3, v[10:11]
	s_waitcnt lgkmcnt(0)
	s_delay_alu instid0(VALU_DEP_1) | instskip(NEXT) | instid1(VALU_DEP_2)
	v_add_co_u32 v14, vcc_lo, s0, v10
	v_add_co_ci_u32_e32 v15, vcc_lo, s1, v11, vcc_lo
	global_load_b128 v[10:13], v[14:15], off
	s_waitcnt vmcnt(0)
	v_fma_f64 v[0:1], v[3:4], v[10:11], v[8:9]
	v_fma_f64 v[2:3], v[3:4], v[12:13], v[5:6]
	global_store_b128 v[14:15], v[0:3], off
.LBB88_23:
	s_nop 0
	s_sendmsg sendmsg(MSG_DEALLOC_VGPRS)
	s_endpgm
	.section	.rodata,"a",@progbits
	.p2align	6, 0x0
	.amdhsa_kernel _ZN9rocsparseL19gebsrmvn_2xn_kernelILj128ELj4ELj16EdEEvi20rocsparse_direction_NS_24const_host_device_scalarIT2_EEPKiS6_PKS3_S8_S4_PS3_21rocsparse_index_base_b
		.amdhsa_group_segment_fixed_size 0
		.amdhsa_private_segment_fixed_size 0
		.amdhsa_kernarg_size 72
		.amdhsa_user_sgpr_count 15
		.amdhsa_user_sgpr_dispatch_ptr 0
		.amdhsa_user_sgpr_queue_ptr 0
		.amdhsa_user_sgpr_kernarg_segment_ptr 1
		.amdhsa_user_sgpr_dispatch_id 0
		.amdhsa_user_sgpr_private_segment_size 0
		.amdhsa_wavefront_size32 1
		.amdhsa_uses_dynamic_stack 0
		.amdhsa_enable_private_segment 0
		.amdhsa_system_sgpr_workgroup_id_x 1
		.amdhsa_system_sgpr_workgroup_id_y 0
		.amdhsa_system_sgpr_workgroup_id_z 0
		.amdhsa_system_sgpr_workgroup_info 0
		.amdhsa_system_vgpr_workitem_id 0
		.amdhsa_next_free_vgpr 40
		.amdhsa_next_free_sgpr 16
		.amdhsa_reserve_vcc 1
		.amdhsa_float_round_mode_32 0
		.amdhsa_float_round_mode_16_64 0
		.amdhsa_float_denorm_mode_32 3
		.amdhsa_float_denorm_mode_16_64 3
		.amdhsa_dx10_clamp 1
		.amdhsa_ieee_mode 1
		.amdhsa_fp16_overflow 0
		.amdhsa_workgroup_processor_mode 1
		.amdhsa_memory_ordered 1
		.amdhsa_forward_progress 0
		.amdhsa_shared_vgpr_count 0
		.amdhsa_exception_fp_ieee_invalid_op 0
		.amdhsa_exception_fp_denorm_src 0
		.amdhsa_exception_fp_ieee_div_zero 0
		.amdhsa_exception_fp_ieee_overflow 0
		.amdhsa_exception_fp_ieee_underflow 0
		.amdhsa_exception_fp_ieee_inexact 0
		.amdhsa_exception_int_div_zero 0
	.end_amdhsa_kernel
	.section	.text._ZN9rocsparseL19gebsrmvn_2xn_kernelILj128ELj4ELj16EdEEvi20rocsparse_direction_NS_24const_host_device_scalarIT2_EEPKiS6_PKS3_S8_S4_PS3_21rocsparse_index_base_b,"axG",@progbits,_ZN9rocsparseL19gebsrmvn_2xn_kernelILj128ELj4ELj16EdEEvi20rocsparse_direction_NS_24const_host_device_scalarIT2_EEPKiS6_PKS3_S8_S4_PS3_21rocsparse_index_base_b,comdat
.Lfunc_end88:
	.size	_ZN9rocsparseL19gebsrmvn_2xn_kernelILj128ELj4ELj16EdEEvi20rocsparse_direction_NS_24const_host_device_scalarIT2_EEPKiS6_PKS3_S8_S4_PS3_21rocsparse_index_base_b, .Lfunc_end88-_ZN9rocsparseL19gebsrmvn_2xn_kernelILj128ELj4ELj16EdEEvi20rocsparse_direction_NS_24const_host_device_scalarIT2_EEPKiS6_PKS3_S8_S4_PS3_21rocsparse_index_base_b
                                        ; -- End function
	.section	.AMDGPU.csdata,"",@progbits
; Kernel info:
; codeLenInByte = 1524
; NumSgprs: 18
; NumVgprs: 40
; ScratchSize: 0
; MemoryBound: 1
; FloatMode: 240
; IeeeMode: 1
; LDSByteSize: 0 bytes/workgroup (compile time only)
; SGPRBlocks: 2
; VGPRBlocks: 4
; NumSGPRsForWavesPerEU: 18
; NumVGPRsForWavesPerEU: 40
; Occupancy: 16
; WaveLimiterHint : 1
; COMPUTE_PGM_RSRC2:SCRATCH_EN: 0
; COMPUTE_PGM_RSRC2:USER_SGPR: 15
; COMPUTE_PGM_RSRC2:TRAP_HANDLER: 0
; COMPUTE_PGM_RSRC2:TGID_X_EN: 1
; COMPUTE_PGM_RSRC2:TGID_Y_EN: 0
; COMPUTE_PGM_RSRC2:TGID_Z_EN: 0
; COMPUTE_PGM_RSRC2:TIDIG_COMP_CNT: 0
	.section	.text._ZN9rocsparseL19gebsrmvn_2xn_kernelILj128ELj4ELj32EdEEvi20rocsparse_direction_NS_24const_host_device_scalarIT2_EEPKiS6_PKS3_S8_S4_PS3_21rocsparse_index_base_b,"axG",@progbits,_ZN9rocsparseL19gebsrmvn_2xn_kernelILj128ELj4ELj32EdEEvi20rocsparse_direction_NS_24const_host_device_scalarIT2_EEPKiS6_PKS3_S8_S4_PS3_21rocsparse_index_base_b,comdat
	.globl	_ZN9rocsparseL19gebsrmvn_2xn_kernelILj128ELj4ELj32EdEEvi20rocsparse_direction_NS_24const_host_device_scalarIT2_EEPKiS6_PKS3_S8_S4_PS3_21rocsparse_index_base_b ; -- Begin function _ZN9rocsparseL19gebsrmvn_2xn_kernelILj128ELj4ELj32EdEEvi20rocsparse_direction_NS_24const_host_device_scalarIT2_EEPKiS6_PKS3_S8_S4_PS3_21rocsparse_index_base_b
	.p2align	8
	.type	_ZN9rocsparseL19gebsrmvn_2xn_kernelILj128ELj4ELj32EdEEvi20rocsparse_direction_NS_24const_host_device_scalarIT2_EEPKiS6_PKS3_S8_S4_PS3_21rocsparse_index_base_b,@function
_ZN9rocsparseL19gebsrmvn_2xn_kernelILj128ELj4ELj32EdEEvi20rocsparse_direction_NS_24const_host_device_scalarIT2_EEPKiS6_PKS3_S8_S4_PS3_21rocsparse_index_base_b: ; @_ZN9rocsparseL19gebsrmvn_2xn_kernelILj128ELj4ELj32EdEEvi20rocsparse_direction_NS_24const_host_device_scalarIT2_EEPKiS6_PKS3_S8_S4_PS3_21rocsparse_index_base_b
; %bb.0:
	s_clause 0x2
	s_load_b64 s[12:13], s[0:1], 0x40
	s_load_b64 s[4:5], s[0:1], 0x8
	;; [unrolled: 1-line block ×3, first 2 shown]
	s_waitcnt lgkmcnt(0)
	s_bitcmp1_b32 s13, 0
	v_dual_mov_b32 v1, s4 :: v_dual_mov_b32 v2, s5
	s_cselect_b32 s6, -1, 0
	s_delay_alu instid0(SALU_CYCLE_1)
	s_and_b32 vcc_lo, exec_lo, s6
	s_xor_b32 s6, s6, -1
	s_cbranch_vccnz .LBB89_2
; %bb.1:
	v_dual_mov_b32 v1, s4 :: v_dual_mov_b32 v2, s5
	flat_load_b64 v[1:2], v[1:2]
.LBB89_2:
	v_dual_mov_b32 v4, s3 :: v_dual_mov_b32 v3, s2
	s_and_not1_b32 vcc_lo, exec_lo, s6
	s_cbranch_vccnz .LBB89_4
; %bb.3:
	v_dual_mov_b32 v4, s3 :: v_dual_mov_b32 v3, s2
	flat_load_b64 v[3:4], v[3:4]
.LBB89_4:
	s_waitcnt vmcnt(0) lgkmcnt(0)
	v_cmp_neq_f64_e32 vcc_lo, 0, v[1:2]
	v_cmp_neq_f64_e64 s2, 1.0, v[3:4]
	s_delay_alu instid0(VALU_DEP_1) | instskip(NEXT) | instid1(SALU_CYCLE_1)
	s_or_b32 s2, vcc_lo, s2
	s_and_saveexec_b32 s3, s2
	s_cbranch_execz .LBB89_23
; %bb.5:
	s_load_b64 s[2:3], s[0:1], 0x0
	v_lshrrev_b32_e32 v5, 5, v0
	s_delay_alu instid0(VALU_DEP_1) | instskip(SKIP_1) | instid1(VALU_DEP_1)
	v_lshl_or_b32 v5, s15, 2, v5
	s_waitcnt lgkmcnt(0)
	v_cmp_gt_i32_e32 vcc_lo, s2, v5
	s_and_b32 exec_lo, exec_lo, vcc_lo
	s_cbranch_execz .LBB89_23
; %bb.6:
	s_load_b256 s[4:11], s[0:1], 0x10
	v_ashrrev_i32_e32 v6, 31, v5
	v_and_b32_e32 v0, 31, v0
	s_cmp_lg_u32 s3, 0
	s_delay_alu instid0(VALU_DEP_2) | instskip(SKIP_1) | instid1(VALU_DEP_1)
	v_lshlrev_b64 v[6:7], 2, v[5:6]
	s_waitcnt lgkmcnt(0)
	v_add_co_u32 v6, vcc_lo, s4, v6
	s_delay_alu instid0(VALU_DEP_2) | instskip(SKIP_4) | instid1(VALU_DEP_2)
	v_add_co_ci_u32_e32 v7, vcc_lo, s5, v7, vcc_lo
	global_load_b64 v[6:7], v[6:7], off
	s_waitcnt vmcnt(0)
	v_subrev_nc_u32_e32 v6, s12, v6
	v_subrev_nc_u32_e32 v15, s12, v7
	v_add_nc_u32_e32 v10, v6, v0
	s_delay_alu instid0(VALU_DEP_1)
	v_cmp_lt_i32_e64 s2, v10, v15
	s_cbranch_scc0 .LBB89_12
; %bb.7:
	v_mov_b32_e32 v6, 0
	v_mov_b32_e32 v7, 0
	s_delay_alu instid0(VALU_DEP_1)
	v_dual_mov_b32 v9, v7 :: v_dual_mov_b32 v8, v6
	s_and_saveexec_b32 s3, s2
	s_cbranch_execz .LBB89_11
; %bb.8:
	v_dual_mov_b32 v6, 0 :: v_dual_lshlrev_b32 v11, 3, v10
	v_dual_mov_b32 v7, 0 :: v_dual_mov_b32 v12, 0
	v_mov_b32_e32 v13, v10
	s_mov_b32 s4, 0
	s_delay_alu instid0(VALU_DEP_2)
	v_dual_mov_b32 v9, v7 :: v_dual_mov_b32 v8, v6
.LBB89_9:                               ; =>This Inner Loop Header: Depth=1
	s_delay_alu instid0(VALU_DEP_2) | instskip(NEXT) | instid1(VALU_DEP_1)
	v_ashrrev_i32_e32 v14, 31, v13
	v_lshlrev_b64 v[16:17], 2, v[13:14]
	v_add_nc_u32_e32 v13, 32, v13
	s_delay_alu instid0(VALU_DEP_2) | instskip(NEXT) | instid1(VALU_DEP_3)
	v_add_co_u32 v16, vcc_lo, s6, v16
	v_add_co_ci_u32_e32 v17, vcc_lo, s7, v17, vcc_lo
	global_load_b32 v14, v[16:17], off
	v_lshlrev_b64 v[16:17], 3, v[11:12]
	v_add_nc_u32_e32 v11, 0x100, v11
	s_delay_alu instid0(VALU_DEP_2) | instskip(NEXT) | instid1(VALU_DEP_3)
	v_add_co_u32 v36, vcc_lo, s8, v16
	v_add_co_ci_u32_e32 v37, vcc_lo, s9, v17, vcc_lo
	s_waitcnt vmcnt(0)
	v_subrev_nc_u32_e32 v14, s12, v14
	s_delay_alu instid0(VALU_DEP_1) | instskip(NEXT) | instid1(VALU_DEP_1)
	v_dual_mov_b32 v19, v12 :: v_dual_lshlrev_b32 v18, 2, v14
	v_lshlrev_b64 v[18:19], 3, v[18:19]
	s_delay_alu instid0(VALU_DEP_1) | instskip(NEXT) | instid1(VALU_DEP_2)
	v_add_co_u32 v28, vcc_lo, s10, v18
	v_add_co_ci_u32_e32 v29, vcc_lo, s11, v19, vcc_lo
	v_cmp_ge_i32_e32 vcc_lo, v13, v15
	s_clause 0x1
	global_load_b128 v[16:19], v[36:37], off offset:16
	global_load_b128 v[20:23], v[36:37], off
	s_clause 0x1
	global_load_b128 v[24:27], v[28:29], off
	global_load_b128 v[28:31], v[28:29], off offset:16
	s_clause 0x1
	global_load_b128 v[32:35], v[36:37], off offset:32
	global_load_b128 v[36:39], v[36:37], off offset:48
	s_or_b32 s4, vcc_lo, s4
	s_waitcnt vmcnt(3)
	v_fma_f64 v[6:7], v[20:21], v[24:25], v[6:7]
	v_fma_f64 v[8:9], v[22:23], v[24:25], v[8:9]
	s_delay_alu instid0(VALU_DEP_2) | instskip(NEXT) | instid1(VALU_DEP_2)
	v_fma_f64 v[6:7], v[16:17], v[26:27], v[6:7]
	v_fma_f64 v[8:9], v[18:19], v[26:27], v[8:9]
	s_waitcnt vmcnt(1)
	s_delay_alu instid0(VALU_DEP_2) | instskip(NEXT) | instid1(VALU_DEP_2)
	v_fma_f64 v[6:7], v[32:33], v[28:29], v[6:7]
	v_fma_f64 v[8:9], v[34:35], v[28:29], v[8:9]
	s_waitcnt vmcnt(0)
	s_delay_alu instid0(VALU_DEP_2) | instskip(NEXT) | instid1(VALU_DEP_2)
	v_fma_f64 v[6:7], v[36:37], v[30:31], v[6:7]
	v_fma_f64 v[8:9], v[38:39], v[30:31], v[8:9]
	s_and_not1_b32 exec_lo, exec_lo, s4
	s_cbranch_execnz .LBB89_9
; %bb.10:
	s_or_b32 exec_lo, exec_lo, s4
.LBB89_11:
	s_delay_alu instid0(SALU_CYCLE_1)
	s_or_b32 exec_lo, exec_lo, s3
	s_cbranch_execz .LBB89_13
	s_branch .LBB89_18
.LBB89_12:
                                        ; implicit-def: $vgpr6_vgpr7
                                        ; implicit-def: $vgpr8_vgpr9
.LBB89_13:
	v_mov_b32_e32 v6, 0
	v_mov_b32_e32 v7, 0
	s_delay_alu instid0(VALU_DEP_1)
	v_dual_mov_b32 v9, v7 :: v_dual_mov_b32 v8, v6
	s_and_saveexec_b32 s3, s2
	s_cbranch_execz .LBB89_17
; %bb.14:
	v_dual_mov_b32 v6, 0 :: v_dual_mov_b32 v13, 0
	v_dual_mov_b32 v7, 0 :: v_dual_lshlrev_b32 v12, 3, v10
	s_mov_b32 s2, 0
	s_delay_alu instid0(VALU_DEP_1)
	v_dual_mov_b32 v9, v7 :: v_dual_mov_b32 v8, v6
.LBB89_15:                              ; =>This Inner Loop Header: Depth=1
	v_ashrrev_i32_e32 v11, 31, v10
	s_delay_alu instid0(VALU_DEP_1) | instskip(SKIP_1) | instid1(VALU_DEP_2)
	v_lshlrev_b64 v[16:17], 2, v[10:11]
	v_add_nc_u32_e32 v10, 32, v10
	v_add_co_u32 v16, vcc_lo, s6, v16
	s_delay_alu instid0(VALU_DEP_3) | instskip(SKIP_3) | instid1(VALU_DEP_2)
	v_add_co_ci_u32_e32 v17, vcc_lo, s7, v17, vcc_lo
	global_load_b32 v11, v[16:17], off
	v_lshlrev_b64 v[16:17], 3, v[12:13]
	v_add_nc_u32_e32 v12, 0x100, v12
	v_add_co_u32 v28, vcc_lo, s8, v16
	s_delay_alu instid0(VALU_DEP_3) | instskip(SKIP_2) | instid1(VALU_DEP_1)
	v_add_co_ci_u32_e32 v29, vcc_lo, s9, v17, vcc_lo
	s_waitcnt vmcnt(0)
	v_subrev_nc_u32_e32 v11, s12, v11
	v_dual_mov_b32 v19, v13 :: v_dual_lshlrev_b32 v18, 2, v11
	s_delay_alu instid0(VALU_DEP_1)
	v_lshlrev_b64 v[20:21], 3, v[18:19]
	global_load_b128 v[16:19], v[28:29], off offset:48
	v_add_co_u32 v36, vcc_lo, s10, v20
	v_add_co_ci_u32_e32 v37, vcc_lo, s11, v21, vcc_lo
	s_clause 0x2
	global_load_b128 v[20:23], v[28:29], off offset:32
	global_load_b128 v[24:27], v[28:29], off offset:16
	global_load_b128 v[28:31], v[28:29], off
	s_clause 0x1
	global_load_b128 v[32:35], v[36:37], off
	global_load_b128 v[36:39], v[36:37], off offset:16
	v_cmp_ge_i32_e32 vcc_lo, v10, v15
	s_or_b32 s2, vcc_lo, s2
	s_waitcnt vmcnt(1)
	v_fma_f64 v[6:7], v[28:29], v[32:33], v[6:7]
	v_fma_f64 v[8:9], v[20:21], v[32:33], v[8:9]
	s_delay_alu instid0(VALU_DEP_2) | instskip(NEXT) | instid1(VALU_DEP_2)
	v_fma_f64 v[6:7], v[30:31], v[34:35], v[6:7]
	v_fma_f64 v[8:9], v[22:23], v[34:35], v[8:9]
	s_waitcnt vmcnt(0)
	s_delay_alu instid0(VALU_DEP_2) | instskip(NEXT) | instid1(VALU_DEP_2)
	v_fma_f64 v[6:7], v[24:25], v[36:37], v[6:7]
	v_fma_f64 v[8:9], v[16:17], v[36:37], v[8:9]
	s_delay_alu instid0(VALU_DEP_2) | instskip(NEXT) | instid1(VALU_DEP_2)
	v_fma_f64 v[6:7], v[26:27], v[38:39], v[6:7]
	v_fma_f64 v[8:9], v[18:19], v[38:39], v[8:9]
	s_and_not1_b32 exec_lo, exec_lo, s2
	s_cbranch_execnz .LBB89_15
; %bb.16:
	s_or_b32 exec_lo, exec_lo, s2
.LBB89_17:
	s_delay_alu instid0(SALU_CYCLE_1)
	s_or_b32 exec_lo, exec_lo, s3
.LBB89_18:
	v_mbcnt_lo_u32_b32 v14, -1, 0
	s_delay_alu instid0(VALU_DEP_1) | instskip(NEXT) | instid1(VALU_DEP_1)
	v_xor_b32_e32 v10, 16, v14
	v_cmp_gt_i32_e32 vcc_lo, 32, v10
	v_cndmask_b32_e32 v10, v14, v10, vcc_lo
	s_delay_alu instid0(VALU_DEP_1)
	v_lshlrev_b32_e32 v13, 2, v10
	ds_bpermute_b32 v10, v13, v6
	ds_bpermute_b32 v11, v13, v7
	ds_bpermute_b32 v12, v13, v8
	ds_bpermute_b32 v13, v13, v9
	s_waitcnt lgkmcnt(2)
	v_add_f64 v[6:7], v[6:7], v[10:11]
	v_xor_b32_e32 v10, 8, v14
	s_waitcnt lgkmcnt(0)
	v_add_f64 v[8:9], v[8:9], v[12:13]
	s_delay_alu instid0(VALU_DEP_2) | instskip(SKIP_1) | instid1(VALU_DEP_1)
	v_cmp_gt_i32_e32 vcc_lo, 32, v10
	v_cndmask_b32_e32 v10, v14, v10, vcc_lo
	v_lshlrev_b32_e32 v13, 2, v10
	ds_bpermute_b32 v10, v13, v6
	ds_bpermute_b32 v11, v13, v7
	ds_bpermute_b32 v12, v13, v8
	ds_bpermute_b32 v13, v13, v9
	s_waitcnt lgkmcnt(2)
	v_add_f64 v[6:7], v[6:7], v[10:11]
	v_xor_b32_e32 v10, 4, v14
	s_waitcnt lgkmcnt(0)
	v_add_f64 v[8:9], v[8:9], v[12:13]
	s_delay_alu instid0(VALU_DEP_2) | instskip(SKIP_1) | instid1(VALU_DEP_1)
	v_cmp_gt_i32_e32 vcc_lo, 32, v10
	v_cndmask_b32_e32 v10, v14, v10, vcc_lo
	;; [unrolled: 13-line block ×3, first 2 shown]
	v_lshlrev_b32_e32 v13, 2, v10
	ds_bpermute_b32 v10, v13, v6
	ds_bpermute_b32 v11, v13, v7
	;; [unrolled: 1-line block ×4, first 2 shown]
	s_waitcnt lgkmcnt(2)
	v_add_f64 v[6:7], v[6:7], v[10:11]
	s_waitcnt lgkmcnt(0)
	v_add_f64 v[10:11], v[8:9], v[12:13]
	v_xor_b32_e32 v8, 1, v14
	s_delay_alu instid0(VALU_DEP_1) | instskip(SKIP_2) | instid1(VALU_DEP_2)
	v_cmp_gt_i32_e32 vcc_lo, 32, v8
	v_cndmask_b32_e32 v8, v14, v8, vcc_lo
	v_cmp_eq_u32_e32 vcc_lo, 31, v0
	v_lshlrev_b32_e32 v13, 2, v8
	ds_bpermute_b32 v8, v13, v6
	ds_bpermute_b32 v9, v13, v7
	;; [unrolled: 1-line block ×4, first 2 shown]
	s_and_b32 exec_lo, exec_lo, vcc_lo
	s_cbranch_execz .LBB89_23
; %bb.19:
	s_waitcnt lgkmcnt(2)
	v_add_f64 v[8:9], v[6:7], v[8:9]
	s_waitcnt lgkmcnt(0)
	v_add_f64 v[6:7], v[10:11], v[12:13]
	s_load_b64 s[0:1], s[0:1], 0x38
	s_mov_b32 s2, exec_lo
	v_cmpx_eq_f64_e32 0, v[3:4]
	s_xor_b32 s2, exec_lo, s2
	s_cbranch_execz .LBB89_21
; %bb.20:
	s_delay_alu instid0(VALU_DEP_3) | instskip(NEXT) | instid1(VALU_DEP_3)
	v_mul_f64 v[8:9], v[1:2], v[8:9]
	v_mul_f64 v[10:11], v[1:2], v[6:7]
	v_lshlrev_b32_e32 v0, 1, v5
                                        ; implicit-def: $vgpr5
                                        ; implicit-def: $vgpr3_vgpr4
                                        ; implicit-def: $vgpr6_vgpr7
	s_delay_alu instid0(VALU_DEP_1) | instskip(NEXT) | instid1(VALU_DEP_1)
	v_ashrrev_i32_e32 v1, 31, v0
	v_lshlrev_b64 v[0:1], 3, v[0:1]
	s_waitcnt lgkmcnt(0)
	s_delay_alu instid0(VALU_DEP_1) | instskip(NEXT) | instid1(VALU_DEP_2)
	v_add_co_u32 v0, vcc_lo, s0, v0
	v_add_co_ci_u32_e32 v1, vcc_lo, s1, v1, vcc_lo
	global_store_b128 v[0:1], v[8:11], off
                                        ; implicit-def: $vgpr1_vgpr2
                                        ; implicit-def: $vgpr8_vgpr9
.LBB89_21:
	s_and_not1_saveexec_b32 s2, s2
	s_cbranch_execz .LBB89_23
; %bb.22:
	v_lshlrev_b32_e32 v10, 1, v5
	s_delay_alu instid0(VALU_DEP_4) | instskip(NEXT) | instid1(VALU_DEP_4)
	v_mul_f64 v[8:9], v[1:2], v[8:9]
	v_mul_f64 v[5:6], v[1:2], v[6:7]
	s_delay_alu instid0(VALU_DEP_3) | instskip(NEXT) | instid1(VALU_DEP_1)
	v_ashrrev_i32_e32 v11, 31, v10
	v_lshlrev_b64 v[10:11], 3, v[10:11]
	s_waitcnt lgkmcnt(0)
	s_delay_alu instid0(VALU_DEP_1) | instskip(NEXT) | instid1(VALU_DEP_2)
	v_add_co_u32 v14, vcc_lo, s0, v10
	v_add_co_ci_u32_e32 v15, vcc_lo, s1, v11, vcc_lo
	global_load_b128 v[10:13], v[14:15], off
	s_waitcnt vmcnt(0)
	v_fma_f64 v[0:1], v[3:4], v[10:11], v[8:9]
	v_fma_f64 v[2:3], v[3:4], v[12:13], v[5:6]
	global_store_b128 v[14:15], v[0:3], off
.LBB89_23:
	s_nop 0
	s_sendmsg sendmsg(MSG_DEALLOC_VGPRS)
	s_endpgm
	.section	.rodata,"a",@progbits
	.p2align	6, 0x0
	.amdhsa_kernel _ZN9rocsparseL19gebsrmvn_2xn_kernelILj128ELj4ELj32EdEEvi20rocsparse_direction_NS_24const_host_device_scalarIT2_EEPKiS6_PKS3_S8_S4_PS3_21rocsparse_index_base_b
		.amdhsa_group_segment_fixed_size 0
		.amdhsa_private_segment_fixed_size 0
		.amdhsa_kernarg_size 72
		.amdhsa_user_sgpr_count 15
		.amdhsa_user_sgpr_dispatch_ptr 0
		.amdhsa_user_sgpr_queue_ptr 0
		.amdhsa_user_sgpr_kernarg_segment_ptr 1
		.amdhsa_user_sgpr_dispatch_id 0
		.amdhsa_user_sgpr_private_segment_size 0
		.amdhsa_wavefront_size32 1
		.amdhsa_uses_dynamic_stack 0
		.amdhsa_enable_private_segment 0
		.amdhsa_system_sgpr_workgroup_id_x 1
		.amdhsa_system_sgpr_workgroup_id_y 0
		.amdhsa_system_sgpr_workgroup_id_z 0
		.amdhsa_system_sgpr_workgroup_info 0
		.amdhsa_system_vgpr_workitem_id 0
		.amdhsa_next_free_vgpr 40
		.amdhsa_next_free_sgpr 16
		.amdhsa_reserve_vcc 1
		.amdhsa_float_round_mode_32 0
		.amdhsa_float_round_mode_16_64 0
		.amdhsa_float_denorm_mode_32 3
		.amdhsa_float_denorm_mode_16_64 3
		.amdhsa_dx10_clamp 1
		.amdhsa_ieee_mode 1
		.amdhsa_fp16_overflow 0
		.amdhsa_workgroup_processor_mode 1
		.amdhsa_memory_ordered 1
		.amdhsa_forward_progress 0
		.amdhsa_shared_vgpr_count 0
		.amdhsa_exception_fp_ieee_invalid_op 0
		.amdhsa_exception_fp_denorm_src 0
		.amdhsa_exception_fp_ieee_div_zero 0
		.amdhsa_exception_fp_ieee_overflow 0
		.amdhsa_exception_fp_ieee_underflow 0
		.amdhsa_exception_fp_ieee_inexact 0
		.amdhsa_exception_int_div_zero 0
	.end_amdhsa_kernel
	.section	.text._ZN9rocsparseL19gebsrmvn_2xn_kernelILj128ELj4ELj32EdEEvi20rocsparse_direction_NS_24const_host_device_scalarIT2_EEPKiS6_PKS3_S8_S4_PS3_21rocsparse_index_base_b,"axG",@progbits,_ZN9rocsparseL19gebsrmvn_2xn_kernelILj128ELj4ELj32EdEEvi20rocsparse_direction_NS_24const_host_device_scalarIT2_EEPKiS6_PKS3_S8_S4_PS3_21rocsparse_index_base_b,comdat
.Lfunc_end89:
	.size	_ZN9rocsparseL19gebsrmvn_2xn_kernelILj128ELj4ELj32EdEEvi20rocsparse_direction_NS_24const_host_device_scalarIT2_EEPKiS6_PKS3_S8_S4_PS3_21rocsparse_index_base_b, .Lfunc_end89-_ZN9rocsparseL19gebsrmvn_2xn_kernelILj128ELj4ELj32EdEEvi20rocsparse_direction_NS_24const_host_device_scalarIT2_EEPKiS6_PKS3_S8_S4_PS3_21rocsparse_index_base_b
                                        ; -- End function
	.section	.AMDGPU.csdata,"",@progbits
; Kernel info:
; codeLenInByte = 1600
; NumSgprs: 18
; NumVgprs: 40
; ScratchSize: 0
; MemoryBound: 1
; FloatMode: 240
; IeeeMode: 1
; LDSByteSize: 0 bytes/workgroup (compile time only)
; SGPRBlocks: 2
; VGPRBlocks: 4
; NumSGPRsForWavesPerEU: 18
; NumVGPRsForWavesPerEU: 40
; Occupancy: 16
; WaveLimiterHint : 1
; COMPUTE_PGM_RSRC2:SCRATCH_EN: 0
; COMPUTE_PGM_RSRC2:USER_SGPR: 15
; COMPUTE_PGM_RSRC2:TRAP_HANDLER: 0
; COMPUTE_PGM_RSRC2:TGID_X_EN: 1
; COMPUTE_PGM_RSRC2:TGID_Y_EN: 0
; COMPUTE_PGM_RSRC2:TGID_Z_EN: 0
; COMPUTE_PGM_RSRC2:TIDIG_COMP_CNT: 0
	.section	.text._ZN9rocsparseL19gebsrmvn_2xn_kernelILj128ELj4ELj64EdEEvi20rocsparse_direction_NS_24const_host_device_scalarIT2_EEPKiS6_PKS3_S8_S4_PS3_21rocsparse_index_base_b,"axG",@progbits,_ZN9rocsparseL19gebsrmvn_2xn_kernelILj128ELj4ELj64EdEEvi20rocsparse_direction_NS_24const_host_device_scalarIT2_EEPKiS6_PKS3_S8_S4_PS3_21rocsparse_index_base_b,comdat
	.globl	_ZN9rocsparseL19gebsrmvn_2xn_kernelILj128ELj4ELj64EdEEvi20rocsparse_direction_NS_24const_host_device_scalarIT2_EEPKiS6_PKS3_S8_S4_PS3_21rocsparse_index_base_b ; -- Begin function _ZN9rocsparseL19gebsrmvn_2xn_kernelILj128ELj4ELj64EdEEvi20rocsparse_direction_NS_24const_host_device_scalarIT2_EEPKiS6_PKS3_S8_S4_PS3_21rocsparse_index_base_b
	.p2align	8
	.type	_ZN9rocsparseL19gebsrmvn_2xn_kernelILj128ELj4ELj64EdEEvi20rocsparse_direction_NS_24const_host_device_scalarIT2_EEPKiS6_PKS3_S8_S4_PS3_21rocsparse_index_base_b,@function
_ZN9rocsparseL19gebsrmvn_2xn_kernelILj128ELj4ELj64EdEEvi20rocsparse_direction_NS_24const_host_device_scalarIT2_EEPKiS6_PKS3_S8_S4_PS3_21rocsparse_index_base_b: ; @_ZN9rocsparseL19gebsrmvn_2xn_kernelILj128ELj4ELj64EdEEvi20rocsparse_direction_NS_24const_host_device_scalarIT2_EEPKiS6_PKS3_S8_S4_PS3_21rocsparse_index_base_b
; %bb.0:
	s_clause 0x2
	s_load_b64 s[12:13], s[0:1], 0x40
	s_load_b64 s[4:5], s[0:1], 0x8
	;; [unrolled: 1-line block ×3, first 2 shown]
	s_waitcnt lgkmcnt(0)
	s_bitcmp1_b32 s13, 0
	v_dual_mov_b32 v1, s4 :: v_dual_mov_b32 v2, s5
	s_cselect_b32 s6, -1, 0
	s_delay_alu instid0(SALU_CYCLE_1)
	s_and_b32 vcc_lo, exec_lo, s6
	s_xor_b32 s6, s6, -1
	s_cbranch_vccnz .LBB90_2
; %bb.1:
	v_dual_mov_b32 v1, s4 :: v_dual_mov_b32 v2, s5
	flat_load_b64 v[1:2], v[1:2]
.LBB90_2:
	v_dual_mov_b32 v4, s3 :: v_dual_mov_b32 v3, s2
	s_and_not1_b32 vcc_lo, exec_lo, s6
	s_cbranch_vccnz .LBB90_4
; %bb.3:
	v_dual_mov_b32 v4, s3 :: v_dual_mov_b32 v3, s2
	flat_load_b64 v[3:4], v[3:4]
.LBB90_4:
	s_waitcnt vmcnt(0) lgkmcnt(0)
	v_cmp_neq_f64_e32 vcc_lo, 0, v[1:2]
	v_cmp_neq_f64_e64 s2, 1.0, v[3:4]
	s_delay_alu instid0(VALU_DEP_1) | instskip(NEXT) | instid1(SALU_CYCLE_1)
	s_or_b32 s2, vcc_lo, s2
	s_and_saveexec_b32 s3, s2
	s_cbranch_execz .LBB90_23
; %bb.5:
	s_load_b64 s[2:3], s[0:1], 0x0
	v_lshrrev_b32_e32 v5, 6, v0
	s_delay_alu instid0(VALU_DEP_1) | instskip(SKIP_1) | instid1(VALU_DEP_1)
	v_lshl_or_b32 v5, s15, 1, v5
	s_waitcnt lgkmcnt(0)
	v_cmp_gt_i32_e32 vcc_lo, s2, v5
	s_and_b32 exec_lo, exec_lo, vcc_lo
	s_cbranch_execz .LBB90_23
; %bb.6:
	s_load_b256 s[4:11], s[0:1], 0x10
	v_ashrrev_i32_e32 v6, 31, v5
	v_and_b32_e32 v0, 63, v0
	s_cmp_lg_u32 s3, 0
	s_delay_alu instid0(VALU_DEP_2) | instskip(SKIP_1) | instid1(VALU_DEP_1)
	v_lshlrev_b64 v[6:7], 2, v[5:6]
	s_waitcnt lgkmcnt(0)
	v_add_co_u32 v6, vcc_lo, s4, v6
	s_delay_alu instid0(VALU_DEP_2) | instskip(SKIP_4) | instid1(VALU_DEP_2)
	v_add_co_ci_u32_e32 v7, vcc_lo, s5, v7, vcc_lo
	global_load_b64 v[6:7], v[6:7], off
	s_waitcnt vmcnt(0)
	v_subrev_nc_u32_e32 v6, s12, v6
	v_subrev_nc_u32_e32 v15, s12, v7
	v_add_nc_u32_e32 v10, v6, v0
	s_delay_alu instid0(VALU_DEP_1)
	v_cmp_lt_i32_e64 s2, v10, v15
	s_cbranch_scc0 .LBB90_12
; %bb.7:
	v_mov_b32_e32 v6, 0
	v_mov_b32_e32 v7, 0
	s_delay_alu instid0(VALU_DEP_1)
	v_dual_mov_b32 v9, v7 :: v_dual_mov_b32 v8, v6
	s_and_saveexec_b32 s3, s2
	s_cbranch_execz .LBB90_11
; %bb.8:
	v_dual_mov_b32 v6, 0 :: v_dual_lshlrev_b32 v11, 3, v10
	v_dual_mov_b32 v7, 0 :: v_dual_mov_b32 v12, 0
	v_mov_b32_e32 v13, v10
	s_mov_b32 s4, 0
	s_delay_alu instid0(VALU_DEP_2)
	v_dual_mov_b32 v9, v7 :: v_dual_mov_b32 v8, v6
.LBB90_9:                               ; =>This Inner Loop Header: Depth=1
	s_delay_alu instid0(VALU_DEP_2) | instskip(NEXT) | instid1(VALU_DEP_1)
	v_ashrrev_i32_e32 v14, 31, v13
	v_lshlrev_b64 v[16:17], 2, v[13:14]
	v_add_nc_u32_e32 v13, 64, v13
	s_delay_alu instid0(VALU_DEP_2) | instskip(NEXT) | instid1(VALU_DEP_3)
	v_add_co_u32 v16, vcc_lo, s6, v16
	v_add_co_ci_u32_e32 v17, vcc_lo, s7, v17, vcc_lo
	global_load_b32 v14, v[16:17], off
	v_lshlrev_b64 v[16:17], 3, v[11:12]
	v_add_nc_u32_e32 v11, 0x200, v11
	s_delay_alu instid0(VALU_DEP_2) | instskip(NEXT) | instid1(VALU_DEP_3)
	v_add_co_u32 v36, vcc_lo, s8, v16
	v_add_co_ci_u32_e32 v37, vcc_lo, s9, v17, vcc_lo
	s_waitcnt vmcnt(0)
	v_subrev_nc_u32_e32 v14, s12, v14
	s_delay_alu instid0(VALU_DEP_1) | instskip(NEXT) | instid1(VALU_DEP_1)
	v_dual_mov_b32 v19, v12 :: v_dual_lshlrev_b32 v18, 2, v14
	v_lshlrev_b64 v[18:19], 3, v[18:19]
	s_delay_alu instid0(VALU_DEP_1) | instskip(NEXT) | instid1(VALU_DEP_2)
	v_add_co_u32 v28, vcc_lo, s10, v18
	v_add_co_ci_u32_e32 v29, vcc_lo, s11, v19, vcc_lo
	v_cmp_ge_i32_e32 vcc_lo, v13, v15
	s_clause 0x1
	global_load_b128 v[16:19], v[36:37], off offset:16
	global_load_b128 v[20:23], v[36:37], off
	s_clause 0x1
	global_load_b128 v[24:27], v[28:29], off
	global_load_b128 v[28:31], v[28:29], off offset:16
	s_clause 0x1
	global_load_b128 v[32:35], v[36:37], off offset:32
	global_load_b128 v[36:39], v[36:37], off offset:48
	s_or_b32 s4, vcc_lo, s4
	s_waitcnt vmcnt(3)
	v_fma_f64 v[6:7], v[20:21], v[24:25], v[6:7]
	v_fma_f64 v[8:9], v[22:23], v[24:25], v[8:9]
	s_delay_alu instid0(VALU_DEP_2) | instskip(NEXT) | instid1(VALU_DEP_2)
	v_fma_f64 v[6:7], v[16:17], v[26:27], v[6:7]
	v_fma_f64 v[8:9], v[18:19], v[26:27], v[8:9]
	s_waitcnt vmcnt(1)
	s_delay_alu instid0(VALU_DEP_2) | instskip(NEXT) | instid1(VALU_DEP_2)
	v_fma_f64 v[6:7], v[32:33], v[28:29], v[6:7]
	v_fma_f64 v[8:9], v[34:35], v[28:29], v[8:9]
	s_waitcnt vmcnt(0)
	s_delay_alu instid0(VALU_DEP_2) | instskip(NEXT) | instid1(VALU_DEP_2)
	v_fma_f64 v[6:7], v[36:37], v[30:31], v[6:7]
	v_fma_f64 v[8:9], v[38:39], v[30:31], v[8:9]
	s_and_not1_b32 exec_lo, exec_lo, s4
	s_cbranch_execnz .LBB90_9
; %bb.10:
	s_or_b32 exec_lo, exec_lo, s4
.LBB90_11:
	s_delay_alu instid0(SALU_CYCLE_1)
	s_or_b32 exec_lo, exec_lo, s3
	s_cbranch_execz .LBB90_13
	s_branch .LBB90_18
.LBB90_12:
                                        ; implicit-def: $vgpr6_vgpr7
                                        ; implicit-def: $vgpr8_vgpr9
.LBB90_13:
	v_mov_b32_e32 v6, 0
	v_mov_b32_e32 v7, 0
	s_delay_alu instid0(VALU_DEP_1)
	v_dual_mov_b32 v9, v7 :: v_dual_mov_b32 v8, v6
	s_and_saveexec_b32 s3, s2
	s_cbranch_execz .LBB90_17
; %bb.14:
	v_dual_mov_b32 v6, 0 :: v_dual_mov_b32 v13, 0
	v_dual_mov_b32 v7, 0 :: v_dual_lshlrev_b32 v12, 3, v10
	s_mov_b32 s2, 0
	s_delay_alu instid0(VALU_DEP_1)
	v_dual_mov_b32 v9, v7 :: v_dual_mov_b32 v8, v6
.LBB90_15:                              ; =>This Inner Loop Header: Depth=1
	v_ashrrev_i32_e32 v11, 31, v10
	s_delay_alu instid0(VALU_DEP_1) | instskip(SKIP_1) | instid1(VALU_DEP_2)
	v_lshlrev_b64 v[16:17], 2, v[10:11]
	v_add_nc_u32_e32 v10, 64, v10
	v_add_co_u32 v16, vcc_lo, s6, v16
	s_delay_alu instid0(VALU_DEP_3) | instskip(SKIP_3) | instid1(VALU_DEP_2)
	v_add_co_ci_u32_e32 v17, vcc_lo, s7, v17, vcc_lo
	global_load_b32 v11, v[16:17], off
	v_lshlrev_b64 v[16:17], 3, v[12:13]
	v_add_nc_u32_e32 v12, 0x200, v12
	v_add_co_u32 v28, vcc_lo, s8, v16
	s_delay_alu instid0(VALU_DEP_3) | instskip(SKIP_2) | instid1(VALU_DEP_1)
	v_add_co_ci_u32_e32 v29, vcc_lo, s9, v17, vcc_lo
	s_waitcnt vmcnt(0)
	v_subrev_nc_u32_e32 v11, s12, v11
	v_dual_mov_b32 v19, v13 :: v_dual_lshlrev_b32 v18, 2, v11
	s_delay_alu instid0(VALU_DEP_1)
	v_lshlrev_b64 v[20:21], 3, v[18:19]
	global_load_b128 v[16:19], v[28:29], off offset:48
	v_add_co_u32 v36, vcc_lo, s10, v20
	v_add_co_ci_u32_e32 v37, vcc_lo, s11, v21, vcc_lo
	s_clause 0x2
	global_load_b128 v[20:23], v[28:29], off offset:32
	global_load_b128 v[24:27], v[28:29], off offset:16
	global_load_b128 v[28:31], v[28:29], off
	s_clause 0x1
	global_load_b128 v[32:35], v[36:37], off
	global_load_b128 v[36:39], v[36:37], off offset:16
	v_cmp_ge_i32_e32 vcc_lo, v10, v15
	s_or_b32 s2, vcc_lo, s2
	s_waitcnt vmcnt(1)
	v_fma_f64 v[6:7], v[28:29], v[32:33], v[6:7]
	v_fma_f64 v[8:9], v[20:21], v[32:33], v[8:9]
	s_delay_alu instid0(VALU_DEP_2) | instskip(NEXT) | instid1(VALU_DEP_2)
	v_fma_f64 v[6:7], v[30:31], v[34:35], v[6:7]
	v_fma_f64 v[8:9], v[22:23], v[34:35], v[8:9]
	s_waitcnt vmcnt(0)
	s_delay_alu instid0(VALU_DEP_2) | instskip(NEXT) | instid1(VALU_DEP_2)
	v_fma_f64 v[6:7], v[24:25], v[36:37], v[6:7]
	v_fma_f64 v[8:9], v[16:17], v[36:37], v[8:9]
	s_delay_alu instid0(VALU_DEP_2) | instskip(NEXT) | instid1(VALU_DEP_2)
	v_fma_f64 v[6:7], v[26:27], v[38:39], v[6:7]
	v_fma_f64 v[8:9], v[18:19], v[38:39], v[8:9]
	s_and_not1_b32 exec_lo, exec_lo, s2
	s_cbranch_execnz .LBB90_15
; %bb.16:
	s_or_b32 exec_lo, exec_lo, s2
.LBB90_17:
	s_delay_alu instid0(SALU_CYCLE_1)
	s_or_b32 exec_lo, exec_lo, s3
.LBB90_18:
	v_mbcnt_lo_u32_b32 v14, -1, 0
	s_delay_alu instid0(VALU_DEP_1) | instskip(NEXT) | instid1(VALU_DEP_1)
	v_or_b32_e32 v10, 32, v14
	v_cmp_gt_i32_e32 vcc_lo, 32, v10
	v_cndmask_b32_e32 v10, v14, v10, vcc_lo
	s_delay_alu instid0(VALU_DEP_1)
	v_lshlrev_b32_e32 v13, 2, v10
	ds_bpermute_b32 v10, v13, v6
	ds_bpermute_b32 v11, v13, v7
	ds_bpermute_b32 v12, v13, v8
	ds_bpermute_b32 v13, v13, v9
	s_waitcnt lgkmcnt(2)
	v_add_f64 v[6:7], v[6:7], v[10:11]
	v_xor_b32_e32 v10, 16, v14
	s_waitcnt lgkmcnt(0)
	v_add_f64 v[8:9], v[8:9], v[12:13]
	s_delay_alu instid0(VALU_DEP_2) | instskip(SKIP_1) | instid1(VALU_DEP_1)
	v_cmp_gt_i32_e32 vcc_lo, 32, v10
	v_cndmask_b32_e32 v10, v14, v10, vcc_lo
	v_lshlrev_b32_e32 v13, 2, v10
	ds_bpermute_b32 v10, v13, v6
	ds_bpermute_b32 v11, v13, v7
	ds_bpermute_b32 v12, v13, v8
	ds_bpermute_b32 v13, v13, v9
	s_waitcnt lgkmcnt(2)
	v_add_f64 v[6:7], v[6:7], v[10:11]
	v_xor_b32_e32 v10, 8, v14
	s_waitcnt lgkmcnt(0)
	v_add_f64 v[8:9], v[8:9], v[12:13]
	s_delay_alu instid0(VALU_DEP_2) | instskip(SKIP_1) | instid1(VALU_DEP_1)
	v_cmp_gt_i32_e32 vcc_lo, 32, v10
	v_cndmask_b32_e32 v10, v14, v10, vcc_lo
	;; [unrolled: 13-line block ×4, first 2 shown]
	v_lshlrev_b32_e32 v13, 2, v10
	ds_bpermute_b32 v10, v13, v6
	ds_bpermute_b32 v11, v13, v7
	;; [unrolled: 1-line block ×4, first 2 shown]
	s_waitcnt lgkmcnt(2)
	v_add_f64 v[6:7], v[6:7], v[10:11]
	s_waitcnt lgkmcnt(0)
	v_add_f64 v[10:11], v[8:9], v[12:13]
	v_xor_b32_e32 v8, 1, v14
	s_delay_alu instid0(VALU_DEP_1) | instskip(SKIP_2) | instid1(VALU_DEP_2)
	v_cmp_gt_i32_e32 vcc_lo, 32, v8
	v_cndmask_b32_e32 v8, v14, v8, vcc_lo
	v_cmp_eq_u32_e32 vcc_lo, 63, v0
	v_lshlrev_b32_e32 v13, 2, v8
	ds_bpermute_b32 v8, v13, v6
	ds_bpermute_b32 v9, v13, v7
	ds_bpermute_b32 v12, v13, v10
	ds_bpermute_b32 v13, v13, v11
	s_and_b32 exec_lo, exec_lo, vcc_lo
	s_cbranch_execz .LBB90_23
; %bb.19:
	s_waitcnt lgkmcnt(2)
	v_add_f64 v[8:9], v[6:7], v[8:9]
	s_waitcnt lgkmcnt(0)
	v_add_f64 v[6:7], v[10:11], v[12:13]
	s_load_b64 s[0:1], s[0:1], 0x38
	s_mov_b32 s2, exec_lo
	v_cmpx_eq_f64_e32 0, v[3:4]
	s_xor_b32 s2, exec_lo, s2
	s_cbranch_execz .LBB90_21
; %bb.20:
	s_delay_alu instid0(VALU_DEP_3) | instskip(NEXT) | instid1(VALU_DEP_3)
	v_mul_f64 v[8:9], v[1:2], v[8:9]
	v_mul_f64 v[10:11], v[1:2], v[6:7]
	v_lshlrev_b32_e32 v0, 1, v5
                                        ; implicit-def: $vgpr5
                                        ; implicit-def: $vgpr3_vgpr4
                                        ; implicit-def: $vgpr6_vgpr7
	s_delay_alu instid0(VALU_DEP_1) | instskip(NEXT) | instid1(VALU_DEP_1)
	v_ashrrev_i32_e32 v1, 31, v0
	v_lshlrev_b64 v[0:1], 3, v[0:1]
	s_waitcnt lgkmcnt(0)
	s_delay_alu instid0(VALU_DEP_1) | instskip(NEXT) | instid1(VALU_DEP_2)
	v_add_co_u32 v0, vcc_lo, s0, v0
	v_add_co_ci_u32_e32 v1, vcc_lo, s1, v1, vcc_lo
	global_store_b128 v[0:1], v[8:11], off
                                        ; implicit-def: $vgpr1_vgpr2
                                        ; implicit-def: $vgpr8_vgpr9
.LBB90_21:
	s_and_not1_saveexec_b32 s2, s2
	s_cbranch_execz .LBB90_23
; %bb.22:
	v_lshlrev_b32_e32 v10, 1, v5
	s_delay_alu instid0(VALU_DEP_4) | instskip(NEXT) | instid1(VALU_DEP_4)
	v_mul_f64 v[8:9], v[1:2], v[8:9]
	v_mul_f64 v[5:6], v[1:2], v[6:7]
	s_delay_alu instid0(VALU_DEP_3) | instskip(NEXT) | instid1(VALU_DEP_1)
	v_ashrrev_i32_e32 v11, 31, v10
	v_lshlrev_b64 v[10:11], 3, v[10:11]
	s_waitcnt lgkmcnt(0)
	s_delay_alu instid0(VALU_DEP_1) | instskip(NEXT) | instid1(VALU_DEP_2)
	v_add_co_u32 v14, vcc_lo, s0, v10
	v_add_co_ci_u32_e32 v15, vcc_lo, s1, v11, vcc_lo
	global_load_b128 v[10:13], v[14:15], off
	s_waitcnt vmcnt(0)
	v_fma_f64 v[0:1], v[3:4], v[10:11], v[8:9]
	v_fma_f64 v[2:3], v[3:4], v[12:13], v[5:6]
	global_store_b128 v[14:15], v[0:3], off
.LBB90_23:
	s_nop 0
	s_sendmsg sendmsg(MSG_DEALLOC_VGPRS)
	s_endpgm
	.section	.rodata,"a",@progbits
	.p2align	6, 0x0
	.amdhsa_kernel _ZN9rocsparseL19gebsrmvn_2xn_kernelILj128ELj4ELj64EdEEvi20rocsparse_direction_NS_24const_host_device_scalarIT2_EEPKiS6_PKS3_S8_S4_PS3_21rocsparse_index_base_b
		.amdhsa_group_segment_fixed_size 0
		.amdhsa_private_segment_fixed_size 0
		.amdhsa_kernarg_size 72
		.amdhsa_user_sgpr_count 15
		.amdhsa_user_sgpr_dispatch_ptr 0
		.amdhsa_user_sgpr_queue_ptr 0
		.amdhsa_user_sgpr_kernarg_segment_ptr 1
		.amdhsa_user_sgpr_dispatch_id 0
		.amdhsa_user_sgpr_private_segment_size 0
		.amdhsa_wavefront_size32 1
		.amdhsa_uses_dynamic_stack 0
		.amdhsa_enable_private_segment 0
		.amdhsa_system_sgpr_workgroup_id_x 1
		.amdhsa_system_sgpr_workgroup_id_y 0
		.amdhsa_system_sgpr_workgroup_id_z 0
		.amdhsa_system_sgpr_workgroup_info 0
		.amdhsa_system_vgpr_workitem_id 0
		.amdhsa_next_free_vgpr 40
		.amdhsa_next_free_sgpr 16
		.amdhsa_reserve_vcc 1
		.amdhsa_float_round_mode_32 0
		.amdhsa_float_round_mode_16_64 0
		.amdhsa_float_denorm_mode_32 3
		.amdhsa_float_denorm_mode_16_64 3
		.amdhsa_dx10_clamp 1
		.amdhsa_ieee_mode 1
		.amdhsa_fp16_overflow 0
		.amdhsa_workgroup_processor_mode 1
		.amdhsa_memory_ordered 1
		.amdhsa_forward_progress 0
		.amdhsa_shared_vgpr_count 0
		.amdhsa_exception_fp_ieee_invalid_op 0
		.amdhsa_exception_fp_denorm_src 0
		.amdhsa_exception_fp_ieee_div_zero 0
		.amdhsa_exception_fp_ieee_overflow 0
		.amdhsa_exception_fp_ieee_underflow 0
		.amdhsa_exception_fp_ieee_inexact 0
		.amdhsa_exception_int_div_zero 0
	.end_amdhsa_kernel
	.section	.text._ZN9rocsparseL19gebsrmvn_2xn_kernelILj128ELj4ELj64EdEEvi20rocsparse_direction_NS_24const_host_device_scalarIT2_EEPKiS6_PKS3_S8_S4_PS3_21rocsparse_index_base_b,"axG",@progbits,_ZN9rocsparseL19gebsrmvn_2xn_kernelILj128ELj4ELj64EdEEvi20rocsparse_direction_NS_24const_host_device_scalarIT2_EEPKiS6_PKS3_S8_S4_PS3_21rocsparse_index_base_b,comdat
.Lfunc_end90:
	.size	_ZN9rocsparseL19gebsrmvn_2xn_kernelILj128ELj4ELj64EdEEvi20rocsparse_direction_NS_24const_host_device_scalarIT2_EEPKiS6_PKS3_S8_S4_PS3_21rocsparse_index_base_b, .Lfunc_end90-_ZN9rocsparseL19gebsrmvn_2xn_kernelILj128ELj4ELj64EdEEvi20rocsparse_direction_NS_24const_host_device_scalarIT2_EEPKiS6_PKS3_S8_S4_PS3_21rocsparse_index_base_b
                                        ; -- End function
	.section	.AMDGPU.csdata,"",@progbits
; Kernel info:
; codeLenInByte = 1676
; NumSgprs: 18
; NumVgprs: 40
; ScratchSize: 0
; MemoryBound: 1
; FloatMode: 240
; IeeeMode: 1
; LDSByteSize: 0 bytes/workgroup (compile time only)
; SGPRBlocks: 2
; VGPRBlocks: 4
; NumSGPRsForWavesPerEU: 18
; NumVGPRsForWavesPerEU: 40
; Occupancy: 16
; WaveLimiterHint : 1
; COMPUTE_PGM_RSRC2:SCRATCH_EN: 0
; COMPUTE_PGM_RSRC2:USER_SGPR: 15
; COMPUTE_PGM_RSRC2:TRAP_HANDLER: 0
; COMPUTE_PGM_RSRC2:TGID_X_EN: 1
; COMPUTE_PGM_RSRC2:TGID_Y_EN: 0
; COMPUTE_PGM_RSRC2:TGID_Z_EN: 0
; COMPUTE_PGM_RSRC2:TIDIG_COMP_CNT: 0
	.section	.text._ZN9rocsparseL19gebsrmvn_2xn_kernelILj128ELj5ELj4EdEEvi20rocsparse_direction_NS_24const_host_device_scalarIT2_EEPKiS6_PKS3_S8_S4_PS3_21rocsparse_index_base_b,"axG",@progbits,_ZN9rocsparseL19gebsrmvn_2xn_kernelILj128ELj5ELj4EdEEvi20rocsparse_direction_NS_24const_host_device_scalarIT2_EEPKiS6_PKS3_S8_S4_PS3_21rocsparse_index_base_b,comdat
	.globl	_ZN9rocsparseL19gebsrmvn_2xn_kernelILj128ELj5ELj4EdEEvi20rocsparse_direction_NS_24const_host_device_scalarIT2_EEPKiS6_PKS3_S8_S4_PS3_21rocsparse_index_base_b ; -- Begin function _ZN9rocsparseL19gebsrmvn_2xn_kernelILj128ELj5ELj4EdEEvi20rocsparse_direction_NS_24const_host_device_scalarIT2_EEPKiS6_PKS3_S8_S4_PS3_21rocsparse_index_base_b
	.p2align	8
	.type	_ZN9rocsparseL19gebsrmvn_2xn_kernelILj128ELj5ELj4EdEEvi20rocsparse_direction_NS_24const_host_device_scalarIT2_EEPKiS6_PKS3_S8_S4_PS3_21rocsparse_index_base_b,@function
_ZN9rocsparseL19gebsrmvn_2xn_kernelILj128ELj5ELj4EdEEvi20rocsparse_direction_NS_24const_host_device_scalarIT2_EEPKiS6_PKS3_S8_S4_PS3_21rocsparse_index_base_b: ; @_ZN9rocsparseL19gebsrmvn_2xn_kernelILj128ELj5ELj4EdEEvi20rocsparse_direction_NS_24const_host_device_scalarIT2_EEPKiS6_PKS3_S8_S4_PS3_21rocsparse_index_base_b
; %bb.0:
	s_clause 0x2
	s_load_b64 s[12:13], s[0:1], 0x40
	s_load_b64 s[4:5], s[0:1], 0x8
	;; [unrolled: 1-line block ×3, first 2 shown]
	s_waitcnt lgkmcnt(0)
	s_bitcmp1_b32 s13, 0
	v_dual_mov_b32 v1, s4 :: v_dual_mov_b32 v2, s5
	s_cselect_b32 s6, -1, 0
	s_delay_alu instid0(SALU_CYCLE_1)
	s_and_b32 vcc_lo, exec_lo, s6
	s_xor_b32 s6, s6, -1
	s_cbranch_vccnz .LBB91_2
; %bb.1:
	v_dual_mov_b32 v1, s4 :: v_dual_mov_b32 v2, s5
	flat_load_b64 v[1:2], v[1:2]
.LBB91_2:
	v_dual_mov_b32 v4, s3 :: v_dual_mov_b32 v3, s2
	s_and_not1_b32 vcc_lo, exec_lo, s6
	s_cbranch_vccnz .LBB91_4
; %bb.3:
	v_dual_mov_b32 v4, s3 :: v_dual_mov_b32 v3, s2
	flat_load_b64 v[3:4], v[3:4]
.LBB91_4:
	s_waitcnt vmcnt(0) lgkmcnt(0)
	v_cmp_neq_f64_e32 vcc_lo, 0, v[1:2]
	v_cmp_neq_f64_e64 s2, 1.0, v[3:4]
	s_delay_alu instid0(VALU_DEP_1) | instskip(NEXT) | instid1(SALU_CYCLE_1)
	s_or_b32 s2, vcc_lo, s2
	s_and_saveexec_b32 s3, s2
	s_cbranch_execz .LBB91_23
; %bb.5:
	s_load_b64 s[2:3], s[0:1], 0x0
	v_lshrrev_b32_e32 v5, 2, v0
	s_delay_alu instid0(VALU_DEP_1) | instskip(SKIP_1) | instid1(VALU_DEP_1)
	v_lshl_or_b32 v5, s15, 5, v5
	s_waitcnt lgkmcnt(0)
	v_cmp_gt_i32_e32 vcc_lo, s2, v5
	s_and_b32 exec_lo, exec_lo, vcc_lo
	s_cbranch_execz .LBB91_23
; %bb.6:
	s_load_b256 s[4:11], s[0:1], 0x10
	v_ashrrev_i32_e32 v6, 31, v5
	v_and_b32_e32 v0, 3, v0
	s_cmp_lg_u32 s3, 0
	s_delay_alu instid0(VALU_DEP_2) | instskip(SKIP_1) | instid1(VALU_DEP_1)
	v_lshlrev_b64 v[6:7], 2, v[5:6]
	s_waitcnt lgkmcnt(0)
	v_add_co_u32 v6, vcc_lo, s4, v6
	s_delay_alu instid0(VALU_DEP_2) | instskip(SKIP_4) | instid1(VALU_DEP_2)
	v_add_co_ci_u32_e32 v7, vcc_lo, s5, v7, vcc_lo
	global_load_b64 v[6:7], v[6:7], off
	s_waitcnt vmcnt(0)
	v_subrev_nc_u32_e32 v6, s12, v6
	v_subrev_nc_u32_e32 v17, s12, v7
	v_add_nc_u32_e32 v8, v6, v0
	s_delay_alu instid0(VALU_DEP_1)
	v_cmp_lt_i32_e64 s2, v8, v17
	s_cbranch_scc0 .LBB91_12
; %bb.7:
	v_mov_b32_e32 v6, 0
	v_mov_b32_e32 v7, 0
	s_delay_alu instid0(VALU_DEP_1)
	v_dual_mov_b32 v11, v7 :: v_dual_mov_b32 v10, v6
	s_and_saveexec_b32 s3, s2
	s_cbranch_execz .LBB91_11
; %bb.8:
	v_dual_mov_b32 v6, 0 :: v_dual_mov_b32 v15, v8
	v_dual_mov_b32 v7, 0 :: v_dual_mov_b32 v14, 0
	v_mad_u64_u32 v[12:13], null, v8, 10, 8
	s_mov_b32 s4, 0
	s_delay_alu instid0(VALU_DEP_2)
	v_dual_mov_b32 v11, v7 :: v_dual_mov_b32 v10, v6
.LBB91_9:                               ; =>This Inner Loop Header: Depth=1
	v_ashrrev_i32_e32 v16, 31, v15
	s_delay_alu instid0(VALU_DEP_3) | instskip(SKIP_1) | instid1(VALU_DEP_3)
	v_add_nc_u32_e32 v13, -8, v12
	v_mov_b32_e32 v35, v14
	v_lshlrev_b64 v[18:19], 2, v[15:16]
	v_add_nc_u32_e32 v15, 4, v15
	s_delay_alu instid0(VALU_DEP_2) | instskip(NEXT) | instid1(VALU_DEP_3)
	v_add_co_u32 v18, vcc_lo, s6, v18
	v_add_co_ci_u32_e32 v19, vcc_lo, s7, v19, vcc_lo
	global_load_b32 v9, v[18:19], off
	v_lshlrev_b64 v[18:19], 3, v[13:14]
	v_add_nc_u32_e32 v13, -6, v12
	s_delay_alu instid0(VALU_DEP_2) | instskip(NEXT) | instid1(VALU_DEP_3)
	v_add_co_u32 v18, vcc_lo, s8, v18
	v_add_co_ci_u32_e32 v19, vcc_lo, s9, v19, vcc_lo
	s_waitcnt vmcnt(0)
	v_subrev_nc_u32_e32 v9, s12, v9
	s_delay_alu instid0(VALU_DEP_1) | instskip(NEXT) | instid1(VALU_DEP_1)
	v_lshl_add_u32 v34, v9, 2, v9
	v_lshlrev_b64 v[20:21], 3, v[34:35]
	s_delay_alu instid0(VALU_DEP_1) | instskip(NEXT) | instid1(VALU_DEP_2)
	v_add_co_u32 v22, vcc_lo, s10, v20
	v_add_co_ci_u32_e32 v23, vcc_lo, s11, v21, vcc_lo
	global_load_b128 v[18:21], v[18:19], off
	global_load_b64 v[38:39], v[22:23], off
	v_lshlrev_b64 v[22:23], 3, v[13:14]
	v_add_nc_u32_e32 v13, 1, v34
	s_delay_alu instid0(VALU_DEP_1) | instskip(NEXT) | instid1(VALU_DEP_3)
	v_lshlrev_b64 v[24:25], 3, v[13:14]
	v_add_co_u32 v22, vcc_lo, s8, v22
	s_delay_alu instid0(VALU_DEP_4) | instskip(SKIP_1) | instid1(VALU_DEP_4)
	v_add_co_ci_u32_e32 v23, vcc_lo, s9, v23, vcc_lo
	v_add_nc_u32_e32 v13, -4, v12
	v_add_co_u32 v26, vcc_lo, s10, v24
	v_add_co_ci_u32_e32 v27, vcc_lo, s11, v25, vcc_lo
	global_load_b128 v[22:25], v[22:23], off
	global_load_b64 v[40:41], v[26:27], off
	v_lshlrev_b64 v[26:27], 3, v[13:14]
	v_add_nc_u32_e32 v13, 2, v34
	s_delay_alu instid0(VALU_DEP_1) | instskip(NEXT) | instid1(VALU_DEP_3)
	v_lshlrev_b64 v[28:29], 3, v[13:14]
	v_add_co_u32 v26, vcc_lo, s8, v26
	s_delay_alu instid0(VALU_DEP_4) | instskip(SKIP_1) | instid1(VALU_DEP_4)
	v_add_co_ci_u32_e32 v27, vcc_lo, s9, v27, vcc_lo
	v_add_nc_u32_e32 v13, -2, v12
	v_add_co_u32 v30, vcc_lo, s10, v28
	v_add_co_ci_u32_e32 v31, vcc_lo, s11, v29, vcc_lo
	global_load_b128 v[26:29], v[26:27], off
	global_load_b64 v[42:43], v[30:31], off
	v_lshlrev_b64 v[30:31], 3, v[13:14]
	v_add_nc_u32_e32 v13, 3, v34
	s_delay_alu instid0(VALU_DEP_1) | instskip(NEXT) | instid1(VALU_DEP_3)
	v_lshlrev_b64 v[32:33], 3, v[13:14]
	v_add_co_u32 v30, vcc_lo, s8, v30
	s_delay_alu instid0(VALU_DEP_4) | instskip(SKIP_1) | instid1(VALU_DEP_4)
	v_add_co_ci_u32_e32 v31, vcc_lo, s9, v31, vcc_lo
	v_mov_b32_e32 v13, v14
	v_add_co_u32 v35, vcc_lo, s10, v32
	v_add_co_ci_u32_e32 v36, vcc_lo, s11, v33, vcc_lo
	global_load_b128 v[30:33], v[30:31], off
	global_load_b64 v[44:45], v[35:36], off
	v_lshlrev_b64 v[35:36], 3, v[12:13]
	v_add_nc_u32_e32 v12, 40, v12
	v_add_nc_u32_e32 v13, 4, v34
	s_delay_alu instid0(VALU_DEP_3) | instskip(NEXT) | instid1(VALU_DEP_2)
	v_add_co_u32 v34, vcc_lo, s8, v35
	v_lshlrev_b64 v[46:47], 3, v[13:14]
	v_add_co_ci_u32_e32 v35, vcc_lo, s9, v36, vcc_lo
	s_delay_alu instid0(VALU_DEP_2) | instskip(NEXT) | instid1(VALU_DEP_3)
	v_add_co_u32 v46, vcc_lo, s10, v46
	v_add_co_ci_u32_e32 v47, vcc_lo, s11, v47, vcc_lo
	global_load_b128 v[34:37], v[34:35], off
	global_load_b64 v[46:47], v[46:47], off
	v_cmp_ge_i32_e32 vcc_lo, v15, v17
	s_or_b32 s4, vcc_lo, s4
	s_waitcnt vmcnt(8)
	v_fma_f64 v[6:7], v[18:19], v[38:39], v[6:7]
	v_fma_f64 v[9:10], v[20:21], v[38:39], v[10:11]
	s_waitcnt vmcnt(6)
	s_delay_alu instid0(VALU_DEP_2) | instskip(NEXT) | instid1(VALU_DEP_2)
	v_fma_f64 v[6:7], v[22:23], v[40:41], v[6:7]
	v_fma_f64 v[9:10], v[24:25], v[40:41], v[9:10]
	s_waitcnt vmcnt(4)
	s_delay_alu instid0(VALU_DEP_2) | instskip(NEXT) | instid1(VALU_DEP_2)
	;; [unrolled: 4-line block ×4, first 2 shown]
	v_fma_f64 v[6:7], v[34:35], v[46:47], v[6:7]
	v_fma_f64 v[10:11], v[36:37], v[46:47], v[9:10]
	s_and_not1_b32 exec_lo, exec_lo, s4
	s_cbranch_execnz .LBB91_9
; %bb.10:
	s_or_b32 exec_lo, exec_lo, s4
.LBB91_11:
	s_delay_alu instid0(SALU_CYCLE_1)
	s_or_b32 exec_lo, exec_lo, s3
	s_cbranch_execz .LBB91_13
	s_branch .LBB91_18
.LBB91_12:
                                        ; implicit-def: $vgpr6_vgpr7
                                        ; implicit-def: $vgpr10_vgpr11
.LBB91_13:
	v_mov_b32_e32 v6, 0
	v_mov_b32_e32 v7, 0
	s_delay_alu instid0(VALU_DEP_1)
	v_dual_mov_b32 v11, v7 :: v_dual_mov_b32 v10, v6
	s_and_saveexec_b32 s3, s2
	s_cbranch_execz .LBB91_17
; %bb.14:
	v_mov_b32_e32 v6, 0
	v_dual_mov_b32 v7, 0 :: v_dual_mov_b32 v14, 0
	v_mad_u64_u32 v[12:13], null, v8, 10, 9
	s_mov_b32 s2, 0
	s_delay_alu instid0(VALU_DEP_2)
	v_dual_mov_b32 v11, v7 :: v_dual_mov_b32 v10, v6
.LBB91_15:                              ; =>This Inner Loop Header: Depth=1
	v_ashrrev_i32_e32 v9, 31, v8
	s_delay_alu instid0(VALU_DEP_3) | instskip(SKIP_1) | instid1(VALU_DEP_3)
	v_add_nc_u32_e32 v13, -9, v12
	v_mov_b32_e32 v23, v14
	v_lshlrev_b64 v[15:16], 2, v[8:9]
	v_add_nc_u32_e32 v8, 4, v8
	s_delay_alu instid0(VALU_DEP_2) | instskip(NEXT) | instid1(VALU_DEP_3)
	v_add_co_u32 v15, vcc_lo, s6, v15
	v_add_co_ci_u32_e32 v16, vcc_lo, s7, v16, vcc_lo
	global_load_b32 v9, v[15:16], off
	v_dual_mov_b32 v16, v14 :: v_dual_add_nc_u32 v15, -4, v12
	v_lshlrev_b64 v[18:19], 3, v[13:14]
	s_delay_alu instid0(VALU_DEP_2) | instskip(NEXT) | instid1(VALU_DEP_2)
	v_lshlrev_b64 v[15:16], 3, v[15:16]
	v_add_co_u32 v18, vcc_lo, s8, v18
	s_delay_alu instid0(VALU_DEP_3) | instskip(NEXT) | instid1(VALU_DEP_3)
	v_add_co_ci_u32_e32 v19, vcc_lo, s9, v19, vcc_lo
	v_add_co_u32 v15, vcc_lo, s8, v15
	s_delay_alu instid0(VALU_DEP_4) | instskip(SKIP_2) | instid1(VALU_DEP_1)
	v_add_co_ci_u32_e32 v16, vcc_lo, s9, v16, vcc_lo
	s_waitcnt vmcnt(0)
	v_subrev_nc_u32_e32 v9, s12, v9
	v_lshl_add_u32 v22, v9, 2, v9
	s_delay_alu instid0(VALU_DEP_1) | instskip(SKIP_1) | instid1(VALU_DEP_1)
	v_lshlrev_b64 v[20:21], 3, v[22:23]
	v_add_nc_u32_e32 v13, 1, v22
	v_lshlrev_b64 v[25:26], 3, v[13:14]
	s_delay_alu instid0(VALU_DEP_3) | instskip(NEXT) | instid1(VALU_DEP_4)
	v_add_co_u32 v23, vcc_lo, s10, v20
	v_add_co_ci_u32_e32 v24, vcc_lo, s11, v21, vcc_lo
	s_clause 0x1
	global_load_b128 v[18:21], v[18:19], off
	global_load_b64 v[15:16], v[15:16], off
	global_load_b64 v[23:24], v[23:24], off
	v_add_nc_u32_e32 v13, -3, v12
	v_add_co_u32 v25, vcc_lo, s10, v25
	v_add_co_ci_u32_e32 v26, vcc_lo, s11, v26, vcc_lo
	s_delay_alu instid0(VALU_DEP_3) | instskip(SKIP_1) | instid1(VALU_DEP_2)
	v_lshlrev_b64 v[27:28], 3, v[13:14]
	v_add_nc_u32_e32 v13, -7, v12
	v_add_co_u32 v27, vcc_lo, s8, v27
	s_delay_alu instid0(VALU_DEP_3) | instskip(SKIP_4) | instid1(VALU_DEP_1)
	v_add_co_ci_u32_e32 v28, vcc_lo, s9, v28, vcc_lo
	global_load_b64 v[25:26], v[25:26], off
	global_load_b64 v[27:28], v[27:28], off
	v_lshlrev_b64 v[29:30], 3, v[13:14]
	v_add_nc_u32_e32 v13, 2, v22
	v_lshlrev_b64 v[31:32], 3, v[13:14]
	v_add_nc_u32_e32 v13, -2, v12
	s_delay_alu instid0(VALU_DEP_4) | instskip(SKIP_1) | instid1(VALU_DEP_3)
	v_add_co_u32 v29, vcc_lo, s8, v29
	v_add_co_ci_u32_e32 v30, vcc_lo, s9, v30, vcc_lo
	v_lshlrev_b64 v[33:34], 3, v[13:14]
	v_add_co_u32 v31, vcc_lo, s10, v31
	v_add_co_ci_u32_e32 v32, vcc_lo, s11, v32, vcc_lo
	v_add_nc_u32_e32 v13, -6, v12
	s_delay_alu instid0(VALU_DEP_4)
	v_add_co_u32 v33, vcc_lo, s8, v33
	v_add_co_ci_u32_e32 v34, vcc_lo, s9, v34, vcc_lo
	global_load_b64 v[29:30], v[29:30], off
	global_load_b64 v[31:32], v[31:32], off
	;; [unrolled: 1-line block ×3, first 2 shown]
	v_lshlrev_b64 v[35:36], 3, v[13:14]
	v_add_nc_u32_e32 v13, 3, v22
	s_delay_alu instid0(VALU_DEP_1) | instskip(SKIP_1) | instid1(VALU_DEP_4)
	v_lshlrev_b64 v[37:38], 3, v[13:14]
	v_add_nc_u32_e32 v13, -1, v12
	v_add_co_u32 v35, vcc_lo, s8, v35
	v_add_co_ci_u32_e32 v36, vcc_lo, s9, v36, vcc_lo
	s_delay_alu instid0(VALU_DEP_3) | instskip(SKIP_3) | instid1(VALU_DEP_4)
	v_lshlrev_b64 v[39:40], 3, v[13:14]
	v_add_co_u32 v37, vcc_lo, s10, v37
	v_add_co_ci_u32_e32 v38, vcc_lo, s11, v38, vcc_lo
	v_mov_b32_e32 v13, v14
	v_add_co_u32 v39, vcc_lo, s8, v39
	v_add_co_ci_u32_e32 v40, vcc_lo, s9, v40, vcc_lo
	global_load_b64 v[35:36], v[35:36], off
	global_load_b64 v[37:38], v[37:38], off
	global_load_b64 v[39:40], v[39:40], off
	v_lshlrev_b64 v[41:42], 3, v[12:13]
	v_add_nc_u32_e32 v13, -5, v12
	v_add_nc_u32_e32 v12, 40, v12
	s_delay_alu instid0(VALU_DEP_2) | instskip(SKIP_3) | instid1(VALU_DEP_3)
	v_lshlrev_b64 v[43:44], 3, v[13:14]
	v_add_nc_u32_e32 v13, 4, v22
	v_add_co_u32 v41, vcc_lo, s8, v41
	v_add_co_ci_u32_e32 v42, vcc_lo, s9, v42, vcc_lo
	v_lshlrev_b64 v[45:46], 3, v[13:14]
	v_add_co_u32 v43, vcc_lo, s8, v43
	v_add_co_ci_u32_e32 v44, vcc_lo, s9, v44, vcc_lo
	s_delay_alu instid0(VALU_DEP_3) | instskip(NEXT) | instid1(VALU_DEP_4)
	v_add_co_u32 v45, vcc_lo, s10, v45
	v_add_co_ci_u32_e32 v46, vcc_lo, s11, v46, vcc_lo
	s_clause 0x1
	global_load_b64 v[41:42], v[41:42], off
	global_load_b64 v[43:44], v[43:44], off
	;; [unrolled: 1-line block ×3, first 2 shown]
	v_cmp_ge_i32_e32 vcc_lo, v8, v17
	s_or_b32 s2, vcc_lo, s2
	s_waitcnt vmcnt(11)
	v_fma_f64 v[6:7], v[18:19], v[23:24], v[6:7]
	v_fma_f64 v[9:10], v[15:16], v[23:24], v[10:11]
	s_waitcnt vmcnt(10)
	s_delay_alu instid0(VALU_DEP_2) | instskip(SKIP_1) | instid1(VALU_DEP_2)
	v_fma_f64 v[6:7], v[20:21], v[25:26], v[6:7]
	s_waitcnt vmcnt(9)
	v_fma_f64 v[9:10], v[27:28], v[25:26], v[9:10]
	s_waitcnt vmcnt(7)
	s_delay_alu instid0(VALU_DEP_2) | instskip(SKIP_1) | instid1(VALU_DEP_2)
	v_fma_f64 v[6:7], v[29:30], v[31:32], v[6:7]
	s_waitcnt vmcnt(6)
	v_fma_f64 v[9:10], v[33:34], v[31:32], v[9:10]
	s_waitcnt vmcnt(4)
	s_delay_alu instid0(VALU_DEP_2) | instskip(SKIP_1) | instid1(VALU_DEP_2)
	v_fma_f64 v[6:7], v[35:36], v[37:38], v[6:7]
	s_waitcnt vmcnt(3)
	v_fma_f64 v[9:10], v[39:40], v[37:38], v[9:10]
	s_waitcnt vmcnt(0)
	s_delay_alu instid0(VALU_DEP_2) | instskip(NEXT) | instid1(VALU_DEP_2)
	v_fma_f64 v[6:7], v[43:44], v[45:46], v[6:7]
	v_fma_f64 v[10:11], v[41:42], v[45:46], v[9:10]
	s_and_not1_b32 exec_lo, exec_lo, s2
	s_cbranch_execnz .LBB91_15
; %bb.16:
	s_or_b32 exec_lo, exec_lo, s2
.LBB91_17:
	s_delay_alu instid0(SALU_CYCLE_1)
	s_or_b32 exec_lo, exec_lo, s3
.LBB91_18:
	v_mbcnt_lo_u32_b32 v14, -1, 0
	s_delay_alu instid0(VALU_DEP_1) | instskip(NEXT) | instid1(VALU_DEP_1)
	v_xor_b32_e32 v8, 2, v14
	v_cmp_gt_i32_e32 vcc_lo, 32, v8
	v_cndmask_b32_e32 v8, v14, v8, vcc_lo
	s_delay_alu instid0(VALU_DEP_1)
	v_lshlrev_b32_e32 v13, 2, v8
	ds_bpermute_b32 v8, v13, v6
	ds_bpermute_b32 v9, v13, v7
	;; [unrolled: 1-line block ×4, first 2 shown]
	s_waitcnt lgkmcnt(2)
	v_add_f64 v[6:7], v[6:7], v[8:9]
	v_xor_b32_e32 v8, 1, v14
	s_waitcnt lgkmcnt(0)
	v_add_f64 v[10:11], v[10:11], v[12:13]
	s_delay_alu instid0(VALU_DEP_2) | instskip(SKIP_2) | instid1(VALU_DEP_2)
	v_cmp_gt_i32_e32 vcc_lo, 32, v8
	v_cndmask_b32_e32 v8, v14, v8, vcc_lo
	v_cmp_eq_u32_e32 vcc_lo, 3, v0
	v_lshlrev_b32_e32 v13, 2, v8
	ds_bpermute_b32 v8, v13, v6
	ds_bpermute_b32 v9, v13, v7
	;; [unrolled: 1-line block ×4, first 2 shown]
	s_and_b32 exec_lo, exec_lo, vcc_lo
	s_cbranch_execz .LBB91_23
; %bb.19:
	s_waitcnt lgkmcnt(2)
	v_add_f64 v[8:9], v[6:7], v[8:9]
	s_waitcnt lgkmcnt(0)
	v_add_f64 v[6:7], v[10:11], v[12:13]
	s_load_b64 s[0:1], s[0:1], 0x38
	s_mov_b32 s2, exec_lo
	v_cmpx_eq_f64_e32 0, v[3:4]
	s_xor_b32 s2, exec_lo, s2
	s_cbranch_execz .LBB91_21
; %bb.20:
	s_delay_alu instid0(VALU_DEP_3) | instskip(NEXT) | instid1(VALU_DEP_3)
	v_mul_f64 v[8:9], v[1:2], v[8:9]
	v_mul_f64 v[10:11], v[1:2], v[6:7]
	v_lshlrev_b32_e32 v0, 1, v5
                                        ; implicit-def: $vgpr5
                                        ; implicit-def: $vgpr3_vgpr4
                                        ; implicit-def: $vgpr6_vgpr7
	s_delay_alu instid0(VALU_DEP_1) | instskip(NEXT) | instid1(VALU_DEP_1)
	v_ashrrev_i32_e32 v1, 31, v0
	v_lshlrev_b64 v[0:1], 3, v[0:1]
	s_waitcnt lgkmcnt(0)
	s_delay_alu instid0(VALU_DEP_1) | instskip(NEXT) | instid1(VALU_DEP_2)
	v_add_co_u32 v0, vcc_lo, s0, v0
	v_add_co_ci_u32_e32 v1, vcc_lo, s1, v1, vcc_lo
	global_store_b128 v[0:1], v[8:11], off
                                        ; implicit-def: $vgpr1_vgpr2
                                        ; implicit-def: $vgpr8_vgpr9
.LBB91_21:
	s_and_not1_saveexec_b32 s2, s2
	s_cbranch_execz .LBB91_23
; %bb.22:
	v_lshlrev_b32_e32 v10, 1, v5
	s_delay_alu instid0(VALU_DEP_4) | instskip(NEXT) | instid1(VALU_DEP_4)
	v_mul_f64 v[8:9], v[1:2], v[8:9]
	v_mul_f64 v[5:6], v[1:2], v[6:7]
	s_delay_alu instid0(VALU_DEP_3) | instskip(NEXT) | instid1(VALU_DEP_1)
	v_ashrrev_i32_e32 v11, 31, v10
	v_lshlrev_b64 v[10:11], 3, v[10:11]
	s_waitcnt lgkmcnt(0)
	s_delay_alu instid0(VALU_DEP_1) | instskip(NEXT) | instid1(VALU_DEP_2)
	v_add_co_u32 v14, vcc_lo, s0, v10
	v_add_co_ci_u32_e32 v15, vcc_lo, s1, v11, vcc_lo
	global_load_b128 v[10:13], v[14:15], off
	s_waitcnt vmcnt(0)
	v_fma_f64 v[0:1], v[3:4], v[10:11], v[8:9]
	v_fma_f64 v[2:3], v[3:4], v[12:13], v[5:6]
	global_store_b128 v[14:15], v[0:3], off
.LBB91_23:
	s_nop 0
	s_sendmsg sendmsg(MSG_DEALLOC_VGPRS)
	s_endpgm
	.section	.rodata,"a",@progbits
	.p2align	6, 0x0
	.amdhsa_kernel _ZN9rocsparseL19gebsrmvn_2xn_kernelILj128ELj5ELj4EdEEvi20rocsparse_direction_NS_24const_host_device_scalarIT2_EEPKiS6_PKS3_S8_S4_PS3_21rocsparse_index_base_b
		.amdhsa_group_segment_fixed_size 0
		.amdhsa_private_segment_fixed_size 0
		.amdhsa_kernarg_size 72
		.amdhsa_user_sgpr_count 15
		.amdhsa_user_sgpr_dispatch_ptr 0
		.amdhsa_user_sgpr_queue_ptr 0
		.amdhsa_user_sgpr_kernarg_segment_ptr 1
		.amdhsa_user_sgpr_dispatch_id 0
		.amdhsa_user_sgpr_private_segment_size 0
		.amdhsa_wavefront_size32 1
		.amdhsa_uses_dynamic_stack 0
		.amdhsa_enable_private_segment 0
		.amdhsa_system_sgpr_workgroup_id_x 1
		.amdhsa_system_sgpr_workgroup_id_y 0
		.amdhsa_system_sgpr_workgroup_id_z 0
		.amdhsa_system_sgpr_workgroup_info 0
		.amdhsa_system_vgpr_workitem_id 0
		.amdhsa_next_free_vgpr 48
		.amdhsa_next_free_sgpr 16
		.amdhsa_reserve_vcc 1
		.amdhsa_float_round_mode_32 0
		.amdhsa_float_round_mode_16_64 0
		.amdhsa_float_denorm_mode_32 3
		.amdhsa_float_denorm_mode_16_64 3
		.amdhsa_dx10_clamp 1
		.amdhsa_ieee_mode 1
		.amdhsa_fp16_overflow 0
		.amdhsa_workgroup_processor_mode 1
		.amdhsa_memory_ordered 1
		.amdhsa_forward_progress 0
		.amdhsa_shared_vgpr_count 0
		.amdhsa_exception_fp_ieee_invalid_op 0
		.amdhsa_exception_fp_denorm_src 0
		.amdhsa_exception_fp_ieee_div_zero 0
		.amdhsa_exception_fp_ieee_overflow 0
		.amdhsa_exception_fp_ieee_underflow 0
		.amdhsa_exception_fp_ieee_inexact 0
		.amdhsa_exception_int_div_zero 0
	.end_amdhsa_kernel
	.section	.text._ZN9rocsparseL19gebsrmvn_2xn_kernelILj128ELj5ELj4EdEEvi20rocsparse_direction_NS_24const_host_device_scalarIT2_EEPKiS6_PKS3_S8_S4_PS3_21rocsparse_index_base_b,"axG",@progbits,_ZN9rocsparseL19gebsrmvn_2xn_kernelILj128ELj5ELj4EdEEvi20rocsparse_direction_NS_24const_host_device_scalarIT2_EEPKiS6_PKS3_S8_S4_PS3_21rocsparse_index_base_b,comdat
.Lfunc_end91:
	.size	_ZN9rocsparseL19gebsrmvn_2xn_kernelILj128ELj5ELj4EdEEvi20rocsparse_direction_NS_24const_host_device_scalarIT2_EEPKiS6_PKS3_S8_S4_PS3_21rocsparse_index_base_b, .Lfunc_end91-_ZN9rocsparseL19gebsrmvn_2xn_kernelILj128ELj5ELj4EdEEvi20rocsparse_direction_NS_24const_host_device_scalarIT2_EEPKiS6_PKS3_S8_S4_PS3_21rocsparse_index_base_b
                                        ; -- End function
	.section	.AMDGPU.csdata,"",@progbits
; Kernel info:
; codeLenInByte = 2104
; NumSgprs: 18
; NumVgprs: 48
; ScratchSize: 0
; MemoryBound: 0
; FloatMode: 240
; IeeeMode: 1
; LDSByteSize: 0 bytes/workgroup (compile time only)
; SGPRBlocks: 2
; VGPRBlocks: 5
; NumSGPRsForWavesPerEU: 18
; NumVGPRsForWavesPerEU: 48
; Occupancy: 16
; WaveLimiterHint : 1
; COMPUTE_PGM_RSRC2:SCRATCH_EN: 0
; COMPUTE_PGM_RSRC2:USER_SGPR: 15
; COMPUTE_PGM_RSRC2:TRAP_HANDLER: 0
; COMPUTE_PGM_RSRC2:TGID_X_EN: 1
; COMPUTE_PGM_RSRC2:TGID_Y_EN: 0
; COMPUTE_PGM_RSRC2:TGID_Z_EN: 0
; COMPUTE_PGM_RSRC2:TIDIG_COMP_CNT: 0
	.section	.text._ZN9rocsparseL19gebsrmvn_2xn_kernelILj128ELj5ELj8EdEEvi20rocsparse_direction_NS_24const_host_device_scalarIT2_EEPKiS6_PKS3_S8_S4_PS3_21rocsparse_index_base_b,"axG",@progbits,_ZN9rocsparseL19gebsrmvn_2xn_kernelILj128ELj5ELj8EdEEvi20rocsparse_direction_NS_24const_host_device_scalarIT2_EEPKiS6_PKS3_S8_S4_PS3_21rocsparse_index_base_b,comdat
	.globl	_ZN9rocsparseL19gebsrmvn_2xn_kernelILj128ELj5ELj8EdEEvi20rocsparse_direction_NS_24const_host_device_scalarIT2_EEPKiS6_PKS3_S8_S4_PS3_21rocsparse_index_base_b ; -- Begin function _ZN9rocsparseL19gebsrmvn_2xn_kernelILj128ELj5ELj8EdEEvi20rocsparse_direction_NS_24const_host_device_scalarIT2_EEPKiS6_PKS3_S8_S4_PS3_21rocsparse_index_base_b
	.p2align	8
	.type	_ZN9rocsparseL19gebsrmvn_2xn_kernelILj128ELj5ELj8EdEEvi20rocsparse_direction_NS_24const_host_device_scalarIT2_EEPKiS6_PKS3_S8_S4_PS3_21rocsparse_index_base_b,@function
_ZN9rocsparseL19gebsrmvn_2xn_kernelILj128ELj5ELj8EdEEvi20rocsparse_direction_NS_24const_host_device_scalarIT2_EEPKiS6_PKS3_S8_S4_PS3_21rocsparse_index_base_b: ; @_ZN9rocsparseL19gebsrmvn_2xn_kernelILj128ELj5ELj8EdEEvi20rocsparse_direction_NS_24const_host_device_scalarIT2_EEPKiS6_PKS3_S8_S4_PS3_21rocsparse_index_base_b
; %bb.0:
	s_clause 0x2
	s_load_b64 s[12:13], s[0:1], 0x40
	s_load_b64 s[4:5], s[0:1], 0x8
	;; [unrolled: 1-line block ×3, first 2 shown]
	s_waitcnt lgkmcnt(0)
	s_bitcmp1_b32 s13, 0
	v_dual_mov_b32 v1, s4 :: v_dual_mov_b32 v2, s5
	s_cselect_b32 s6, -1, 0
	s_delay_alu instid0(SALU_CYCLE_1)
	s_and_b32 vcc_lo, exec_lo, s6
	s_xor_b32 s6, s6, -1
	s_cbranch_vccnz .LBB92_2
; %bb.1:
	v_dual_mov_b32 v1, s4 :: v_dual_mov_b32 v2, s5
	flat_load_b64 v[1:2], v[1:2]
.LBB92_2:
	v_dual_mov_b32 v4, s3 :: v_dual_mov_b32 v3, s2
	s_and_not1_b32 vcc_lo, exec_lo, s6
	s_cbranch_vccnz .LBB92_4
; %bb.3:
	v_dual_mov_b32 v4, s3 :: v_dual_mov_b32 v3, s2
	flat_load_b64 v[3:4], v[3:4]
.LBB92_4:
	s_waitcnt vmcnt(0) lgkmcnt(0)
	v_cmp_neq_f64_e32 vcc_lo, 0, v[1:2]
	v_cmp_neq_f64_e64 s2, 1.0, v[3:4]
	s_delay_alu instid0(VALU_DEP_1) | instskip(NEXT) | instid1(SALU_CYCLE_1)
	s_or_b32 s2, vcc_lo, s2
	s_and_saveexec_b32 s3, s2
	s_cbranch_execz .LBB92_23
; %bb.5:
	s_load_b64 s[2:3], s[0:1], 0x0
	v_lshrrev_b32_e32 v5, 3, v0
	s_delay_alu instid0(VALU_DEP_1) | instskip(SKIP_1) | instid1(VALU_DEP_1)
	v_lshl_or_b32 v5, s15, 4, v5
	s_waitcnt lgkmcnt(0)
	v_cmp_gt_i32_e32 vcc_lo, s2, v5
	s_and_b32 exec_lo, exec_lo, vcc_lo
	s_cbranch_execz .LBB92_23
; %bb.6:
	s_load_b256 s[4:11], s[0:1], 0x10
	v_ashrrev_i32_e32 v6, 31, v5
	v_and_b32_e32 v0, 7, v0
	s_cmp_lg_u32 s3, 0
	s_delay_alu instid0(VALU_DEP_2) | instskip(SKIP_1) | instid1(VALU_DEP_1)
	v_lshlrev_b64 v[6:7], 2, v[5:6]
	s_waitcnt lgkmcnt(0)
	v_add_co_u32 v6, vcc_lo, s4, v6
	s_delay_alu instid0(VALU_DEP_2) | instskip(SKIP_4) | instid1(VALU_DEP_2)
	v_add_co_ci_u32_e32 v7, vcc_lo, s5, v7, vcc_lo
	global_load_b64 v[6:7], v[6:7], off
	s_waitcnt vmcnt(0)
	v_subrev_nc_u32_e32 v6, s12, v6
	v_subrev_nc_u32_e32 v17, s12, v7
	v_add_nc_u32_e32 v8, v6, v0
	s_delay_alu instid0(VALU_DEP_1)
	v_cmp_lt_i32_e64 s2, v8, v17
	s_cbranch_scc0 .LBB92_12
; %bb.7:
	v_mov_b32_e32 v6, 0
	v_mov_b32_e32 v7, 0
	s_delay_alu instid0(VALU_DEP_1)
	v_dual_mov_b32 v11, v7 :: v_dual_mov_b32 v10, v6
	s_and_saveexec_b32 s3, s2
	s_cbranch_execz .LBB92_11
; %bb.8:
	v_dual_mov_b32 v6, 0 :: v_dual_mov_b32 v15, v8
	v_dual_mov_b32 v7, 0 :: v_dual_mov_b32 v14, 0
	v_mad_u64_u32 v[12:13], null, v8, 10, 8
	s_mov_b32 s4, 0
	s_delay_alu instid0(VALU_DEP_2)
	v_dual_mov_b32 v11, v7 :: v_dual_mov_b32 v10, v6
.LBB92_9:                               ; =>This Inner Loop Header: Depth=1
	v_ashrrev_i32_e32 v16, 31, v15
	s_delay_alu instid0(VALU_DEP_3) | instskip(SKIP_1) | instid1(VALU_DEP_3)
	v_add_nc_u32_e32 v13, -8, v12
	v_mov_b32_e32 v35, v14
	v_lshlrev_b64 v[18:19], 2, v[15:16]
	v_add_nc_u32_e32 v15, 8, v15
	s_delay_alu instid0(VALU_DEP_2) | instskip(NEXT) | instid1(VALU_DEP_3)
	v_add_co_u32 v18, vcc_lo, s6, v18
	v_add_co_ci_u32_e32 v19, vcc_lo, s7, v19, vcc_lo
	global_load_b32 v9, v[18:19], off
	v_lshlrev_b64 v[18:19], 3, v[13:14]
	v_add_nc_u32_e32 v13, -6, v12
	s_delay_alu instid0(VALU_DEP_2) | instskip(NEXT) | instid1(VALU_DEP_3)
	v_add_co_u32 v18, vcc_lo, s8, v18
	v_add_co_ci_u32_e32 v19, vcc_lo, s9, v19, vcc_lo
	s_waitcnt vmcnt(0)
	v_subrev_nc_u32_e32 v9, s12, v9
	s_delay_alu instid0(VALU_DEP_1) | instskip(NEXT) | instid1(VALU_DEP_1)
	v_lshl_add_u32 v34, v9, 2, v9
	v_lshlrev_b64 v[20:21], 3, v[34:35]
	s_delay_alu instid0(VALU_DEP_1) | instskip(NEXT) | instid1(VALU_DEP_2)
	v_add_co_u32 v22, vcc_lo, s10, v20
	v_add_co_ci_u32_e32 v23, vcc_lo, s11, v21, vcc_lo
	global_load_b128 v[18:21], v[18:19], off
	global_load_b64 v[38:39], v[22:23], off
	v_lshlrev_b64 v[22:23], 3, v[13:14]
	v_add_nc_u32_e32 v13, 1, v34
	s_delay_alu instid0(VALU_DEP_1) | instskip(NEXT) | instid1(VALU_DEP_3)
	v_lshlrev_b64 v[24:25], 3, v[13:14]
	v_add_co_u32 v22, vcc_lo, s8, v22
	s_delay_alu instid0(VALU_DEP_4) | instskip(SKIP_1) | instid1(VALU_DEP_4)
	v_add_co_ci_u32_e32 v23, vcc_lo, s9, v23, vcc_lo
	v_add_nc_u32_e32 v13, -4, v12
	v_add_co_u32 v26, vcc_lo, s10, v24
	v_add_co_ci_u32_e32 v27, vcc_lo, s11, v25, vcc_lo
	global_load_b128 v[22:25], v[22:23], off
	global_load_b64 v[40:41], v[26:27], off
	v_lshlrev_b64 v[26:27], 3, v[13:14]
	v_add_nc_u32_e32 v13, 2, v34
	s_delay_alu instid0(VALU_DEP_1) | instskip(NEXT) | instid1(VALU_DEP_3)
	v_lshlrev_b64 v[28:29], 3, v[13:14]
	v_add_co_u32 v26, vcc_lo, s8, v26
	s_delay_alu instid0(VALU_DEP_4) | instskip(SKIP_1) | instid1(VALU_DEP_4)
	v_add_co_ci_u32_e32 v27, vcc_lo, s9, v27, vcc_lo
	v_add_nc_u32_e32 v13, -2, v12
	v_add_co_u32 v30, vcc_lo, s10, v28
	v_add_co_ci_u32_e32 v31, vcc_lo, s11, v29, vcc_lo
	global_load_b128 v[26:29], v[26:27], off
	global_load_b64 v[42:43], v[30:31], off
	v_lshlrev_b64 v[30:31], 3, v[13:14]
	v_add_nc_u32_e32 v13, 3, v34
	s_delay_alu instid0(VALU_DEP_1) | instskip(NEXT) | instid1(VALU_DEP_3)
	v_lshlrev_b64 v[32:33], 3, v[13:14]
	v_add_co_u32 v30, vcc_lo, s8, v30
	s_delay_alu instid0(VALU_DEP_4) | instskip(SKIP_1) | instid1(VALU_DEP_4)
	v_add_co_ci_u32_e32 v31, vcc_lo, s9, v31, vcc_lo
	v_mov_b32_e32 v13, v14
	v_add_co_u32 v35, vcc_lo, s10, v32
	v_add_co_ci_u32_e32 v36, vcc_lo, s11, v33, vcc_lo
	global_load_b128 v[30:33], v[30:31], off
	global_load_b64 v[44:45], v[35:36], off
	v_lshlrev_b64 v[35:36], 3, v[12:13]
	v_add_nc_u32_e32 v12, 0x50, v12
	v_add_nc_u32_e32 v13, 4, v34
	s_delay_alu instid0(VALU_DEP_3) | instskip(NEXT) | instid1(VALU_DEP_2)
	v_add_co_u32 v34, vcc_lo, s8, v35
	v_lshlrev_b64 v[46:47], 3, v[13:14]
	v_add_co_ci_u32_e32 v35, vcc_lo, s9, v36, vcc_lo
	s_delay_alu instid0(VALU_DEP_2) | instskip(NEXT) | instid1(VALU_DEP_3)
	v_add_co_u32 v46, vcc_lo, s10, v46
	v_add_co_ci_u32_e32 v47, vcc_lo, s11, v47, vcc_lo
	global_load_b128 v[34:37], v[34:35], off
	global_load_b64 v[46:47], v[46:47], off
	v_cmp_ge_i32_e32 vcc_lo, v15, v17
	s_or_b32 s4, vcc_lo, s4
	s_waitcnt vmcnt(8)
	v_fma_f64 v[6:7], v[18:19], v[38:39], v[6:7]
	v_fma_f64 v[9:10], v[20:21], v[38:39], v[10:11]
	s_waitcnt vmcnt(6)
	s_delay_alu instid0(VALU_DEP_2) | instskip(NEXT) | instid1(VALU_DEP_2)
	v_fma_f64 v[6:7], v[22:23], v[40:41], v[6:7]
	v_fma_f64 v[9:10], v[24:25], v[40:41], v[9:10]
	s_waitcnt vmcnt(4)
	s_delay_alu instid0(VALU_DEP_2) | instskip(NEXT) | instid1(VALU_DEP_2)
	;; [unrolled: 4-line block ×4, first 2 shown]
	v_fma_f64 v[6:7], v[34:35], v[46:47], v[6:7]
	v_fma_f64 v[10:11], v[36:37], v[46:47], v[9:10]
	s_and_not1_b32 exec_lo, exec_lo, s4
	s_cbranch_execnz .LBB92_9
; %bb.10:
	s_or_b32 exec_lo, exec_lo, s4
.LBB92_11:
	s_delay_alu instid0(SALU_CYCLE_1)
	s_or_b32 exec_lo, exec_lo, s3
	s_cbranch_execz .LBB92_13
	s_branch .LBB92_18
.LBB92_12:
                                        ; implicit-def: $vgpr6_vgpr7
                                        ; implicit-def: $vgpr10_vgpr11
.LBB92_13:
	v_mov_b32_e32 v6, 0
	v_mov_b32_e32 v7, 0
	s_delay_alu instid0(VALU_DEP_1)
	v_dual_mov_b32 v11, v7 :: v_dual_mov_b32 v10, v6
	s_and_saveexec_b32 s3, s2
	s_cbranch_execz .LBB92_17
; %bb.14:
	v_mov_b32_e32 v6, 0
	v_dual_mov_b32 v7, 0 :: v_dual_mov_b32 v14, 0
	v_mad_u64_u32 v[12:13], null, v8, 10, 9
	s_mov_b32 s2, 0
	s_delay_alu instid0(VALU_DEP_2)
	v_dual_mov_b32 v11, v7 :: v_dual_mov_b32 v10, v6
.LBB92_15:                              ; =>This Inner Loop Header: Depth=1
	v_ashrrev_i32_e32 v9, 31, v8
	s_delay_alu instid0(VALU_DEP_3) | instskip(SKIP_1) | instid1(VALU_DEP_3)
	v_add_nc_u32_e32 v13, -9, v12
	v_mov_b32_e32 v23, v14
	v_lshlrev_b64 v[15:16], 2, v[8:9]
	v_add_nc_u32_e32 v8, 8, v8
	s_delay_alu instid0(VALU_DEP_2) | instskip(NEXT) | instid1(VALU_DEP_3)
	v_add_co_u32 v15, vcc_lo, s6, v15
	v_add_co_ci_u32_e32 v16, vcc_lo, s7, v16, vcc_lo
	global_load_b32 v9, v[15:16], off
	v_dual_mov_b32 v16, v14 :: v_dual_add_nc_u32 v15, -4, v12
	v_lshlrev_b64 v[18:19], 3, v[13:14]
	s_delay_alu instid0(VALU_DEP_2) | instskip(NEXT) | instid1(VALU_DEP_2)
	v_lshlrev_b64 v[15:16], 3, v[15:16]
	v_add_co_u32 v18, vcc_lo, s8, v18
	s_delay_alu instid0(VALU_DEP_3) | instskip(NEXT) | instid1(VALU_DEP_3)
	v_add_co_ci_u32_e32 v19, vcc_lo, s9, v19, vcc_lo
	v_add_co_u32 v15, vcc_lo, s8, v15
	s_delay_alu instid0(VALU_DEP_4) | instskip(SKIP_2) | instid1(VALU_DEP_1)
	v_add_co_ci_u32_e32 v16, vcc_lo, s9, v16, vcc_lo
	s_waitcnt vmcnt(0)
	v_subrev_nc_u32_e32 v9, s12, v9
	v_lshl_add_u32 v22, v9, 2, v9
	s_delay_alu instid0(VALU_DEP_1) | instskip(SKIP_1) | instid1(VALU_DEP_1)
	v_lshlrev_b64 v[20:21], 3, v[22:23]
	v_add_nc_u32_e32 v13, 1, v22
	v_lshlrev_b64 v[25:26], 3, v[13:14]
	s_delay_alu instid0(VALU_DEP_3) | instskip(NEXT) | instid1(VALU_DEP_4)
	v_add_co_u32 v23, vcc_lo, s10, v20
	v_add_co_ci_u32_e32 v24, vcc_lo, s11, v21, vcc_lo
	s_clause 0x1
	global_load_b128 v[18:21], v[18:19], off
	global_load_b64 v[15:16], v[15:16], off
	global_load_b64 v[23:24], v[23:24], off
	v_add_nc_u32_e32 v13, -3, v12
	v_add_co_u32 v25, vcc_lo, s10, v25
	v_add_co_ci_u32_e32 v26, vcc_lo, s11, v26, vcc_lo
	s_delay_alu instid0(VALU_DEP_3) | instskip(SKIP_1) | instid1(VALU_DEP_2)
	v_lshlrev_b64 v[27:28], 3, v[13:14]
	v_add_nc_u32_e32 v13, -7, v12
	v_add_co_u32 v27, vcc_lo, s8, v27
	s_delay_alu instid0(VALU_DEP_3) | instskip(SKIP_4) | instid1(VALU_DEP_1)
	v_add_co_ci_u32_e32 v28, vcc_lo, s9, v28, vcc_lo
	global_load_b64 v[25:26], v[25:26], off
	global_load_b64 v[27:28], v[27:28], off
	v_lshlrev_b64 v[29:30], 3, v[13:14]
	v_add_nc_u32_e32 v13, 2, v22
	v_lshlrev_b64 v[31:32], 3, v[13:14]
	v_add_nc_u32_e32 v13, -2, v12
	s_delay_alu instid0(VALU_DEP_4) | instskip(SKIP_1) | instid1(VALU_DEP_3)
	v_add_co_u32 v29, vcc_lo, s8, v29
	v_add_co_ci_u32_e32 v30, vcc_lo, s9, v30, vcc_lo
	v_lshlrev_b64 v[33:34], 3, v[13:14]
	v_add_co_u32 v31, vcc_lo, s10, v31
	v_add_co_ci_u32_e32 v32, vcc_lo, s11, v32, vcc_lo
	v_add_nc_u32_e32 v13, -6, v12
	s_delay_alu instid0(VALU_DEP_4)
	v_add_co_u32 v33, vcc_lo, s8, v33
	v_add_co_ci_u32_e32 v34, vcc_lo, s9, v34, vcc_lo
	global_load_b64 v[29:30], v[29:30], off
	global_load_b64 v[31:32], v[31:32], off
	global_load_b64 v[33:34], v[33:34], off
	v_lshlrev_b64 v[35:36], 3, v[13:14]
	v_add_nc_u32_e32 v13, 3, v22
	s_delay_alu instid0(VALU_DEP_1) | instskip(SKIP_1) | instid1(VALU_DEP_4)
	v_lshlrev_b64 v[37:38], 3, v[13:14]
	v_add_nc_u32_e32 v13, -1, v12
	v_add_co_u32 v35, vcc_lo, s8, v35
	v_add_co_ci_u32_e32 v36, vcc_lo, s9, v36, vcc_lo
	s_delay_alu instid0(VALU_DEP_3) | instskip(SKIP_3) | instid1(VALU_DEP_4)
	v_lshlrev_b64 v[39:40], 3, v[13:14]
	v_add_co_u32 v37, vcc_lo, s10, v37
	v_add_co_ci_u32_e32 v38, vcc_lo, s11, v38, vcc_lo
	v_mov_b32_e32 v13, v14
	v_add_co_u32 v39, vcc_lo, s8, v39
	v_add_co_ci_u32_e32 v40, vcc_lo, s9, v40, vcc_lo
	global_load_b64 v[35:36], v[35:36], off
	global_load_b64 v[37:38], v[37:38], off
	;; [unrolled: 1-line block ×3, first 2 shown]
	v_lshlrev_b64 v[41:42], 3, v[12:13]
	v_add_nc_u32_e32 v13, -5, v12
	v_add_nc_u32_e32 v12, 0x50, v12
	s_delay_alu instid0(VALU_DEP_2) | instskip(SKIP_3) | instid1(VALU_DEP_3)
	v_lshlrev_b64 v[43:44], 3, v[13:14]
	v_add_nc_u32_e32 v13, 4, v22
	v_add_co_u32 v41, vcc_lo, s8, v41
	v_add_co_ci_u32_e32 v42, vcc_lo, s9, v42, vcc_lo
	v_lshlrev_b64 v[45:46], 3, v[13:14]
	v_add_co_u32 v43, vcc_lo, s8, v43
	v_add_co_ci_u32_e32 v44, vcc_lo, s9, v44, vcc_lo
	s_delay_alu instid0(VALU_DEP_3) | instskip(NEXT) | instid1(VALU_DEP_4)
	v_add_co_u32 v45, vcc_lo, s10, v45
	v_add_co_ci_u32_e32 v46, vcc_lo, s11, v46, vcc_lo
	s_clause 0x1
	global_load_b64 v[41:42], v[41:42], off
	global_load_b64 v[43:44], v[43:44], off
	;; [unrolled: 1-line block ×3, first 2 shown]
	v_cmp_ge_i32_e32 vcc_lo, v8, v17
	s_or_b32 s2, vcc_lo, s2
	s_waitcnt vmcnt(11)
	v_fma_f64 v[6:7], v[18:19], v[23:24], v[6:7]
	v_fma_f64 v[9:10], v[15:16], v[23:24], v[10:11]
	s_waitcnt vmcnt(10)
	s_delay_alu instid0(VALU_DEP_2) | instskip(SKIP_1) | instid1(VALU_DEP_2)
	v_fma_f64 v[6:7], v[20:21], v[25:26], v[6:7]
	s_waitcnt vmcnt(9)
	v_fma_f64 v[9:10], v[27:28], v[25:26], v[9:10]
	s_waitcnt vmcnt(7)
	s_delay_alu instid0(VALU_DEP_2) | instskip(SKIP_1) | instid1(VALU_DEP_2)
	v_fma_f64 v[6:7], v[29:30], v[31:32], v[6:7]
	s_waitcnt vmcnt(6)
	;; [unrolled: 5-line block ×3, first 2 shown]
	v_fma_f64 v[9:10], v[39:40], v[37:38], v[9:10]
	s_waitcnt vmcnt(0)
	s_delay_alu instid0(VALU_DEP_2) | instskip(NEXT) | instid1(VALU_DEP_2)
	v_fma_f64 v[6:7], v[43:44], v[45:46], v[6:7]
	v_fma_f64 v[10:11], v[41:42], v[45:46], v[9:10]
	s_and_not1_b32 exec_lo, exec_lo, s2
	s_cbranch_execnz .LBB92_15
; %bb.16:
	s_or_b32 exec_lo, exec_lo, s2
.LBB92_17:
	s_delay_alu instid0(SALU_CYCLE_1)
	s_or_b32 exec_lo, exec_lo, s3
.LBB92_18:
	v_mbcnt_lo_u32_b32 v14, -1, 0
	s_delay_alu instid0(VALU_DEP_1) | instskip(NEXT) | instid1(VALU_DEP_1)
	v_xor_b32_e32 v8, 4, v14
	v_cmp_gt_i32_e32 vcc_lo, 32, v8
	v_cndmask_b32_e32 v8, v14, v8, vcc_lo
	s_delay_alu instid0(VALU_DEP_1)
	v_lshlrev_b32_e32 v13, 2, v8
	ds_bpermute_b32 v8, v13, v6
	ds_bpermute_b32 v9, v13, v7
	;; [unrolled: 1-line block ×4, first 2 shown]
	s_waitcnt lgkmcnt(2)
	v_add_f64 v[6:7], v[6:7], v[8:9]
	s_waitcnt lgkmcnt(0)
	v_add_f64 v[8:9], v[10:11], v[12:13]
	v_xor_b32_e32 v10, 2, v14
	s_delay_alu instid0(VALU_DEP_1) | instskip(SKIP_1) | instid1(VALU_DEP_1)
	v_cmp_gt_i32_e32 vcc_lo, 32, v10
	v_cndmask_b32_e32 v10, v14, v10, vcc_lo
	v_lshlrev_b32_e32 v13, 2, v10
	ds_bpermute_b32 v10, v13, v6
	ds_bpermute_b32 v11, v13, v7
	;; [unrolled: 1-line block ×4, first 2 shown]
	s_waitcnt lgkmcnt(2)
	v_add_f64 v[6:7], v[6:7], v[10:11]
	s_waitcnt lgkmcnt(0)
	v_add_f64 v[10:11], v[8:9], v[12:13]
	v_xor_b32_e32 v8, 1, v14
	s_delay_alu instid0(VALU_DEP_1) | instskip(SKIP_2) | instid1(VALU_DEP_2)
	v_cmp_gt_i32_e32 vcc_lo, 32, v8
	v_cndmask_b32_e32 v8, v14, v8, vcc_lo
	v_cmp_eq_u32_e32 vcc_lo, 7, v0
	v_lshlrev_b32_e32 v13, 2, v8
	ds_bpermute_b32 v8, v13, v6
	ds_bpermute_b32 v9, v13, v7
	ds_bpermute_b32 v12, v13, v10
	ds_bpermute_b32 v13, v13, v11
	s_and_b32 exec_lo, exec_lo, vcc_lo
	s_cbranch_execz .LBB92_23
; %bb.19:
	s_waitcnt lgkmcnt(2)
	v_add_f64 v[8:9], v[6:7], v[8:9]
	s_waitcnt lgkmcnt(0)
	v_add_f64 v[6:7], v[10:11], v[12:13]
	s_load_b64 s[0:1], s[0:1], 0x38
	s_mov_b32 s2, exec_lo
	v_cmpx_eq_f64_e32 0, v[3:4]
	s_xor_b32 s2, exec_lo, s2
	s_cbranch_execz .LBB92_21
; %bb.20:
	s_delay_alu instid0(VALU_DEP_3) | instskip(NEXT) | instid1(VALU_DEP_3)
	v_mul_f64 v[8:9], v[1:2], v[8:9]
	v_mul_f64 v[10:11], v[1:2], v[6:7]
	v_lshlrev_b32_e32 v0, 1, v5
                                        ; implicit-def: $vgpr5
                                        ; implicit-def: $vgpr3_vgpr4
                                        ; implicit-def: $vgpr6_vgpr7
	s_delay_alu instid0(VALU_DEP_1) | instskip(NEXT) | instid1(VALU_DEP_1)
	v_ashrrev_i32_e32 v1, 31, v0
	v_lshlrev_b64 v[0:1], 3, v[0:1]
	s_waitcnt lgkmcnt(0)
	s_delay_alu instid0(VALU_DEP_1) | instskip(NEXT) | instid1(VALU_DEP_2)
	v_add_co_u32 v0, vcc_lo, s0, v0
	v_add_co_ci_u32_e32 v1, vcc_lo, s1, v1, vcc_lo
	global_store_b128 v[0:1], v[8:11], off
                                        ; implicit-def: $vgpr1_vgpr2
                                        ; implicit-def: $vgpr8_vgpr9
.LBB92_21:
	s_and_not1_saveexec_b32 s2, s2
	s_cbranch_execz .LBB92_23
; %bb.22:
	v_lshlrev_b32_e32 v10, 1, v5
	s_delay_alu instid0(VALU_DEP_4) | instskip(NEXT) | instid1(VALU_DEP_4)
	v_mul_f64 v[8:9], v[1:2], v[8:9]
	v_mul_f64 v[5:6], v[1:2], v[6:7]
	s_delay_alu instid0(VALU_DEP_3) | instskip(NEXT) | instid1(VALU_DEP_1)
	v_ashrrev_i32_e32 v11, 31, v10
	v_lshlrev_b64 v[10:11], 3, v[10:11]
	s_waitcnt lgkmcnt(0)
	s_delay_alu instid0(VALU_DEP_1) | instskip(NEXT) | instid1(VALU_DEP_2)
	v_add_co_u32 v14, vcc_lo, s0, v10
	v_add_co_ci_u32_e32 v15, vcc_lo, s1, v11, vcc_lo
	global_load_b128 v[10:13], v[14:15], off
	s_waitcnt vmcnt(0)
	v_fma_f64 v[0:1], v[3:4], v[10:11], v[8:9]
	v_fma_f64 v[2:3], v[3:4], v[12:13], v[5:6]
	global_store_b128 v[14:15], v[0:3], off
.LBB92_23:
	s_nop 0
	s_sendmsg sendmsg(MSG_DEALLOC_VGPRS)
	s_endpgm
	.section	.rodata,"a",@progbits
	.p2align	6, 0x0
	.amdhsa_kernel _ZN9rocsparseL19gebsrmvn_2xn_kernelILj128ELj5ELj8EdEEvi20rocsparse_direction_NS_24const_host_device_scalarIT2_EEPKiS6_PKS3_S8_S4_PS3_21rocsparse_index_base_b
		.amdhsa_group_segment_fixed_size 0
		.amdhsa_private_segment_fixed_size 0
		.amdhsa_kernarg_size 72
		.amdhsa_user_sgpr_count 15
		.amdhsa_user_sgpr_dispatch_ptr 0
		.amdhsa_user_sgpr_queue_ptr 0
		.amdhsa_user_sgpr_kernarg_segment_ptr 1
		.amdhsa_user_sgpr_dispatch_id 0
		.amdhsa_user_sgpr_private_segment_size 0
		.amdhsa_wavefront_size32 1
		.amdhsa_uses_dynamic_stack 0
		.amdhsa_enable_private_segment 0
		.amdhsa_system_sgpr_workgroup_id_x 1
		.amdhsa_system_sgpr_workgroup_id_y 0
		.amdhsa_system_sgpr_workgroup_id_z 0
		.amdhsa_system_sgpr_workgroup_info 0
		.amdhsa_system_vgpr_workitem_id 0
		.amdhsa_next_free_vgpr 48
		.amdhsa_next_free_sgpr 16
		.amdhsa_reserve_vcc 1
		.amdhsa_float_round_mode_32 0
		.amdhsa_float_round_mode_16_64 0
		.amdhsa_float_denorm_mode_32 3
		.amdhsa_float_denorm_mode_16_64 3
		.amdhsa_dx10_clamp 1
		.amdhsa_ieee_mode 1
		.amdhsa_fp16_overflow 0
		.amdhsa_workgroup_processor_mode 1
		.amdhsa_memory_ordered 1
		.amdhsa_forward_progress 0
		.amdhsa_shared_vgpr_count 0
		.amdhsa_exception_fp_ieee_invalid_op 0
		.amdhsa_exception_fp_denorm_src 0
		.amdhsa_exception_fp_ieee_div_zero 0
		.amdhsa_exception_fp_ieee_overflow 0
		.amdhsa_exception_fp_ieee_underflow 0
		.amdhsa_exception_fp_ieee_inexact 0
		.amdhsa_exception_int_div_zero 0
	.end_amdhsa_kernel
	.section	.text._ZN9rocsparseL19gebsrmvn_2xn_kernelILj128ELj5ELj8EdEEvi20rocsparse_direction_NS_24const_host_device_scalarIT2_EEPKiS6_PKS3_S8_S4_PS3_21rocsparse_index_base_b,"axG",@progbits,_ZN9rocsparseL19gebsrmvn_2xn_kernelILj128ELj5ELj8EdEEvi20rocsparse_direction_NS_24const_host_device_scalarIT2_EEPKiS6_PKS3_S8_S4_PS3_21rocsparse_index_base_b,comdat
.Lfunc_end92:
	.size	_ZN9rocsparseL19gebsrmvn_2xn_kernelILj128ELj5ELj8EdEEvi20rocsparse_direction_NS_24const_host_device_scalarIT2_EEPKiS6_PKS3_S8_S4_PS3_21rocsparse_index_base_b, .Lfunc_end92-_ZN9rocsparseL19gebsrmvn_2xn_kernelILj128ELj5ELj8EdEEvi20rocsparse_direction_NS_24const_host_device_scalarIT2_EEPKiS6_PKS3_S8_S4_PS3_21rocsparse_index_base_b
                                        ; -- End function
	.section	.AMDGPU.csdata,"",@progbits
; Kernel info:
; codeLenInByte = 2188
; NumSgprs: 18
; NumVgprs: 48
; ScratchSize: 0
; MemoryBound: 0
; FloatMode: 240
; IeeeMode: 1
; LDSByteSize: 0 bytes/workgroup (compile time only)
; SGPRBlocks: 2
; VGPRBlocks: 5
; NumSGPRsForWavesPerEU: 18
; NumVGPRsForWavesPerEU: 48
; Occupancy: 16
; WaveLimiterHint : 1
; COMPUTE_PGM_RSRC2:SCRATCH_EN: 0
; COMPUTE_PGM_RSRC2:USER_SGPR: 15
; COMPUTE_PGM_RSRC2:TRAP_HANDLER: 0
; COMPUTE_PGM_RSRC2:TGID_X_EN: 1
; COMPUTE_PGM_RSRC2:TGID_Y_EN: 0
; COMPUTE_PGM_RSRC2:TGID_Z_EN: 0
; COMPUTE_PGM_RSRC2:TIDIG_COMP_CNT: 0
	.section	.text._ZN9rocsparseL19gebsrmvn_2xn_kernelILj128ELj5ELj16EdEEvi20rocsparse_direction_NS_24const_host_device_scalarIT2_EEPKiS6_PKS3_S8_S4_PS3_21rocsparse_index_base_b,"axG",@progbits,_ZN9rocsparseL19gebsrmvn_2xn_kernelILj128ELj5ELj16EdEEvi20rocsparse_direction_NS_24const_host_device_scalarIT2_EEPKiS6_PKS3_S8_S4_PS3_21rocsparse_index_base_b,comdat
	.globl	_ZN9rocsparseL19gebsrmvn_2xn_kernelILj128ELj5ELj16EdEEvi20rocsparse_direction_NS_24const_host_device_scalarIT2_EEPKiS6_PKS3_S8_S4_PS3_21rocsparse_index_base_b ; -- Begin function _ZN9rocsparseL19gebsrmvn_2xn_kernelILj128ELj5ELj16EdEEvi20rocsparse_direction_NS_24const_host_device_scalarIT2_EEPKiS6_PKS3_S8_S4_PS3_21rocsparse_index_base_b
	.p2align	8
	.type	_ZN9rocsparseL19gebsrmvn_2xn_kernelILj128ELj5ELj16EdEEvi20rocsparse_direction_NS_24const_host_device_scalarIT2_EEPKiS6_PKS3_S8_S4_PS3_21rocsparse_index_base_b,@function
_ZN9rocsparseL19gebsrmvn_2xn_kernelILj128ELj5ELj16EdEEvi20rocsparse_direction_NS_24const_host_device_scalarIT2_EEPKiS6_PKS3_S8_S4_PS3_21rocsparse_index_base_b: ; @_ZN9rocsparseL19gebsrmvn_2xn_kernelILj128ELj5ELj16EdEEvi20rocsparse_direction_NS_24const_host_device_scalarIT2_EEPKiS6_PKS3_S8_S4_PS3_21rocsparse_index_base_b
; %bb.0:
	s_clause 0x2
	s_load_b64 s[12:13], s[0:1], 0x40
	s_load_b64 s[4:5], s[0:1], 0x8
	s_load_b64 s[2:3], s[0:1], 0x30
	s_waitcnt lgkmcnt(0)
	s_bitcmp1_b32 s13, 0
	v_dual_mov_b32 v1, s4 :: v_dual_mov_b32 v2, s5
	s_cselect_b32 s6, -1, 0
	s_delay_alu instid0(SALU_CYCLE_1)
	s_and_b32 vcc_lo, exec_lo, s6
	s_xor_b32 s6, s6, -1
	s_cbranch_vccnz .LBB93_2
; %bb.1:
	v_dual_mov_b32 v1, s4 :: v_dual_mov_b32 v2, s5
	flat_load_b64 v[1:2], v[1:2]
.LBB93_2:
	v_dual_mov_b32 v4, s3 :: v_dual_mov_b32 v3, s2
	s_and_not1_b32 vcc_lo, exec_lo, s6
	s_cbranch_vccnz .LBB93_4
; %bb.3:
	v_dual_mov_b32 v4, s3 :: v_dual_mov_b32 v3, s2
	flat_load_b64 v[3:4], v[3:4]
.LBB93_4:
	s_waitcnt vmcnt(0) lgkmcnt(0)
	v_cmp_neq_f64_e32 vcc_lo, 0, v[1:2]
	v_cmp_neq_f64_e64 s2, 1.0, v[3:4]
	s_delay_alu instid0(VALU_DEP_1) | instskip(NEXT) | instid1(SALU_CYCLE_1)
	s_or_b32 s2, vcc_lo, s2
	s_and_saveexec_b32 s3, s2
	s_cbranch_execz .LBB93_23
; %bb.5:
	s_load_b64 s[2:3], s[0:1], 0x0
	v_lshrrev_b32_e32 v5, 4, v0
	s_delay_alu instid0(VALU_DEP_1) | instskip(SKIP_1) | instid1(VALU_DEP_1)
	v_lshl_or_b32 v5, s15, 3, v5
	s_waitcnt lgkmcnt(0)
	v_cmp_gt_i32_e32 vcc_lo, s2, v5
	s_and_b32 exec_lo, exec_lo, vcc_lo
	s_cbranch_execz .LBB93_23
; %bb.6:
	s_load_b256 s[4:11], s[0:1], 0x10
	v_ashrrev_i32_e32 v6, 31, v5
	v_and_b32_e32 v0, 15, v0
	s_cmp_lg_u32 s3, 0
	s_delay_alu instid0(VALU_DEP_2) | instskip(SKIP_1) | instid1(VALU_DEP_1)
	v_lshlrev_b64 v[6:7], 2, v[5:6]
	s_waitcnt lgkmcnt(0)
	v_add_co_u32 v6, vcc_lo, s4, v6
	s_delay_alu instid0(VALU_DEP_2) | instskip(SKIP_4) | instid1(VALU_DEP_2)
	v_add_co_ci_u32_e32 v7, vcc_lo, s5, v7, vcc_lo
	global_load_b64 v[6:7], v[6:7], off
	s_waitcnt vmcnt(0)
	v_subrev_nc_u32_e32 v6, s12, v6
	v_subrev_nc_u32_e32 v16, s12, v7
	v_add_nc_u32_e32 v10, v6, v0
	s_delay_alu instid0(VALU_DEP_1)
	v_cmp_lt_i32_e64 s2, v10, v16
	s_cbranch_scc0 .LBB93_12
; %bb.7:
	v_mov_b32_e32 v6, 0
	v_mov_b32_e32 v7, 0
	s_delay_alu instid0(VALU_DEP_1)
	v_dual_mov_b32 v9, v7 :: v_dual_mov_b32 v8, v6
	s_and_saveexec_b32 s3, s2
	s_cbranch_execz .LBB93_11
; %bb.8:
	v_dual_mov_b32 v6, 0 :: v_dual_mov_b32 v13, 0
	v_dual_mov_b32 v7, 0 :: v_dual_mov_b32 v14, v10
	v_mad_u64_u32 v[11:12], null, v10, 10, 8
	s_mov_b32 s4, 0
	s_delay_alu instid0(VALU_DEP_2)
	v_dual_mov_b32 v9, v7 :: v_dual_mov_b32 v8, v6
.LBB93_9:                               ; =>This Inner Loop Header: Depth=1
	s_delay_alu instid0(VALU_DEP_3) | instskip(NEXT) | instid1(VALU_DEP_3)
	v_ashrrev_i32_e32 v15, 31, v14
	v_add_nc_u32_e32 v12, -8, v11
	v_mov_b32_e32 v34, v13
	s_delay_alu instid0(VALU_DEP_3) | instskip(SKIP_1) | instid1(VALU_DEP_2)
	v_lshlrev_b64 v[17:18], 2, v[14:15]
	v_add_nc_u32_e32 v14, 16, v14
	v_add_co_u32 v17, vcc_lo, s6, v17
	s_delay_alu instid0(VALU_DEP_3) | instskip(SKIP_3) | instid1(VALU_DEP_2)
	v_add_co_ci_u32_e32 v18, vcc_lo, s7, v18, vcc_lo
	global_load_b32 v15, v[17:18], off
	v_lshlrev_b64 v[17:18], 3, v[12:13]
	v_add_nc_u32_e32 v12, -6, v11
	v_add_co_u32 v17, vcc_lo, s8, v17
	s_delay_alu instid0(VALU_DEP_3) | instskip(SKIP_2) | instid1(VALU_DEP_1)
	v_add_co_ci_u32_e32 v18, vcc_lo, s9, v18, vcc_lo
	s_waitcnt vmcnt(0)
	v_subrev_nc_u32_e32 v15, s12, v15
	v_lshl_add_u32 v33, v15, 2, v15
	s_delay_alu instid0(VALU_DEP_1) | instskip(NEXT) | instid1(VALU_DEP_1)
	v_lshlrev_b64 v[19:20], 3, v[33:34]
	v_add_co_u32 v21, vcc_lo, s10, v19
	s_delay_alu instid0(VALU_DEP_2) | instskip(SKIP_4) | instid1(VALU_DEP_1)
	v_add_co_ci_u32_e32 v22, vcc_lo, s11, v20, vcc_lo
	global_load_b128 v[17:20], v[17:18], off
	global_load_b64 v[37:38], v[21:22], off
	v_lshlrev_b64 v[21:22], 3, v[12:13]
	v_add_nc_u32_e32 v12, 1, v33
	v_lshlrev_b64 v[23:24], 3, v[12:13]
	s_delay_alu instid0(VALU_DEP_3) | instskip(NEXT) | instid1(VALU_DEP_4)
	v_add_co_u32 v21, vcc_lo, s8, v21
	v_add_co_ci_u32_e32 v22, vcc_lo, s9, v22, vcc_lo
	v_add_nc_u32_e32 v12, -4, v11
	s_delay_alu instid0(VALU_DEP_4)
	v_add_co_u32 v25, vcc_lo, s10, v23
	v_add_co_ci_u32_e32 v26, vcc_lo, s11, v24, vcc_lo
	global_load_b128 v[21:24], v[21:22], off
	global_load_b64 v[39:40], v[25:26], off
	v_lshlrev_b64 v[25:26], 3, v[12:13]
	v_add_nc_u32_e32 v12, 2, v33
	s_delay_alu instid0(VALU_DEP_1) | instskip(NEXT) | instid1(VALU_DEP_3)
	v_lshlrev_b64 v[27:28], 3, v[12:13]
	v_add_co_u32 v25, vcc_lo, s8, v25
	s_delay_alu instid0(VALU_DEP_4) | instskip(SKIP_1) | instid1(VALU_DEP_4)
	v_add_co_ci_u32_e32 v26, vcc_lo, s9, v26, vcc_lo
	v_add_nc_u32_e32 v12, -2, v11
	v_add_co_u32 v29, vcc_lo, s10, v27
	v_add_co_ci_u32_e32 v30, vcc_lo, s11, v28, vcc_lo
	global_load_b128 v[25:28], v[25:26], off
	global_load_b64 v[41:42], v[29:30], off
	v_lshlrev_b64 v[29:30], 3, v[12:13]
	v_add_nc_u32_e32 v12, 3, v33
	s_delay_alu instid0(VALU_DEP_1) | instskip(NEXT) | instid1(VALU_DEP_3)
	v_lshlrev_b64 v[31:32], 3, v[12:13]
	v_add_co_u32 v29, vcc_lo, s8, v29
	s_delay_alu instid0(VALU_DEP_4) | instskip(SKIP_1) | instid1(VALU_DEP_4)
	v_add_co_ci_u32_e32 v30, vcc_lo, s9, v30, vcc_lo
	v_mov_b32_e32 v12, v13
	v_add_co_u32 v34, vcc_lo, s10, v31
	v_add_co_ci_u32_e32 v35, vcc_lo, s11, v32, vcc_lo
	global_load_b128 v[29:32], v[29:30], off
	global_load_b64 v[43:44], v[34:35], off
	v_lshlrev_b64 v[34:35], 3, v[11:12]
	v_add_nc_u32_e32 v11, 0xa0, v11
	v_add_nc_u32_e32 v12, 4, v33
	s_delay_alu instid0(VALU_DEP_3) | instskip(NEXT) | instid1(VALU_DEP_2)
	v_add_co_u32 v33, vcc_lo, s8, v34
	v_lshlrev_b64 v[45:46], 3, v[12:13]
	v_add_co_ci_u32_e32 v34, vcc_lo, s9, v35, vcc_lo
	s_delay_alu instid0(VALU_DEP_2) | instskip(NEXT) | instid1(VALU_DEP_3)
	v_add_co_u32 v45, vcc_lo, s10, v45
	v_add_co_ci_u32_e32 v46, vcc_lo, s11, v46, vcc_lo
	global_load_b128 v[33:36], v[33:34], off
	global_load_b64 v[45:46], v[45:46], off
	v_cmp_ge_i32_e32 vcc_lo, v14, v16
	s_or_b32 s4, vcc_lo, s4
	s_waitcnt vmcnt(8)
	v_fma_f64 v[6:7], v[17:18], v[37:38], v[6:7]
	v_fma_f64 v[8:9], v[19:20], v[37:38], v[8:9]
	s_waitcnt vmcnt(6)
	s_delay_alu instid0(VALU_DEP_2) | instskip(NEXT) | instid1(VALU_DEP_2)
	v_fma_f64 v[6:7], v[21:22], v[39:40], v[6:7]
	v_fma_f64 v[8:9], v[23:24], v[39:40], v[8:9]
	s_waitcnt vmcnt(4)
	s_delay_alu instid0(VALU_DEP_2) | instskip(NEXT) | instid1(VALU_DEP_2)
	;; [unrolled: 4-line block ×4, first 2 shown]
	v_fma_f64 v[6:7], v[33:34], v[45:46], v[6:7]
	v_fma_f64 v[8:9], v[35:36], v[45:46], v[8:9]
	s_and_not1_b32 exec_lo, exec_lo, s4
	s_cbranch_execnz .LBB93_9
; %bb.10:
	s_or_b32 exec_lo, exec_lo, s4
.LBB93_11:
	s_delay_alu instid0(SALU_CYCLE_1)
	s_or_b32 exec_lo, exec_lo, s3
	s_cbranch_execz .LBB93_13
	s_branch .LBB93_18
.LBB93_12:
                                        ; implicit-def: $vgpr6_vgpr7
                                        ; implicit-def: $vgpr8_vgpr9
.LBB93_13:
	v_mov_b32_e32 v6, 0
	v_mov_b32_e32 v7, 0
	s_delay_alu instid0(VALU_DEP_1)
	v_dual_mov_b32 v9, v7 :: v_dual_mov_b32 v8, v6
	s_and_saveexec_b32 s3, s2
	s_cbranch_execz .LBB93_17
; %bb.14:
	v_mov_b32_e32 v6, 0
	v_dual_mov_b32 v7, 0 :: v_dual_mov_b32 v14, 0
	v_mad_u64_u32 v[12:13], null, v10, 10, 9
	s_mov_b32 s2, 0
	s_delay_alu instid0(VALU_DEP_2)
	v_dual_mov_b32 v9, v7 :: v_dual_mov_b32 v8, v6
.LBB93_15:                              ; =>This Inner Loop Header: Depth=1
	v_ashrrev_i32_e32 v11, 31, v10
	s_delay_alu instid0(VALU_DEP_3) | instskip(NEXT) | instid1(VALU_DEP_2)
	v_dual_mov_b32 v22, v14 :: v_dual_add_nc_u32 v13, -9, v12
	v_lshlrev_b64 v[17:18], 2, v[10:11]
	s_delay_alu instid0(VALU_DEP_2) | instskip(SKIP_1) | instid1(VALU_DEP_3)
	v_lshlrev_b64 v[19:20], 3, v[13:14]
	v_add_nc_u32_e32 v10, 16, v10
	v_add_co_u32 v17, vcc_lo, s6, v17
	s_delay_alu instid0(VALU_DEP_4) | instskip(NEXT) | instid1(VALU_DEP_4)
	v_add_co_ci_u32_e32 v18, vcc_lo, s7, v18, vcc_lo
	v_add_co_u32 v19, vcc_lo, s8, v19
	v_add_co_ci_u32_e32 v20, vcc_lo, s9, v20, vcc_lo
	global_load_b32 v11, v[17:18], off
	v_dual_mov_b32 v18, v14 :: v_dual_add_nc_u32 v17, -4, v12
	s_delay_alu instid0(VALU_DEP_1) | instskip(NEXT) | instid1(VALU_DEP_1)
	v_lshlrev_b64 v[17:18], 3, v[17:18]
	v_add_co_u32 v23, vcc_lo, s8, v17
	s_delay_alu instid0(VALU_DEP_2) | instskip(SKIP_2) | instid1(VALU_DEP_1)
	v_add_co_ci_u32_e32 v24, vcc_lo, s9, v18, vcc_lo
	s_waitcnt vmcnt(0)
	v_subrev_nc_u32_e32 v11, s12, v11
	v_lshl_add_u32 v21, v11, 2, v11
	s_delay_alu instid0(VALU_DEP_1) | instskip(SKIP_1) | instid1(VALU_DEP_2)
	v_lshlrev_b64 v[25:26], 3, v[21:22]
	v_add_nc_u32_e32 v13, 1, v21
	v_add_co_u32 v25, vcc_lo, s10, v25
	s_delay_alu instid0(VALU_DEP_3)
	v_add_co_ci_u32_e32 v26, vcc_lo, s11, v26, vcc_lo
	s_clause 0x1
	global_load_b128 v[17:20], v[19:20], off
	global_load_b64 v[22:23], v[23:24], off
	global_load_b64 v[24:25], v[25:26], off
	v_lshlrev_b64 v[26:27], 3, v[13:14]
	v_add_nc_u32_e32 v13, -3, v12
	s_delay_alu instid0(VALU_DEP_1) | instskip(NEXT) | instid1(VALU_DEP_3)
	v_lshlrev_b64 v[28:29], 3, v[13:14]
	v_add_co_u32 v26, vcc_lo, s10, v26
	s_delay_alu instid0(VALU_DEP_4) | instskip(SKIP_1) | instid1(VALU_DEP_4)
	v_add_co_ci_u32_e32 v27, vcc_lo, s11, v27, vcc_lo
	v_add_nc_u32_e32 v13, -7, v12
	v_add_co_u32 v28, vcc_lo, s8, v28
	v_add_co_ci_u32_e32 v29, vcc_lo, s9, v29, vcc_lo
	global_load_b64 v[26:27], v[26:27], off
	global_load_b64 v[28:29], v[28:29], off
	v_lshlrev_b64 v[30:31], 3, v[13:14]
	v_add_nc_u32_e32 v13, 2, v21
	s_delay_alu instid0(VALU_DEP_1) | instskip(SKIP_1) | instid1(VALU_DEP_4)
	v_lshlrev_b64 v[32:33], 3, v[13:14]
	v_add_nc_u32_e32 v13, -2, v12
	v_add_co_u32 v30, vcc_lo, s8, v30
	v_add_co_ci_u32_e32 v31, vcc_lo, s9, v31, vcc_lo
	s_delay_alu instid0(VALU_DEP_3) | instskip(SKIP_3) | instid1(VALU_DEP_4)
	v_lshlrev_b64 v[34:35], 3, v[13:14]
	v_add_co_u32 v32, vcc_lo, s10, v32
	v_add_co_ci_u32_e32 v33, vcc_lo, s11, v33, vcc_lo
	v_add_nc_u32_e32 v13, -6, v12
	v_add_co_u32 v34, vcc_lo, s8, v34
	v_add_co_ci_u32_e32 v35, vcc_lo, s9, v35, vcc_lo
	global_load_b64 v[30:31], v[30:31], off
	global_load_b64 v[32:33], v[32:33], off
	;; [unrolled: 1-line block ×3, first 2 shown]
	v_lshlrev_b64 v[36:37], 3, v[13:14]
	v_add_nc_u32_e32 v13, 3, v21
	s_delay_alu instid0(VALU_DEP_1) | instskip(SKIP_1) | instid1(VALU_DEP_4)
	v_lshlrev_b64 v[38:39], 3, v[13:14]
	v_add_nc_u32_e32 v13, -1, v12
	v_add_co_u32 v36, vcc_lo, s8, v36
	v_add_co_ci_u32_e32 v37, vcc_lo, s9, v37, vcc_lo
	s_delay_alu instid0(VALU_DEP_3) | instskip(SKIP_3) | instid1(VALU_DEP_4)
	v_lshlrev_b64 v[40:41], 3, v[13:14]
	v_add_co_u32 v38, vcc_lo, s10, v38
	v_add_co_ci_u32_e32 v39, vcc_lo, s11, v39, vcc_lo
	v_mov_b32_e32 v13, v14
	v_add_co_u32 v40, vcc_lo, s8, v40
	v_add_co_ci_u32_e32 v41, vcc_lo, s9, v41, vcc_lo
	global_load_b64 v[36:37], v[36:37], off
	global_load_b64 v[38:39], v[38:39], off
	;; [unrolled: 1-line block ×3, first 2 shown]
	v_lshlrev_b64 v[42:43], 3, v[12:13]
	v_add_nc_u32_e32 v13, -5, v12
	v_add_nc_u32_e32 v12, 0xa0, v12
	s_delay_alu instid0(VALU_DEP_2) | instskip(SKIP_3) | instid1(VALU_DEP_3)
	v_lshlrev_b64 v[44:45], 3, v[13:14]
	v_add_nc_u32_e32 v13, 4, v21
	v_add_co_u32 v42, vcc_lo, s8, v42
	v_add_co_ci_u32_e32 v43, vcc_lo, s9, v43, vcc_lo
	v_lshlrev_b64 v[46:47], 3, v[13:14]
	v_add_co_u32 v44, vcc_lo, s8, v44
	v_add_co_ci_u32_e32 v45, vcc_lo, s9, v45, vcc_lo
	s_delay_alu instid0(VALU_DEP_3) | instskip(NEXT) | instid1(VALU_DEP_4)
	v_add_co_u32 v46, vcc_lo, s10, v46
	v_add_co_ci_u32_e32 v47, vcc_lo, s11, v47, vcc_lo
	s_clause 0x1
	global_load_b64 v[42:43], v[42:43], off
	global_load_b64 v[44:45], v[44:45], off
	;; [unrolled: 1-line block ×3, first 2 shown]
	v_cmp_ge_i32_e32 vcc_lo, v10, v16
	s_or_b32 s2, vcc_lo, s2
	s_waitcnt vmcnt(11)
	v_fma_f64 v[6:7], v[17:18], v[24:25], v[6:7]
	v_fma_f64 v[8:9], v[22:23], v[24:25], v[8:9]
	s_waitcnt vmcnt(10)
	s_delay_alu instid0(VALU_DEP_2) | instskip(SKIP_1) | instid1(VALU_DEP_2)
	v_fma_f64 v[6:7], v[19:20], v[26:27], v[6:7]
	s_waitcnt vmcnt(9)
	v_fma_f64 v[8:9], v[28:29], v[26:27], v[8:9]
	s_waitcnt vmcnt(7)
	s_delay_alu instid0(VALU_DEP_2) | instskip(SKIP_1) | instid1(VALU_DEP_2)
	v_fma_f64 v[6:7], v[30:31], v[32:33], v[6:7]
	s_waitcnt vmcnt(6)
	;; [unrolled: 5-line block ×3, first 2 shown]
	v_fma_f64 v[8:9], v[40:41], v[38:39], v[8:9]
	s_waitcnt vmcnt(0)
	s_delay_alu instid0(VALU_DEP_2) | instskip(NEXT) | instid1(VALU_DEP_2)
	v_fma_f64 v[6:7], v[44:45], v[46:47], v[6:7]
	v_fma_f64 v[8:9], v[42:43], v[46:47], v[8:9]
	s_and_not1_b32 exec_lo, exec_lo, s2
	s_cbranch_execnz .LBB93_15
; %bb.16:
	s_or_b32 exec_lo, exec_lo, s2
.LBB93_17:
	s_delay_alu instid0(SALU_CYCLE_1)
	s_or_b32 exec_lo, exec_lo, s3
.LBB93_18:
	v_mbcnt_lo_u32_b32 v14, -1, 0
	s_delay_alu instid0(VALU_DEP_1) | instskip(NEXT) | instid1(VALU_DEP_1)
	v_xor_b32_e32 v10, 8, v14
	v_cmp_gt_i32_e32 vcc_lo, 32, v10
	v_cndmask_b32_e32 v10, v14, v10, vcc_lo
	s_delay_alu instid0(VALU_DEP_1)
	v_lshlrev_b32_e32 v13, 2, v10
	ds_bpermute_b32 v10, v13, v6
	ds_bpermute_b32 v11, v13, v7
	;; [unrolled: 1-line block ×4, first 2 shown]
	s_waitcnt lgkmcnt(2)
	v_add_f64 v[6:7], v[6:7], v[10:11]
	v_xor_b32_e32 v10, 4, v14
	s_waitcnt lgkmcnt(0)
	v_add_f64 v[8:9], v[8:9], v[12:13]
	s_delay_alu instid0(VALU_DEP_2) | instskip(SKIP_1) | instid1(VALU_DEP_1)
	v_cmp_gt_i32_e32 vcc_lo, 32, v10
	v_cndmask_b32_e32 v10, v14, v10, vcc_lo
	v_lshlrev_b32_e32 v13, 2, v10
	ds_bpermute_b32 v10, v13, v6
	ds_bpermute_b32 v11, v13, v7
	;; [unrolled: 1-line block ×4, first 2 shown]
	s_waitcnt lgkmcnt(2)
	v_add_f64 v[6:7], v[6:7], v[10:11]
	v_xor_b32_e32 v10, 2, v14
	s_waitcnt lgkmcnt(0)
	v_add_f64 v[8:9], v[8:9], v[12:13]
	s_delay_alu instid0(VALU_DEP_2) | instskip(SKIP_1) | instid1(VALU_DEP_1)
	v_cmp_gt_i32_e32 vcc_lo, 32, v10
	v_cndmask_b32_e32 v10, v14, v10, vcc_lo
	v_lshlrev_b32_e32 v13, 2, v10
	ds_bpermute_b32 v10, v13, v6
	ds_bpermute_b32 v11, v13, v7
	;; [unrolled: 1-line block ×4, first 2 shown]
	s_waitcnt lgkmcnt(2)
	v_add_f64 v[6:7], v[6:7], v[10:11]
	s_waitcnt lgkmcnt(0)
	v_add_f64 v[10:11], v[8:9], v[12:13]
	v_xor_b32_e32 v8, 1, v14
	s_delay_alu instid0(VALU_DEP_1) | instskip(SKIP_2) | instid1(VALU_DEP_2)
	v_cmp_gt_i32_e32 vcc_lo, 32, v8
	v_cndmask_b32_e32 v8, v14, v8, vcc_lo
	v_cmp_eq_u32_e32 vcc_lo, 15, v0
	v_lshlrev_b32_e32 v13, 2, v8
	ds_bpermute_b32 v8, v13, v6
	ds_bpermute_b32 v9, v13, v7
	;; [unrolled: 1-line block ×4, first 2 shown]
	s_and_b32 exec_lo, exec_lo, vcc_lo
	s_cbranch_execz .LBB93_23
; %bb.19:
	s_waitcnt lgkmcnt(2)
	v_add_f64 v[8:9], v[6:7], v[8:9]
	s_waitcnt lgkmcnt(0)
	v_add_f64 v[6:7], v[10:11], v[12:13]
	s_load_b64 s[0:1], s[0:1], 0x38
	s_mov_b32 s2, exec_lo
	v_cmpx_eq_f64_e32 0, v[3:4]
	s_xor_b32 s2, exec_lo, s2
	s_cbranch_execz .LBB93_21
; %bb.20:
	s_delay_alu instid0(VALU_DEP_3) | instskip(NEXT) | instid1(VALU_DEP_3)
	v_mul_f64 v[8:9], v[1:2], v[8:9]
	v_mul_f64 v[10:11], v[1:2], v[6:7]
	v_lshlrev_b32_e32 v0, 1, v5
                                        ; implicit-def: $vgpr5
                                        ; implicit-def: $vgpr3_vgpr4
                                        ; implicit-def: $vgpr6_vgpr7
	s_delay_alu instid0(VALU_DEP_1) | instskip(NEXT) | instid1(VALU_DEP_1)
	v_ashrrev_i32_e32 v1, 31, v0
	v_lshlrev_b64 v[0:1], 3, v[0:1]
	s_waitcnt lgkmcnt(0)
	s_delay_alu instid0(VALU_DEP_1) | instskip(NEXT) | instid1(VALU_DEP_2)
	v_add_co_u32 v0, vcc_lo, s0, v0
	v_add_co_ci_u32_e32 v1, vcc_lo, s1, v1, vcc_lo
	global_store_b128 v[0:1], v[8:11], off
                                        ; implicit-def: $vgpr1_vgpr2
                                        ; implicit-def: $vgpr8_vgpr9
.LBB93_21:
	s_and_not1_saveexec_b32 s2, s2
	s_cbranch_execz .LBB93_23
; %bb.22:
	v_lshlrev_b32_e32 v10, 1, v5
	s_delay_alu instid0(VALU_DEP_4) | instskip(NEXT) | instid1(VALU_DEP_4)
	v_mul_f64 v[8:9], v[1:2], v[8:9]
	v_mul_f64 v[5:6], v[1:2], v[6:7]
	s_delay_alu instid0(VALU_DEP_3) | instskip(NEXT) | instid1(VALU_DEP_1)
	v_ashrrev_i32_e32 v11, 31, v10
	v_lshlrev_b64 v[10:11], 3, v[10:11]
	s_waitcnt lgkmcnt(0)
	s_delay_alu instid0(VALU_DEP_1) | instskip(NEXT) | instid1(VALU_DEP_2)
	v_add_co_u32 v14, vcc_lo, s0, v10
	v_add_co_ci_u32_e32 v15, vcc_lo, s1, v11, vcc_lo
	global_load_b128 v[10:13], v[14:15], off
	s_waitcnt vmcnt(0)
	v_fma_f64 v[0:1], v[3:4], v[10:11], v[8:9]
	v_fma_f64 v[2:3], v[3:4], v[12:13], v[5:6]
	global_store_b128 v[14:15], v[0:3], off
.LBB93_23:
	s_nop 0
	s_sendmsg sendmsg(MSG_DEALLOC_VGPRS)
	s_endpgm
	.section	.rodata,"a",@progbits
	.p2align	6, 0x0
	.amdhsa_kernel _ZN9rocsparseL19gebsrmvn_2xn_kernelILj128ELj5ELj16EdEEvi20rocsparse_direction_NS_24const_host_device_scalarIT2_EEPKiS6_PKS3_S8_S4_PS3_21rocsparse_index_base_b
		.amdhsa_group_segment_fixed_size 0
		.amdhsa_private_segment_fixed_size 0
		.amdhsa_kernarg_size 72
		.amdhsa_user_sgpr_count 15
		.amdhsa_user_sgpr_dispatch_ptr 0
		.amdhsa_user_sgpr_queue_ptr 0
		.amdhsa_user_sgpr_kernarg_segment_ptr 1
		.amdhsa_user_sgpr_dispatch_id 0
		.amdhsa_user_sgpr_private_segment_size 0
		.amdhsa_wavefront_size32 1
		.amdhsa_uses_dynamic_stack 0
		.amdhsa_enable_private_segment 0
		.amdhsa_system_sgpr_workgroup_id_x 1
		.amdhsa_system_sgpr_workgroup_id_y 0
		.amdhsa_system_sgpr_workgroup_id_z 0
		.amdhsa_system_sgpr_workgroup_info 0
		.amdhsa_system_vgpr_workitem_id 0
		.amdhsa_next_free_vgpr 48
		.amdhsa_next_free_sgpr 16
		.amdhsa_reserve_vcc 1
		.amdhsa_float_round_mode_32 0
		.amdhsa_float_round_mode_16_64 0
		.amdhsa_float_denorm_mode_32 3
		.amdhsa_float_denorm_mode_16_64 3
		.amdhsa_dx10_clamp 1
		.amdhsa_ieee_mode 1
		.amdhsa_fp16_overflow 0
		.amdhsa_workgroup_processor_mode 1
		.amdhsa_memory_ordered 1
		.amdhsa_forward_progress 0
		.amdhsa_shared_vgpr_count 0
		.amdhsa_exception_fp_ieee_invalid_op 0
		.amdhsa_exception_fp_denorm_src 0
		.amdhsa_exception_fp_ieee_div_zero 0
		.amdhsa_exception_fp_ieee_overflow 0
		.amdhsa_exception_fp_ieee_underflow 0
		.amdhsa_exception_fp_ieee_inexact 0
		.amdhsa_exception_int_div_zero 0
	.end_amdhsa_kernel
	.section	.text._ZN9rocsparseL19gebsrmvn_2xn_kernelILj128ELj5ELj16EdEEvi20rocsparse_direction_NS_24const_host_device_scalarIT2_EEPKiS6_PKS3_S8_S4_PS3_21rocsparse_index_base_b,"axG",@progbits,_ZN9rocsparseL19gebsrmvn_2xn_kernelILj128ELj5ELj16EdEEvi20rocsparse_direction_NS_24const_host_device_scalarIT2_EEPKiS6_PKS3_S8_S4_PS3_21rocsparse_index_base_b,comdat
.Lfunc_end93:
	.size	_ZN9rocsparseL19gebsrmvn_2xn_kernelILj128ELj5ELj16EdEEvi20rocsparse_direction_NS_24const_host_device_scalarIT2_EEPKiS6_PKS3_S8_S4_PS3_21rocsparse_index_base_b, .Lfunc_end93-_ZN9rocsparseL19gebsrmvn_2xn_kernelILj128ELj5ELj16EdEEvi20rocsparse_direction_NS_24const_host_device_scalarIT2_EEPKiS6_PKS3_S8_S4_PS3_21rocsparse_index_base_b
                                        ; -- End function
	.section	.AMDGPU.csdata,"",@progbits
; Kernel info:
; codeLenInByte = 2268
; NumSgprs: 18
; NumVgprs: 48
; ScratchSize: 0
; MemoryBound: 0
; FloatMode: 240
; IeeeMode: 1
; LDSByteSize: 0 bytes/workgroup (compile time only)
; SGPRBlocks: 2
; VGPRBlocks: 5
; NumSGPRsForWavesPerEU: 18
; NumVGPRsForWavesPerEU: 48
; Occupancy: 16
; WaveLimiterHint : 1
; COMPUTE_PGM_RSRC2:SCRATCH_EN: 0
; COMPUTE_PGM_RSRC2:USER_SGPR: 15
; COMPUTE_PGM_RSRC2:TRAP_HANDLER: 0
; COMPUTE_PGM_RSRC2:TGID_X_EN: 1
; COMPUTE_PGM_RSRC2:TGID_Y_EN: 0
; COMPUTE_PGM_RSRC2:TGID_Z_EN: 0
; COMPUTE_PGM_RSRC2:TIDIG_COMP_CNT: 0
	.section	.text._ZN9rocsparseL19gebsrmvn_2xn_kernelILj128ELj5ELj32EdEEvi20rocsparse_direction_NS_24const_host_device_scalarIT2_EEPKiS6_PKS3_S8_S4_PS3_21rocsparse_index_base_b,"axG",@progbits,_ZN9rocsparseL19gebsrmvn_2xn_kernelILj128ELj5ELj32EdEEvi20rocsparse_direction_NS_24const_host_device_scalarIT2_EEPKiS6_PKS3_S8_S4_PS3_21rocsparse_index_base_b,comdat
	.globl	_ZN9rocsparseL19gebsrmvn_2xn_kernelILj128ELj5ELj32EdEEvi20rocsparse_direction_NS_24const_host_device_scalarIT2_EEPKiS6_PKS3_S8_S4_PS3_21rocsparse_index_base_b ; -- Begin function _ZN9rocsparseL19gebsrmvn_2xn_kernelILj128ELj5ELj32EdEEvi20rocsparse_direction_NS_24const_host_device_scalarIT2_EEPKiS6_PKS3_S8_S4_PS3_21rocsparse_index_base_b
	.p2align	8
	.type	_ZN9rocsparseL19gebsrmvn_2xn_kernelILj128ELj5ELj32EdEEvi20rocsparse_direction_NS_24const_host_device_scalarIT2_EEPKiS6_PKS3_S8_S4_PS3_21rocsparse_index_base_b,@function
_ZN9rocsparseL19gebsrmvn_2xn_kernelILj128ELj5ELj32EdEEvi20rocsparse_direction_NS_24const_host_device_scalarIT2_EEPKiS6_PKS3_S8_S4_PS3_21rocsparse_index_base_b: ; @_ZN9rocsparseL19gebsrmvn_2xn_kernelILj128ELj5ELj32EdEEvi20rocsparse_direction_NS_24const_host_device_scalarIT2_EEPKiS6_PKS3_S8_S4_PS3_21rocsparse_index_base_b
; %bb.0:
	s_clause 0x2
	s_load_b64 s[12:13], s[0:1], 0x40
	s_load_b64 s[4:5], s[0:1], 0x8
	;; [unrolled: 1-line block ×3, first 2 shown]
	s_waitcnt lgkmcnt(0)
	s_bitcmp1_b32 s13, 0
	v_dual_mov_b32 v1, s4 :: v_dual_mov_b32 v2, s5
	s_cselect_b32 s6, -1, 0
	s_delay_alu instid0(SALU_CYCLE_1)
	s_and_b32 vcc_lo, exec_lo, s6
	s_xor_b32 s6, s6, -1
	s_cbranch_vccnz .LBB94_2
; %bb.1:
	v_dual_mov_b32 v1, s4 :: v_dual_mov_b32 v2, s5
	flat_load_b64 v[1:2], v[1:2]
.LBB94_2:
	v_dual_mov_b32 v4, s3 :: v_dual_mov_b32 v3, s2
	s_and_not1_b32 vcc_lo, exec_lo, s6
	s_cbranch_vccnz .LBB94_4
; %bb.3:
	v_dual_mov_b32 v4, s3 :: v_dual_mov_b32 v3, s2
	flat_load_b64 v[3:4], v[3:4]
.LBB94_4:
	s_waitcnt vmcnt(0) lgkmcnt(0)
	v_cmp_neq_f64_e32 vcc_lo, 0, v[1:2]
	v_cmp_neq_f64_e64 s2, 1.0, v[3:4]
	s_delay_alu instid0(VALU_DEP_1) | instskip(NEXT) | instid1(SALU_CYCLE_1)
	s_or_b32 s2, vcc_lo, s2
	s_and_saveexec_b32 s3, s2
	s_cbranch_execz .LBB94_23
; %bb.5:
	s_load_b64 s[2:3], s[0:1], 0x0
	v_lshrrev_b32_e32 v5, 5, v0
	s_delay_alu instid0(VALU_DEP_1) | instskip(SKIP_1) | instid1(VALU_DEP_1)
	v_lshl_or_b32 v5, s15, 2, v5
	s_waitcnt lgkmcnt(0)
	v_cmp_gt_i32_e32 vcc_lo, s2, v5
	s_and_b32 exec_lo, exec_lo, vcc_lo
	s_cbranch_execz .LBB94_23
; %bb.6:
	s_load_b256 s[4:11], s[0:1], 0x10
	v_ashrrev_i32_e32 v6, 31, v5
	v_and_b32_e32 v0, 31, v0
	s_cmp_lg_u32 s3, 0
	s_delay_alu instid0(VALU_DEP_2) | instskip(SKIP_1) | instid1(VALU_DEP_1)
	v_lshlrev_b64 v[6:7], 2, v[5:6]
	s_waitcnt lgkmcnt(0)
	v_add_co_u32 v6, vcc_lo, s4, v6
	s_delay_alu instid0(VALU_DEP_2) | instskip(SKIP_4) | instid1(VALU_DEP_2)
	v_add_co_ci_u32_e32 v7, vcc_lo, s5, v7, vcc_lo
	global_load_b64 v[6:7], v[6:7], off
	s_waitcnt vmcnt(0)
	v_subrev_nc_u32_e32 v6, s12, v6
	v_subrev_nc_u32_e32 v16, s12, v7
	v_add_nc_u32_e32 v10, v6, v0
	s_delay_alu instid0(VALU_DEP_1)
	v_cmp_lt_i32_e64 s2, v10, v16
	s_cbranch_scc0 .LBB94_12
; %bb.7:
	v_mov_b32_e32 v6, 0
	v_mov_b32_e32 v7, 0
	s_delay_alu instid0(VALU_DEP_1)
	v_dual_mov_b32 v9, v7 :: v_dual_mov_b32 v8, v6
	s_and_saveexec_b32 s3, s2
	s_cbranch_execz .LBB94_11
; %bb.8:
	v_dual_mov_b32 v6, 0 :: v_dual_mov_b32 v13, 0
	v_dual_mov_b32 v7, 0 :: v_dual_mov_b32 v14, v10
	v_mad_u64_u32 v[11:12], null, v10, 10, 8
	s_mov_b32 s4, 0
	s_delay_alu instid0(VALU_DEP_2)
	v_dual_mov_b32 v9, v7 :: v_dual_mov_b32 v8, v6
.LBB94_9:                               ; =>This Inner Loop Header: Depth=1
	s_delay_alu instid0(VALU_DEP_3) | instskip(NEXT) | instid1(VALU_DEP_3)
	v_ashrrev_i32_e32 v15, 31, v14
	v_add_nc_u32_e32 v12, -8, v11
	v_mov_b32_e32 v34, v13
	s_delay_alu instid0(VALU_DEP_3) | instskip(SKIP_1) | instid1(VALU_DEP_2)
	v_lshlrev_b64 v[17:18], 2, v[14:15]
	v_add_nc_u32_e32 v14, 32, v14
	v_add_co_u32 v17, vcc_lo, s6, v17
	s_delay_alu instid0(VALU_DEP_3) | instskip(SKIP_3) | instid1(VALU_DEP_2)
	v_add_co_ci_u32_e32 v18, vcc_lo, s7, v18, vcc_lo
	global_load_b32 v15, v[17:18], off
	v_lshlrev_b64 v[17:18], 3, v[12:13]
	v_add_nc_u32_e32 v12, -6, v11
	v_add_co_u32 v17, vcc_lo, s8, v17
	s_delay_alu instid0(VALU_DEP_3) | instskip(SKIP_2) | instid1(VALU_DEP_1)
	v_add_co_ci_u32_e32 v18, vcc_lo, s9, v18, vcc_lo
	s_waitcnt vmcnt(0)
	v_subrev_nc_u32_e32 v15, s12, v15
	v_lshl_add_u32 v33, v15, 2, v15
	s_delay_alu instid0(VALU_DEP_1) | instskip(NEXT) | instid1(VALU_DEP_1)
	v_lshlrev_b64 v[19:20], 3, v[33:34]
	v_add_co_u32 v21, vcc_lo, s10, v19
	s_delay_alu instid0(VALU_DEP_2) | instskip(SKIP_4) | instid1(VALU_DEP_1)
	v_add_co_ci_u32_e32 v22, vcc_lo, s11, v20, vcc_lo
	global_load_b128 v[17:20], v[17:18], off
	global_load_b64 v[37:38], v[21:22], off
	v_lshlrev_b64 v[21:22], 3, v[12:13]
	v_add_nc_u32_e32 v12, 1, v33
	v_lshlrev_b64 v[23:24], 3, v[12:13]
	s_delay_alu instid0(VALU_DEP_3) | instskip(NEXT) | instid1(VALU_DEP_4)
	v_add_co_u32 v21, vcc_lo, s8, v21
	v_add_co_ci_u32_e32 v22, vcc_lo, s9, v22, vcc_lo
	v_add_nc_u32_e32 v12, -4, v11
	s_delay_alu instid0(VALU_DEP_4)
	v_add_co_u32 v25, vcc_lo, s10, v23
	v_add_co_ci_u32_e32 v26, vcc_lo, s11, v24, vcc_lo
	global_load_b128 v[21:24], v[21:22], off
	global_load_b64 v[39:40], v[25:26], off
	v_lshlrev_b64 v[25:26], 3, v[12:13]
	v_add_nc_u32_e32 v12, 2, v33
	s_delay_alu instid0(VALU_DEP_1) | instskip(NEXT) | instid1(VALU_DEP_3)
	v_lshlrev_b64 v[27:28], 3, v[12:13]
	v_add_co_u32 v25, vcc_lo, s8, v25
	s_delay_alu instid0(VALU_DEP_4) | instskip(SKIP_1) | instid1(VALU_DEP_4)
	v_add_co_ci_u32_e32 v26, vcc_lo, s9, v26, vcc_lo
	v_add_nc_u32_e32 v12, -2, v11
	v_add_co_u32 v29, vcc_lo, s10, v27
	v_add_co_ci_u32_e32 v30, vcc_lo, s11, v28, vcc_lo
	global_load_b128 v[25:28], v[25:26], off
	global_load_b64 v[41:42], v[29:30], off
	v_lshlrev_b64 v[29:30], 3, v[12:13]
	v_add_nc_u32_e32 v12, 3, v33
	s_delay_alu instid0(VALU_DEP_1) | instskip(NEXT) | instid1(VALU_DEP_3)
	v_lshlrev_b64 v[31:32], 3, v[12:13]
	v_add_co_u32 v29, vcc_lo, s8, v29
	s_delay_alu instid0(VALU_DEP_4) | instskip(SKIP_1) | instid1(VALU_DEP_4)
	v_add_co_ci_u32_e32 v30, vcc_lo, s9, v30, vcc_lo
	v_mov_b32_e32 v12, v13
	v_add_co_u32 v34, vcc_lo, s10, v31
	v_add_co_ci_u32_e32 v35, vcc_lo, s11, v32, vcc_lo
	global_load_b128 v[29:32], v[29:30], off
	global_load_b64 v[43:44], v[34:35], off
	v_lshlrev_b64 v[34:35], 3, v[11:12]
	v_add_nc_u32_e32 v11, 0x140, v11
	v_add_nc_u32_e32 v12, 4, v33
	s_delay_alu instid0(VALU_DEP_3) | instskip(NEXT) | instid1(VALU_DEP_2)
	v_add_co_u32 v33, vcc_lo, s8, v34
	v_lshlrev_b64 v[45:46], 3, v[12:13]
	v_add_co_ci_u32_e32 v34, vcc_lo, s9, v35, vcc_lo
	s_delay_alu instid0(VALU_DEP_2) | instskip(NEXT) | instid1(VALU_DEP_3)
	v_add_co_u32 v45, vcc_lo, s10, v45
	v_add_co_ci_u32_e32 v46, vcc_lo, s11, v46, vcc_lo
	global_load_b128 v[33:36], v[33:34], off
	global_load_b64 v[45:46], v[45:46], off
	v_cmp_ge_i32_e32 vcc_lo, v14, v16
	s_or_b32 s4, vcc_lo, s4
	s_waitcnt vmcnt(8)
	v_fma_f64 v[6:7], v[17:18], v[37:38], v[6:7]
	v_fma_f64 v[8:9], v[19:20], v[37:38], v[8:9]
	s_waitcnt vmcnt(6)
	s_delay_alu instid0(VALU_DEP_2) | instskip(NEXT) | instid1(VALU_DEP_2)
	v_fma_f64 v[6:7], v[21:22], v[39:40], v[6:7]
	v_fma_f64 v[8:9], v[23:24], v[39:40], v[8:9]
	s_waitcnt vmcnt(4)
	s_delay_alu instid0(VALU_DEP_2) | instskip(NEXT) | instid1(VALU_DEP_2)
	;; [unrolled: 4-line block ×4, first 2 shown]
	v_fma_f64 v[6:7], v[33:34], v[45:46], v[6:7]
	v_fma_f64 v[8:9], v[35:36], v[45:46], v[8:9]
	s_and_not1_b32 exec_lo, exec_lo, s4
	s_cbranch_execnz .LBB94_9
; %bb.10:
	s_or_b32 exec_lo, exec_lo, s4
.LBB94_11:
	s_delay_alu instid0(SALU_CYCLE_1)
	s_or_b32 exec_lo, exec_lo, s3
	s_cbranch_execz .LBB94_13
	s_branch .LBB94_18
.LBB94_12:
                                        ; implicit-def: $vgpr6_vgpr7
                                        ; implicit-def: $vgpr8_vgpr9
.LBB94_13:
	v_mov_b32_e32 v6, 0
	v_mov_b32_e32 v7, 0
	s_delay_alu instid0(VALU_DEP_1)
	v_dual_mov_b32 v9, v7 :: v_dual_mov_b32 v8, v6
	s_and_saveexec_b32 s3, s2
	s_cbranch_execz .LBB94_17
; %bb.14:
	v_mov_b32_e32 v6, 0
	v_dual_mov_b32 v7, 0 :: v_dual_mov_b32 v14, 0
	v_mad_u64_u32 v[12:13], null, v10, 10, 9
	s_mov_b32 s2, 0
	s_delay_alu instid0(VALU_DEP_2)
	v_dual_mov_b32 v9, v7 :: v_dual_mov_b32 v8, v6
.LBB94_15:                              ; =>This Inner Loop Header: Depth=1
	v_ashrrev_i32_e32 v11, 31, v10
	s_delay_alu instid0(VALU_DEP_3) | instskip(NEXT) | instid1(VALU_DEP_2)
	v_dual_mov_b32 v22, v14 :: v_dual_add_nc_u32 v13, -9, v12
	v_lshlrev_b64 v[17:18], 2, v[10:11]
	s_delay_alu instid0(VALU_DEP_2) | instskip(SKIP_1) | instid1(VALU_DEP_3)
	v_lshlrev_b64 v[19:20], 3, v[13:14]
	v_add_nc_u32_e32 v10, 32, v10
	v_add_co_u32 v17, vcc_lo, s6, v17
	s_delay_alu instid0(VALU_DEP_4) | instskip(NEXT) | instid1(VALU_DEP_4)
	v_add_co_ci_u32_e32 v18, vcc_lo, s7, v18, vcc_lo
	v_add_co_u32 v19, vcc_lo, s8, v19
	v_add_co_ci_u32_e32 v20, vcc_lo, s9, v20, vcc_lo
	global_load_b32 v11, v[17:18], off
	v_dual_mov_b32 v18, v14 :: v_dual_add_nc_u32 v17, -4, v12
	s_delay_alu instid0(VALU_DEP_1) | instskip(NEXT) | instid1(VALU_DEP_1)
	v_lshlrev_b64 v[17:18], 3, v[17:18]
	v_add_co_u32 v23, vcc_lo, s8, v17
	s_delay_alu instid0(VALU_DEP_2) | instskip(SKIP_2) | instid1(VALU_DEP_1)
	v_add_co_ci_u32_e32 v24, vcc_lo, s9, v18, vcc_lo
	s_waitcnt vmcnt(0)
	v_subrev_nc_u32_e32 v11, s12, v11
	v_lshl_add_u32 v21, v11, 2, v11
	s_delay_alu instid0(VALU_DEP_1) | instskip(SKIP_1) | instid1(VALU_DEP_2)
	v_lshlrev_b64 v[25:26], 3, v[21:22]
	v_add_nc_u32_e32 v13, 1, v21
	v_add_co_u32 v25, vcc_lo, s10, v25
	s_delay_alu instid0(VALU_DEP_3)
	v_add_co_ci_u32_e32 v26, vcc_lo, s11, v26, vcc_lo
	s_clause 0x1
	global_load_b128 v[17:20], v[19:20], off
	global_load_b64 v[22:23], v[23:24], off
	global_load_b64 v[24:25], v[25:26], off
	v_lshlrev_b64 v[26:27], 3, v[13:14]
	v_add_nc_u32_e32 v13, -3, v12
	s_delay_alu instid0(VALU_DEP_1) | instskip(NEXT) | instid1(VALU_DEP_3)
	v_lshlrev_b64 v[28:29], 3, v[13:14]
	v_add_co_u32 v26, vcc_lo, s10, v26
	s_delay_alu instid0(VALU_DEP_4) | instskip(SKIP_1) | instid1(VALU_DEP_4)
	v_add_co_ci_u32_e32 v27, vcc_lo, s11, v27, vcc_lo
	v_add_nc_u32_e32 v13, -7, v12
	v_add_co_u32 v28, vcc_lo, s8, v28
	v_add_co_ci_u32_e32 v29, vcc_lo, s9, v29, vcc_lo
	global_load_b64 v[26:27], v[26:27], off
	global_load_b64 v[28:29], v[28:29], off
	v_lshlrev_b64 v[30:31], 3, v[13:14]
	v_add_nc_u32_e32 v13, 2, v21
	s_delay_alu instid0(VALU_DEP_1) | instskip(SKIP_1) | instid1(VALU_DEP_4)
	v_lshlrev_b64 v[32:33], 3, v[13:14]
	v_add_nc_u32_e32 v13, -2, v12
	v_add_co_u32 v30, vcc_lo, s8, v30
	v_add_co_ci_u32_e32 v31, vcc_lo, s9, v31, vcc_lo
	s_delay_alu instid0(VALU_DEP_3) | instskip(SKIP_3) | instid1(VALU_DEP_4)
	v_lshlrev_b64 v[34:35], 3, v[13:14]
	v_add_co_u32 v32, vcc_lo, s10, v32
	v_add_co_ci_u32_e32 v33, vcc_lo, s11, v33, vcc_lo
	v_add_nc_u32_e32 v13, -6, v12
	v_add_co_u32 v34, vcc_lo, s8, v34
	v_add_co_ci_u32_e32 v35, vcc_lo, s9, v35, vcc_lo
	global_load_b64 v[30:31], v[30:31], off
	global_load_b64 v[32:33], v[32:33], off
	;; [unrolled: 1-line block ×3, first 2 shown]
	v_lshlrev_b64 v[36:37], 3, v[13:14]
	v_add_nc_u32_e32 v13, 3, v21
	s_delay_alu instid0(VALU_DEP_1) | instskip(SKIP_1) | instid1(VALU_DEP_4)
	v_lshlrev_b64 v[38:39], 3, v[13:14]
	v_add_nc_u32_e32 v13, -1, v12
	v_add_co_u32 v36, vcc_lo, s8, v36
	v_add_co_ci_u32_e32 v37, vcc_lo, s9, v37, vcc_lo
	s_delay_alu instid0(VALU_DEP_3) | instskip(SKIP_3) | instid1(VALU_DEP_4)
	v_lshlrev_b64 v[40:41], 3, v[13:14]
	v_add_co_u32 v38, vcc_lo, s10, v38
	v_add_co_ci_u32_e32 v39, vcc_lo, s11, v39, vcc_lo
	v_mov_b32_e32 v13, v14
	v_add_co_u32 v40, vcc_lo, s8, v40
	v_add_co_ci_u32_e32 v41, vcc_lo, s9, v41, vcc_lo
	global_load_b64 v[36:37], v[36:37], off
	global_load_b64 v[38:39], v[38:39], off
	;; [unrolled: 1-line block ×3, first 2 shown]
	v_lshlrev_b64 v[42:43], 3, v[12:13]
	v_add_nc_u32_e32 v13, -5, v12
	v_add_nc_u32_e32 v12, 0x140, v12
	s_delay_alu instid0(VALU_DEP_2) | instskip(SKIP_3) | instid1(VALU_DEP_3)
	v_lshlrev_b64 v[44:45], 3, v[13:14]
	v_add_nc_u32_e32 v13, 4, v21
	v_add_co_u32 v42, vcc_lo, s8, v42
	v_add_co_ci_u32_e32 v43, vcc_lo, s9, v43, vcc_lo
	v_lshlrev_b64 v[46:47], 3, v[13:14]
	v_add_co_u32 v44, vcc_lo, s8, v44
	v_add_co_ci_u32_e32 v45, vcc_lo, s9, v45, vcc_lo
	s_delay_alu instid0(VALU_DEP_3) | instskip(NEXT) | instid1(VALU_DEP_4)
	v_add_co_u32 v46, vcc_lo, s10, v46
	v_add_co_ci_u32_e32 v47, vcc_lo, s11, v47, vcc_lo
	s_clause 0x1
	global_load_b64 v[42:43], v[42:43], off
	global_load_b64 v[44:45], v[44:45], off
	;; [unrolled: 1-line block ×3, first 2 shown]
	v_cmp_ge_i32_e32 vcc_lo, v10, v16
	s_or_b32 s2, vcc_lo, s2
	s_waitcnt vmcnt(11)
	v_fma_f64 v[6:7], v[17:18], v[24:25], v[6:7]
	v_fma_f64 v[8:9], v[22:23], v[24:25], v[8:9]
	s_waitcnt vmcnt(10)
	s_delay_alu instid0(VALU_DEP_2) | instskip(SKIP_1) | instid1(VALU_DEP_2)
	v_fma_f64 v[6:7], v[19:20], v[26:27], v[6:7]
	s_waitcnt vmcnt(9)
	v_fma_f64 v[8:9], v[28:29], v[26:27], v[8:9]
	s_waitcnt vmcnt(7)
	s_delay_alu instid0(VALU_DEP_2) | instskip(SKIP_1) | instid1(VALU_DEP_2)
	v_fma_f64 v[6:7], v[30:31], v[32:33], v[6:7]
	s_waitcnt vmcnt(6)
	;; [unrolled: 5-line block ×3, first 2 shown]
	v_fma_f64 v[8:9], v[40:41], v[38:39], v[8:9]
	s_waitcnt vmcnt(0)
	s_delay_alu instid0(VALU_DEP_2) | instskip(NEXT) | instid1(VALU_DEP_2)
	v_fma_f64 v[6:7], v[44:45], v[46:47], v[6:7]
	v_fma_f64 v[8:9], v[42:43], v[46:47], v[8:9]
	s_and_not1_b32 exec_lo, exec_lo, s2
	s_cbranch_execnz .LBB94_15
; %bb.16:
	s_or_b32 exec_lo, exec_lo, s2
.LBB94_17:
	s_delay_alu instid0(SALU_CYCLE_1)
	s_or_b32 exec_lo, exec_lo, s3
.LBB94_18:
	v_mbcnt_lo_u32_b32 v14, -1, 0
	s_delay_alu instid0(VALU_DEP_1) | instskip(NEXT) | instid1(VALU_DEP_1)
	v_xor_b32_e32 v10, 16, v14
	v_cmp_gt_i32_e32 vcc_lo, 32, v10
	v_cndmask_b32_e32 v10, v14, v10, vcc_lo
	s_delay_alu instid0(VALU_DEP_1)
	v_lshlrev_b32_e32 v13, 2, v10
	ds_bpermute_b32 v10, v13, v6
	ds_bpermute_b32 v11, v13, v7
	ds_bpermute_b32 v12, v13, v8
	ds_bpermute_b32 v13, v13, v9
	s_waitcnt lgkmcnt(2)
	v_add_f64 v[6:7], v[6:7], v[10:11]
	v_xor_b32_e32 v10, 8, v14
	s_waitcnt lgkmcnt(0)
	v_add_f64 v[8:9], v[8:9], v[12:13]
	s_delay_alu instid0(VALU_DEP_2) | instskip(SKIP_1) | instid1(VALU_DEP_1)
	v_cmp_gt_i32_e32 vcc_lo, 32, v10
	v_cndmask_b32_e32 v10, v14, v10, vcc_lo
	v_lshlrev_b32_e32 v13, 2, v10
	ds_bpermute_b32 v10, v13, v6
	ds_bpermute_b32 v11, v13, v7
	ds_bpermute_b32 v12, v13, v8
	ds_bpermute_b32 v13, v13, v9
	s_waitcnt lgkmcnt(2)
	v_add_f64 v[6:7], v[6:7], v[10:11]
	v_xor_b32_e32 v10, 4, v14
	s_waitcnt lgkmcnt(0)
	v_add_f64 v[8:9], v[8:9], v[12:13]
	s_delay_alu instid0(VALU_DEP_2) | instskip(SKIP_1) | instid1(VALU_DEP_1)
	v_cmp_gt_i32_e32 vcc_lo, 32, v10
	v_cndmask_b32_e32 v10, v14, v10, vcc_lo
	;; [unrolled: 13-line block ×3, first 2 shown]
	v_lshlrev_b32_e32 v13, 2, v10
	ds_bpermute_b32 v10, v13, v6
	ds_bpermute_b32 v11, v13, v7
	;; [unrolled: 1-line block ×4, first 2 shown]
	s_waitcnt lgkmcnt(2)
	v_add_f64 v[6:7], v[6:7], v[10:11]
	s_waitcnt lgkmcnt(0)
	v_add_f64 v[10:11], v[8:9], v[12:13]
	v_xor_b32_e32 v8, 1, v14
	s_delay_alu instid0(VALU_DEP_1) | instskip(SKIP_2) | instid1(VALU_DEP_2)
	v_cmp_gt_i32_e32 vcc_lo, 32, v8
	v_cndmask_b32_e32 v8, v14, v8, vcc_lo
	v_cmp_eq_u32_e32 vcc_lo, 31, v0
	v_lshlrev_b32_e32 v13, 2, v8
	ds_bpermute_b32 v8, v13, v6
	ds_bpermute_b32 v9, v13, v7
	ds_bpermute_b32 v12, v13, v10
	ds_bpermute_b32 v13, v13, v11
	s_and_b32 exec_lo, exec_lo, vcc_lo
	s_cbranch_execz .LBB94_23
; %bb.19:
	s_waitcnt lgkmcnt(2)
	v_add_f64 v[8:9], v[6:7], v[8:9]
	s_waitcnt lgkmcnt(0)
	v_add_f64 v[6:7], v[10:11], v[12:13]
	s_load_b64 s[0:1], s[0:1], 0x38
	s_mov_b32 s2, exec_lo
	v_cmpx_eq_f64_e32 0, v[3:4]
	s_xor_b32 s2, exec_lo, s2
	s_cbranch_execz .LBB94_21
; %bb.20:
	s_delay_alu instid0(VALU_DEP_3) | instskip(NEXT) | instid1(VALU_DEP_3)
	v_mul_f64 v[8:9], v[1:2], v[8:9]
	v_mul_f64 v[10:11], v[1:2], v[6:7]
	v_lshlrev_b32_e32 v0, 1, v5
                                        ; implicit-def: $vgpr5
                                        ; implicit-def: $vgpr3_vgpr4
                                        ; implicit-def: $vgpr6_vgpr7
	s_delay_alu instid0(VALU_DEP_1) | instskip(NEXT) | instid1(VALU_DEP_1)
	v_ashrrev_i32_e32 v1, 31, v0
	v_lshlrev_b64 v[0:1], 3, v[0:1]
	s_waitcnt lgkmcnt(0)
	s_delay_alu instid0(VALU_DEP_1) | instskip(NEXT) | instid1(VALU_DEP_2)
	v_add_co_u32 v0, vcc_lo, s0, v0
	v_add_co_ci_u32_e32 v1, vcc_lo, s1, v1, vcc_lo
	global_store_b128 v[0:1], v[8:11], off
                                        ; implicit-def: $vgpr1_vgpr2
                                        ; implicit-def: $vgpr8_vgpr9
.LBB94_21:
	s_and_not1_saveexec_b32 s2, s2
	s_cbranch_execz .LBB94_23
; %bb.22:
	v_lshlrev_b32_e32 v10, 1, v5
	s_delay_alu instid0(VALU_DEP_4) | instskip(NEXT) | instid1(VALU_DEP_4)
	v_mul_f64 v[8:9], v[1:2], v[8:9]
	v_mul_f64 v[5:6], v[1:2], v[6:7]
	s_delay_alu instid0(VALU_DEP_3) | instskip(NEXT) | instid1(VALU_DEP_1)
	v_ashrrev_i32_e32 v11, 31, v10
	v_lshlrev_b64 v[10:11], 3, v[10:11]
	s_waitcnt lgkmcnt(0)
	s_delay_alu instid0(VALU_DEP_1) | instskip(NEXT) | instid1(VALU_DEP_2)
	v_add_co_u32 v14, vcc_lo, s0, v10
	v_add_co_ci_u32_e32 v15, vcc_lo, s1, v11, vcc_lo
	global_load_b128 v[10:13], v[14:15], off
	s_waitcnt vmcnt(0)
	v_fma_f64 v[0:1], v[3:4], v[10:11], v[8:9]
	v_fma_f64 v[2:3], v[3:4], v[12:13], v[5:6]
	global_store_b128 v[14:15], v[0:3], off
.LBB94_23:
	s_nop 0
	s_sendmsg sendmsg(MSG_DEALLOC_VGPRS)
	s_endpgm
	.section	.rodata,"a",@progbits
	.p2align	6, 0x0
	.amdhsa_kernel _ZN9rocsparseL19gebsrmvn_2xn_kernelILj128ELj5ELj32EdEEvi20rocsparse_direction_NS_24const_host_device_scalarIT2_EEPKiS6_PKS3_S8_S4_PS3_21rocsparse_index_base_b
		.amdhsa_group_segment_fixed_size 0
		.amdhsa_private_segment_fixed_size 0
		.amdhsa_kernarg_size 72
		.amdhsa_user_sgpr_count 15
		.amdhsa_user_sgpr_dispatch_ptr 0
		.amdhsa_user_sgpr_queue_ptr 0
		.amdhsa_user_sgpr_kernarg_segment_ptr 1
		.amdhsa_user_sgpr_dispatch_id 0
		.amdhsa_user_sgpr_private_segment_size 0
		.amdhsa_wavefront_size32 1
		.amdhsa_uses_dynamic_stack 0
		.amdhsa_enable_private_segment 0
		.amdhsa_system_sgpr_workgroup_id_x 1
		.amdhsa_system_sgpr_workgroup_id_y 0
		.amdhsa_system_sgpr_workgroup_id_z 0
		.amdhsa_system_sgpr_workgroup_info 0
		.amdhsa_system_vgpr_workitem_id 0
		.amdhsa_next_free_vgpr 48
		.amdhsa_next_free_sgpr 16
		.amdhsa_reserve_vcc 1
		.amdhsa_float_round_mode_32 0
		.amdhsa_float_round_mode_16_64 0
		.amdhsa_float_denorm_mode_32 3
		.amdhsa_float_denorm_mode_16_64 3
		.amdhsa_dx10_clamp 1
		.amdhsa_ieee_mode 1
		.amdhsa_fp16_overflow 0
		.amdhsa_workgroup_processor_mode 1
		.amdhsa_memory_ordered 1
		.amdhsa_forward_progress 0
		.amdhsa_shared_vgpr_count 0
		.amdhsa_exception_fp_ieee_invalid_op 0
		.amdhsa_exception_fp_denorm_src 0
		.amdhsa_exception_fp_ieee_div_zero 0
		.amdhsa_exception_fp_ieee_overflow 0
		.amdhsa_exception_fp_ieee_underflow 0
		.amdhsa_exception_fp_ieee_inexact 0
		.amdhsa_exception_int_div_zero 0
	.end_amdhsa_kernel
	.section	.text._ZN9rocsparseL19gebsrmvn_2xn_kernelILj128ELj5ELj32EdEEvi20rocsparse_direction_NS_24const_host_device_scalarIT2_EEPKiS6_PKS3_S8_S4_PS3_21rocsparse_index_base_b,"axG",@progbits,_ZN9rocsparseL19gebsrmvn_2xn_kernelILj128ELj5ELj32EdEEvi20rocsparse_direction_NS_24const_host_device_scalarIT2_EEPKiS6_PKS3_S8_S4_PS3_21rocsparse_index_base_b,comdat
.Lfunc_end94:
	.size	_ZN9rocsparseL19gebsrmvn_2xn_kernelILj128ELj5ELj32EdEEvi20rocsparse_direction_NS_24const_host_device_scalarIT2_EEPKiS6_PKS3_S8_S4_PS3_21rocsparse_index_base_b, .Lfunc_end94-_ZN9rocsparseL19gebsrmvn_2xn_kernelILj128ELj5ELj32EdEEvi20rocsparse_direction_NS_24const_host_device_scalarIT2_EEPKiS6_PKS3_S8_S4_PS3_21rocsparse_index_base_b
                                        ; -- End function
	.section	.AMDGPU.csdata,"",@progbits
; Kernel info:
; codeLenInByte = 2344
; NumSgprs: 18
; NumVgprs: 48
; ScratchSize: 0
; MemoryBound: 0
; FloatMode: 240
; IeeeMode: 1
; LDSByteSize: 0 bytes/workgroup (compile time only)
; SGPRBlocks: 2
; VGPRBlocks: 5
; NumSGPRsForWavesPerEU: 18
; NumVGPRsForWavesPerEU: 48
; Occupancy: 16
; WaveLimiterHint : 1
; COMPUTE_PGM_RSRC2:SCRATCH_EN: 0
; COMPUTE_PGM_RSRC2:USER_SGPR: 15
; COMPUTE_PGM_RSRC2:TRAP_HANDLER: 0
; COMPUTE_PGM_RSRC2:TGID_X_EN: 1
; COMPUTE_PGM_RSRC2:TGID_Y_EN: 0
; COMPUTE_PGM_RSRC2:TGID_Z_EN: 0
; COMPUTE_PGM_RSRC2:TIDIG_COMP_CNT: 0
	.section	.text._ZN9rocsparseL19gebsrmvn_2xn_kernelILj128ELj5ELj64EdEEvi20rocsparse_direction_NS_24const_host_device_scalarIT2_EEPKiS6_PKS3_S8_S4_PS3_21rocsparse_index_base_b,"axG",@progbits,_ZN9rocsparseL19gebsrmvn_2xn_kernelILj128ELj5ELj64EdEEvi20rocsparse_direction_NS_24const_host_device_scalarIT2_EEPKiS6_PKS3_S8_S4_PS3_21rocsparse_index_base_b,comdat
	.globl	_ZN9rocsparseL19gebsrmvn_2xn_kernelILj128ELj5ELj64EdEEvi20rocsparse_direction_NS_24const_host_device_scalarIT2_EEPKiS6_PKS3_S8_S4_PS3_21rocsparse_index_base_b ; -- Begin function _ZN9rocsparseL19gebsrmvn_2xn_kernelILj128ELj5ELj64EdEEvi20rocsparse_direction_NS_24const_host_device_scalarIT2_EEPKiS6_PKS3_S8_S4_PS3_21rocsparse_index_base_b
	.p2align	8
	.type	_ZN9rocsparseL19gebsrmvn_2xn_kernelILj128ELj5ELj64EdEEvi20rocsparse_direction_NS_24const_host_device_scalarIT2_EEPKiS6_PKS3_S8_S4_PS3_21rocsparse_index_base_b,@function
_ZN9rocsparseL19gebsrmvn_2xn_kernelILj128ELj5ELj64EdEEvi20rocsparse_direction_NS_24const_host_device_scalarIT2_EEPKiS6_PKS3_S8_S4_PS3_21rocsparse_index_base_b: ; @_ZN9rocsparseL19gebsrmvn_2xn_kernelILj128ELj5ELj64EdEEvi20rocsparse_direction_NS_24const_host_device_scalarIT2_EEPKiS6_PKS3_S8_S4_PS3_21rocsparse_index_base_b
; %bb.0:
	s_clause 0x2
	s_load_b64 s[12:13], s[0:1], 0x40
	s_load_b64 s[4:5], s[0:1], 0x8
	;; [unrolled: 1-line block ×3, first 2 shown]
	s_waitcnt lgkmcnt(0)
	s_bitcmp1_b32 s13, 0
	v_dual_mov_b32 v1, s4 :: v_dual_mov_b32 v2, s5
	s_cselect_b32 s6, -1, 0
	s_delay_alu instid0(SALU_CYCLE_1)
	s_and_b32 vcc_lo, exec_lo, s6
	s_xor_b32 s6, s6, -1
	s_cbranch_vccnz .LBB95_2
; %bb.1:
	v_dual_mov_b32 v1, s4 :: v_dual_mov_b32 v2, s5
	flat_load_b64 v[1:2], v[1:2]
.LBB95_2:
	v_dual_mov_b32 v4, s3 :: v_dual_mov_b32 v3, s2
	s_and_not1_b32 vcc_lo, exec_lo, s6
	s_cbranch_vccnz .LBB95_4
; %bb.3:
	v_dual_mov_b32 v4, s3 :: v_dual_mov_b32 v3, s2
	flat_load_b64 v[3:4], v[3:4]
.LBB95_4:
	s_waitcnt vmcnt(0) lgkmcnt(0)
	v_cmp_neq_f64_e32 vcc_lo, 0, v[1:2]
	v_cmp_neq_f64_e64 s2, 1.0, v[3:4]
	s_delay_alu instid0(VALU_DEP_1) | instskip(NEXT) | instid1(SALU_CYCLE_1)
	s_or_b32 s2, vcc_lo, s2
	s_and_saveexec_b32 s3, s2
	s_cbranch_execz .LBB95_23
; %bb.5:
	s_load_b64 s[2:3], s[0:1], 0x0
	v_lshrrev_b32_e32 v5, 6, v0
	s_delay_alu instid0(VALU_DEP_1) | instskip(SKIP_1) | instid1(VALU_DEP_1)
	v_lshl_or_b32 v5, s15, 1, v5
	s_waitcnt lgkmcnt(0)
	v_cmp_gt_i32_e32 vcc_lo, s2, v5
	s_and_b32 exec_lo, exec_lo, vcc_lo
	s_cbranch_execz .LBB95_23
; %bb.6:
	s_load_b256 s[4:11], s[0:1], 0x10
	v_ashrrev_i32_e32 v6, 31, v5
	v_and_b32_e32 v0, 63, v0
	s_cmp_lg_u32 s3, 0
	s_delay_alu instid0(VALU_DEP_2) | instskip(SKIP_1) | instid1(VALU_DEP_1)
	v_lshlrev_b64 v[6:7], 2, v[5:6]
	s_waitcnt lgkmcnt(0)
	v_add_co_u32 v6, vcc_lo, s4, v6
	s_delay_alu instid0(VALU_DEP_2) | instskip(SKIP_4) | instid1(VALU_DEP_2)
	v_add_co_ci_u32_e32 v7, vcc_lo, s5, v7, vcc_lo
	global_load_b64 v[6:7], v[6:7], off
	s_waitcnt vmcnt(0)
	v_subrev_nc_u32_e32 v6, s12, v6
	v_subrev_nc_u32_e32 v16, s12, v7
	v_add_nc_u32_e32 v10, v6, v0
	s_delay_alu instid0(VALU_DEP_1)
	v_cmp_lt_i32_e64 s2, v10, v16
	s_cbranch_scc0 .LBB95_12
; %bb.7:
	v_mov_b32_e32 v6, 0
	v_mov_b32_e32 v7, 0
	s_delay_alu instid0(VALU_DEP_1)
	v_dual_mov_b32 v9, v7 :: v_dual_mov_b32 v8, v6
	s_and_saveexec_b32 s3, s2
	s_cbranch_execz .LBB95_11
; %bb.8:
	v_dual_mov_b32 v6, 0 :: v_dual_mov_b32 v13, 0
	v_dual_mov_b32 v7, 0 :: v_dual_mov_b32 v14, v10
	v_mad_u64_u32 v[11:12], null, v10, 10, 8
	s_mov_b32 s4, 0
	s_delay_alu instid0(VALU_DEP_2)
	v_dual_mov_b32 v9, v7 :: v_dual_mov_b32 v8, v6
.LBB95_9:                               ; =>This Inner Loop Header: Depth=1
	s_delay_alu instid0(VALU_DEP_3) | instskip(NEXT) | instid1(VALU_DEP_3)
	v_ashrrev_i32_e32 v15, 31, v14
	v_add_nc_u32_e32 v12, -8, v11
	v_mov_b32_e32 v34, v13
	s_delay_alu instid0(VALU_DEP_3) | instskip(SKIP_1) | instid1(VALU_DEP_2)
	v_lshlrev_b64 v[17:18], 2, v[14:15]
	v_add_nc_u32_e32 v14, 64, v14
	v_add_co_u32 v17, vcc_lo, s6, v17
	s_delay_alu instid0(VALU_DEP_3) | instskip(SKIP_3) | instid1(VALU_DEP_2)
	v_add_co_ci_u32_e32 v18, vcc_lo, s7, v18, vcc_lo
	global_load_b32 v15, v[17:18], off
	v_lshlrev_b64 v[17:18], 3, v[12:13]
	v_add_nc_u32_e32 v12, -6, v11
	v_add_co_u32 v17, vcc_lo, s8, v17
	s_delay_alu instid0(VALU_DEP_3) | instskip(SKIP_2) | instid1(VALU_DEP_1)
	v_add_co_ci_u32_e32 v18, vcc_lo, s9, v18, vcc_lo
	s_waitcnt vmcnt(0)
	v_subrev_nc_u32_e32 v15, s12, v15
	v_lshl_add_u32 v33, v15, 2, v15
	s_delay_alu instid0(VALU_DEP_1) | instskip(NEXT) | instid1(VALU_DEP_1)
	v_lshlrev_b64 v[19:20], 3, v[33:34]
	v_add_co_u32 v21, vcc_lo, s10, v19
	s_delay_alu instid0(VALU_DEP_2) | instskip(SKIP_4) | instid1(VALU_DEP_1)
	v_add_co_ci_u32_e32 v22, vcc_lo, s11, v20, vcc_lo
	global_load_b128 v[17:20], v[17:18], off
	global_load_b64 v[37:38], v[21:22], off
	v_lshlrev_b64 v[21:22], 3, v[12:13]
	v_add_nc_u32_e32 v12, 1, v33
	v_lshlrev_b64 v[23:24], 3, v[12:13]
	s_delay_alu instid0(VALU_DEP_3) | instskip(NEXT) | instid1(VALU_DEP_4)
	v_add_co_u32 v21, vcc_lo, s8, v21
	v_add_co_ci_u32_e32 v22, vcc_lo, s9, v22, vcc_lo
	v_add_nc_u32_e32 v12, -4, v11
	s_delay_alu instid0(VALU_DEP_4)
	v_add_co_u32 v25, vcc_lo, s10, v23
	v_add_co_ci_u32_e32 v26, vcc_lo, s11, v24, vcc_lo
	global_load_b128 v[21:24], v[21:22], off
	global_load_b64 v[39:40], v[25:26], off
	v_lshlrev_b64 v[25:26], 3, v[12:13]
	v_add_nc_u32_e32 v12, 2, v33
	s_delay_alu instid0(VALU_DEP_1) | instskip(NEXT) | instid1(VALU_DEP_3)
	v_lshlrev_b64 v[27:28], 3, v[12:13]
	v_add_co_u32 v25, vcc_lo, s8, v25
	s_delay_alu instid0(VALU_DEP_4) | instskip(SKIP_1) | instid1(VALU_DEP_4)
	v_add_co_ci_u32_e32 v26, vcc_lo, s9, v26, vcc_lo
	v_add_nc_u32_e32 v12, -2, v11
	v_add_co_u32 v29, vcc_lo, s10, v27
	v_add_co_ci_u32_e32 v30, vcc_lo, s11, v28, vcc_lo
	global_load_b128 v[25:28], v[25:26], off
	global_load_b64 v[41:42], v[29:30], off
	v_lshlrev_b64 v[29:30], 3, v[12:13]
	v_add_nc_u32_e32 v12, 3, v33
	s_delay_alu instid0(VALU_DEP_1) | instskip(NEXT) | instid1(VALU_DEP_3)
	v_lshlrev_b64 v[31:32], 3, v[12:13]
	v_add_co_u32 v29, vcc_lo, s8, v29
	s_delay_alu instid0(VALU_DEP_4) | instskip(SKIP_1) | instid1(VALU_DEP_4)
	v_add_co_ci_u32_e32 v30, vcc_lo, s9, v30, vcc_lo
	v_mov_b32_e32 v12, v13
	v_add_co_u32 v34, vcc_lo, s10, v31
	v_add_co_ci_u32_e32 v35, vcc_lo, s11, v32, vcc_lo
	global_load_b128 v[29:32], v[29:30], off
	global_load_b64 v[43:44], v[34:35], off
	v_lshlrev_b64 v[34:35], 3, v[11:12]
	v_add_nc_u32_e32 v11, 0x280, v11
	v_add_nc_u32_e32 v12, 4, v33
	s_delay_alu instid0(VALU_DEP_3) | instskip(NEXT) | instid1(VALU_DEP_2)
	v_add_co_u32 v33, vcc_lo, s8, v34
	v_lshlrev_b64 v[45:46], 3, v[12:13]
	v_add_co_ci_u32_e32 v34, vcc_lo, s9, v35, vcc_lo
	s_delay_alu instid0(VALU_DEP_2) | instskip(NEXT) | instid1(VALU_DEP_3)
	v_add_co_u32 v45, vcc_lo, s10, v45
	v_add_co_ci_u32_e32 v46, vcc_lo, s11, v46, vcc_lo
	global_load_b128 v[33:36], v[33:34], off
	global_load_b64 v[45:46], v[45:46], off
	v_cmp_ge_i32_e32 vcc_lo, v14, v16
	s_or_b32 s4, vcc_lo, s4
	s_waitcnt vmcnt(8)
	v_fma_f64 v[6:7], v[17:18], v[37:38], v[6:7]
	v_fma_f64 v[8:9], v[19:20], v[37:38], v[8:9]
	s_waitcnt vmcnt(6)
	s_delay_alu instid0(VALU_DEP_2) | instskip(NEXT) | instid1(VALU_DEP_2)
	v_fma_f64 v[6:7], v[21:22], v[39:40], v[6:7]
	v_fma_f64 v[8:9], v[23:24], v[39:40], v[8:9]
	s_waitcnt vmcnt(4)
	s_delay_alu instid0(VALU_DEP_2) | instskip(NEXT) | instid1(VALU_DEP_2)
	;; [unrolled: 4-line block ×4, first 2 shown]
	v_fma_f64 v[6:7], v[33:34], v[45:46], v[6:7]
	v_fma_f64 v[8:9], v[35:36], v[45:46], v[8:9]
	s_and_not1_b32 exec_lo, exec_lo, s4
	s_cbranch_execnz .LBB95_9
; %bb.10:
	s_or_b32 exec_lo, exec_lo, s4
.LBB95_11:
	s_delay_alu instid0(SALU_CYCLE_1)
	s_or_b32 exec_lo, exec_lo, s3
	s_cbranch_execz .LBB95_13
	s_branch .LBB95_18
.LBB95_12:
                                        ; implicit-def: $vgpr6_vgpr7
                                        ; implicit-def: $vgpr8_vgpr9
.LBB95_13:
	v_mov_b32_e32 v6, 0
	v_mov_b32_e32 v7, 0
	s_delay_alu instid0(VALU_DEP_1)
	v_dual_mov_b32 v9, v7 :: v_dual_mov_b32 v8, v6
	s_and_saveexec_b32 s3, s2
	s_cbranch_execz .LBB95_17
; %bb.14:
	v_mov_b32_e32 v6, 0
	v_dual_mov_b32 v7, 0 :: v_dual_mov_b32 v14, 0
	v_mad_u64_u32 v[12:13], null, v10, 10, 9
	s_mov_b32 s2, 0
	s_delay_alu instid0(VALU_DEP_2)
	v_dual_mov_b32 v9, v7 :: v_dual_mov_b32 v8, v6
.LBB95_15:                              ; =>This Inner Loop Header: Depth=1
	v_ashrrev_i32_e32 v11, 31, v10
	s_delay_alu instid0(VALU_DEP_3) | instskip(NEXT) | instid1(VALU_DEP_2)
	v_dual_mov_b32 v22, v14 :: v_dual_add_nc_u32 v13, -9, v12
	v_lshlrev_b64 v[17:18], 2, v[10:11]
	s_delay_alu instid0(VALU_DEP_2) | instskip(SKIP_1) | instid1(VALU_DEP_3)
	v_lshlrev_b64 v[19:20], 3, v[13:14]
	v_add_nc_u32_e32 v10, 64, v10
	v_add_co_u32 v17, vcc_lo, s6, v17
	s_delay_alu instid0(VALU_DEP_4) | instskip(NEXT) | instid1(VALU_DEP_4)
	v_add_co_ci_u32_e32 v18, vcc_lo, s7, v18, vcc_lo
	v_add_co_u32 v19, vcc_lo, s8, v19
	v_add_co_ci_u32_e32 v20, vcc_lo, s9, v20, vcc_lo
	global_load_b32 v11, v[17:18], off
	v_dual_mov_b32 v18, v14 :: v_dual_add_nc_u32 v17, -4, v12
	s_delay_alu instid0(VALU_DEP_1) | instskip(NEXT) | instid1(VALU_DEP_1)
	v_lshlrev_b64 v[17:18], 3, v[17:18]
	v_add_co_u32 v23, vcc_lo, s8, v17
	s_delay_alu instid0(VALU_DEP_2) | instskip(SKIP_2) | instid1(VALU_DEP_1)
	v_add_co_ci_u32_e32 v24, vcc_lo, s9, v18, vcc_lo
	s_waitcnt vmcnt(0)
	v_subrev_nc_u32_e32 v11, s12, v11
	v_lshl_add_u32 v21, v11, 2, v11
	s_delay_alu instid0(VALU_DEP_1) | instskip(SKIP_1) | instid1(VALU_DEP_2)
	v_lshlrev_b64 v[25:26], 3, v[21:22]
	v_add_nc_u32_e32 v13, 1, v21
	v_add_co_u32 v25, vcc_lo, s10, v25
	s_delay_alu instid0(VALU_DEP_3)
	v_add_co_ci_u32_e32 v26, vcc_lo, s11, v26, vcc_lo
	s_clause 0x1
	global_load_b128 v[17:20], v[19:20], off
	global_load_b64 v[22:23], v[23:24], off
	global_load_b64 v[24:25], v[25:26], off
	v_lshlrev_b64 v[26:27], 3, v[13:14]
	v_add_nc_u32_e32 v13, -3, v12
	s_delay_alu instid0(VALU_DEP_1) | instskip(NEXT) | instid1(VALU_DEP_3)
	v_lshlrev_b64 v[28:29], 3, v[13:14]
	v_add_co_u32 v26, vcc_lo, s10, v26
	s_delay_alu instid0(VALU_DEP_4) | instskip(SKIP_1) | instid1(VALU_DEP_4)
	v_add_co_ci_u32_e32 v27, vcc_lo, s11, v27, vcc_lo
	v_add_nc_u32_e32 v13, -7, v12
	v_add_co_u32 v28, vcc_lo, s8, v28
	v_add_co_ci_u32_e32 v29, vcc_lo, s9, v29, vcc_lo
	global_load_b64 v[26:27], v[26:27], off
	global_load_b64 v[28:29], v[28:29], off
	v_lshlrev_b64 v[30:31], 3, v[13:14]
	v_add_nc_u32_e32 v13, 2, v21
	s_delay_alu instid0(VALU_DEP_1) | instskip(SKIP_1) | instid1(VALU_DEP_4)
	v_lshlrev_b64 v[32:33], 3, v[13:14]
	v_add_nc_u32_e32 v13, -2, v12
	v_add_co_u32 v30, vcc_lo, s8, v30
	v_add_co_ci_u32_e32 v31, vcc_lo, s9, v31, vcc_lo
	s_delay_alu instid0(VALU_DEP_3) | instskip(SKIP_3) | instid1(VALU_DEP_4)
	v_lshlrev_b64 v[34:35], 3, v[13:14]
	v_add_co_u32 v32, vcc_lo, s10, v32
	v_add_co_ci_u32_e32 v33, vcc_lo, s11, v33, vcc_lo
	v_add_nc_u32_e32 v13, -6, v12
	v_add_co_u32 v34, vcc_lo, s8, v34
	v_add_co_ci_u32_e32 v35, vcc_lo, s9, v35, vcc_lo
	global_load_b64 v[30:31], v[30:31], off
	global_load_b64 v[32:33], v[32:33], off
	;; [unrolled: 1-line block ×3, first 2 shown]
	v_lshlrev_b64 v[36:37], 3, v[13:14]
	v_add_nc_u32_e32 v13, 3, v21
	s_delay_alu instid0(VALU_DEP_1) | instskip(SKIP_1) | instid1(VALU_DEP_4)
	v_lshlrev_b64 v[38:39], 3, v[13:14]
	v_add_nc_u32_e32 v13, -1, v12
	v_add_co_u32 v36, vcc_lo, s8, v36
	v_add_co_ci_u32_e32 v37, vcc_lo, s9, v37, vcc_lo
	s_delay_alu instid0(VALU_DEP_3) | instskip(SKIP_3) | instid1(VALU_DEP_4)
	v_lshlrev_b64 v[40:41], 3, v[13:14]
	v_add_co_u32 v38, vcc_lo, s10, v38
	v_add_co_ci_u32_e32 v39, vcc_lo, s11, v39, vcc_lo
	v_mov_b32_e32 v13, v14
	v_add_co_u32 v40, vcc_lo, s8, v40
	v_add_co_ci_u32_e32 v41, vcc_lo, s9, v41, vcc_lo
	global_load_b64 v[36:37], v[36:37], off
	global_load_b64 v[38:39], v[38:39], off
	;; [unrolled: 1-line block ×3, first 2 shown]
	v_lshlrev_b64 v[42:43], 3, v[12:13]
	v_add_nc_u32_e32 v13, -5, v12
	v_add_nc_u32_e32 v12, 0x280, v12
	s_delay_alu instid0(VALU_DEP_2) | instskip(SKIP_3) | instid1(VALU_DEP_3)
	v_lshlrev_b64 v[44:45], 3, v[13:14]
	v_add_nc_u32_e32 v13, 4, v21
	v_add_co_u32 v42, vcc_lo, s8, v42
	v_add_co_ci_u32_e32 v43, vcc_lo, s9, v43, vcc_lo
	v_lshlrev_b64 v[46:47], 3, v[13:14]
	v_add_co_u32 v44, vcc_lo, s8, v44
	v_add_co_ci_u32_e32 v45, vcc_lo, s9, v45, vcc_lo
	s_delay_alu instid0(VALU_DEP_3) | instskip(NEXT) | instid1(VALU_DEP_4)
	v_add_co_u32 v46, vcc_lo, s10, v46
	v_add_co_ci_u32_e32 v47, vcc_lo, s11, v47, vcc_lo
	s_clause 0x1
	global_load_b64 v[42:43], v[42:43], off
	global_load_b64 v[44:45], v[44:45], off
	;; [unrolled: 1-line block ×3, first 2 shown]
	v_cmp_ge_i32_e32 vcc_lo, v10, v16
	s_or_b32 s2, vcc_lo, s2
	s_waitcnt vmcnt(11)
	v_fma_f64 v[6:7], v[17:18], v[24:25], v[6:7]
	v_fma_f64 v[8:9], v[22:23], v[24:25], v[8:9]
	s_waitcnt vmcnt(10)
	s_delay_alu instid0(VALU_DEP_2) | instskip(SKIP_1) | instid1(VALU_DEP_2)
	v_fma_f64 v[6:7], v[19:20], v[26:27], v[6:7]
	s_waitcnt vmcnt(9)
	v_fma_f64 v[8:9], v[28:29], v[26:27], v[8:9]
	s_waitcnt vmcnt(7)
	s_delay_alu instid0(VALU_DEP_2) | instskip(SKIP_1) | instid1(VALU_DEP_2)
	v_fma_f64 v[6:7], v[30:31], v[32:33], v[6:7]
	s_waitcnt vmcnt(6)
	;; [unrolled: 5-line block ×3, first 2 shown]
	v_fma_f64 v[8:9], v[40:41], v[38:39], v[8:9]
	s_waitcnt vmcnt(0)
	s_delay_alu instid0(VALU_DEP_2) | instskip(NEXT) | instid1(VALU_DEP_2)
	v_fma_f64 v[6:7], v[44:45], v[46:47], v[6:7]
	v_fma_f64 v[8:9], v[42:43], v[46:47], v[8:9]
	s_and_not1_b32 exec_lo, exec_lo, s2
	s_cbranch_execnz .LBB95_15
; %bb.16:
	s_or_b32 exec_lo, exec_lo, s2
.LBB95_17:
	s_delay_alu instid0(SALU_CYCLE_1)
	s_or_b32 exec_lo, exec_lo, s3
.LBB95_18:
	v_mbcnt_lo_u32_b32 v14, -1, 0
	s_delay_alu instid0(VALU_DEP_1) | instskip(NEXT) | instid1(VALU_DEP_1)
	v_or_b32_e32 v10, 32, v14
	v_cmp_gt_i32_e32 vcc_lo, 32, v10
	v_cndmask_b32_e32 v10, v14, v10, vcc_lo
	s_delay_alu instid0(VALU_DEP_1)
	v_lshlrev_b32_e32 v13, 2, v10
	ds_bpermute_b32 v10, v13, v6
	ds_bpermute_b32 v11, v13, v7
	ds_bpermute_b32 v12, v13, v8
	ds_bpermute_b32 v13, v13, v9
	s_waitcnt lgkmcnt(2)
	v_add_f64 v[6:7], v[6:7], v[10:11]
	v_xor_b32_e32 v10, 16, v14
	s_waitcnt lgkmcnt(0)
	v_add_f64 v[8:9], v[8:9], v[12:13]
	s_delay_alu instid0(VALU_DEP_2) | instskip(SKIP_1) | instid1(VALU_DEP_1)
	v_cmp_gt_i32_e32 vcc_lo, 32, v10
	v_cndmask_b32_e32 v10, v14, v10, vcc_lo
	v_lshlrev_b32_e32 v13, 2, v10
	ds_bpermute_b32 v10, v13, v6
	ds_bpermute_b32 v11, v13, v7
	ds_bpermute_b32 v12, v13, v8
	ds_bpermute_b32 v13, v13, v9
	s_waitcnt lgkmcnt(2)
	v_add_f64 v[6:7], v[6:7], v[10:11]
	v_xor_b32_e32 v10, 8, v14
	s_waitcnt lgkmcnt(0)
	v_add_f64 v[8:9], v[8:9], v[12:13]
	s_delay_alu instid0(VALU_DEP_2) | instskip(SKIP_1) | instid1(VALU_DEP_1)
	v_cmp_gt_i32_e32 vcc_lo, 32, v10
	v_cndmask_b32_e32 v10, v14, v10, vcc_lo
	;; [unrolled: 13-line block ×4, first 2 shown]
	v_lshlrev_b32_e32 v13, 2, v10
	ds_bpermute_b32 v10, v13, v6
	ds_bpermute_b32 v11, v13, v7
	;; [unrolled: 1-line block ×4, first 2 shown]
	s_waitcnt lgkmcnt(2)
	v_add_f64 v[6:7], v[6:7], v[10:11]
	s_waitcnt lgkmcnt(0)
	v_add_f64 v[10:11], v[8:9], v[12:13]
	v_xor_b32_e32 v8, 1, v14
	s_delay_alu instid0(VALU_DEP_1) | instskip(SKIP_2) | instid1(VALU_DEP_2)
	v_cmp_gt_i32_e32 vcc_lo, 32, v8
	v_cndmask_b32_e32 v8, v14, v8, vcc_lo
	v_cmp_eq_u32_e32 vcc_lo, 63, v0
	v_lshlrev_b32_e32 v13, 2, v8
	ds_bpermute_b32 v8, v13, v6
	ds_bpermute_b32 v9, v13, v7
	;; [unrolled: 1-line block ×4, first 2 shown]
	s_and_b32 exec_lo, exec_lo, vcc_lo
	s_cbranch_execz .LBB95_23
; %bb.19:
	s_waitcnt lgkmcnt(2)
	v_add_f64 v[8:9], v[6:7], v[8:9]
	s_waitcnt lgkmcnt(0)
	v_add_f64 v[6:7], v[10:11], v[12:13]
	s_load_b64 s[0:1], s[0:1], 0x38
	s_mov_b32 s2, exec_lo
	v_cmpx_eq_f64_e32 0, v[3:4]
	s_xor_b32 s2, exec_lo, s2
	s_cbranch_execz .LBB95_21
; %bb.20:
	s_delay_alu instid0(VALU_DEP_3) | instskip(NEXT) | instid1(VALU_DEP_3)
	v_mul_f64 v[8:9], v[1:2], v[8:9]
	v_mul_f64 v[10:11], v[1:2], v[6:7]
	v_lshlrev_b32_e32 v0, 1, v5
                                        ; implicit-def: $vgpr5
                                        ; implicit-def: $vgpr3_vgpr4
                                        ; implicit-def: $vgpr6_vgpr7
	s_delay_alu instid0(VALU_DEP_1) | instskip(NEXT) | instid1(VALU_DEP_1)
	v_ashrrev_i32_e32 v1, 31, v0
	v_lshlrev_b64 v[0:1], 3, v[0:1]
	s_waitcnt lgkmcnt(0)
	s_delay_alu instid0(VALU_DEP_1) | instskip(NEXT) | instid1(VALU_DEP_2)
	v_add_co_u32 v0, vcc_lo, s0, v0
	v_add_co_ci_u32_e32 v1, vcc_lo, s1, v1, vcc_lo
	global_store_b128 v[0:1], v[8:11], off
                                        ; implicit-def: $vgpr1_vgpr2
                                        ; implicit-def: $vgpr8_vgpr9
.LBB95_21:
	s_and_not1_saveexec_b32 s2, s2
	s_cbranch_execz .LBB95_23
; %bb.22:
	v_lshlrev_b32_e32 v10, 1, v5
	s_delay_alu instid0(VALU_DEP_4) | instskip(NEXT) | instid1(VALU_DEP_4)
	v_mul_f64 v[8:9], v[1:2], v[8:9]
	v_mul_f64 v[5:6], v[1:2], v[6:7]
	s_delay_alu instid0(VALU_DEP_3) | instskip(NEXT) | instid1(VALU_DEP_1)
	v_ashrrev_i32_e32 v11, 31, v10
	v_lshlrev_b64 v[10:11], 3, v[10:11]
	s_waitcnt lgkmcnt(0)
	s_delay_alu instid0(VALU_DEP_1) | instskip(NEXT) | instid1(VALU_DEP_2)
	v_add_co_u32 v14, vcc_lo, s0, v10
	v_add_co_ci_u32_e32 v15, vcc_lo, s1, v11, vcc_lo
	global_load_b128 v[10:13], v[14:15], off
	s_waitcnt vmcnt(0)
	v_fma_f64 v[0:1], v[3:4], v[10:11], v[8:9]
	v_fma_f64 v[2:3], v[3:4], v[12:13], v[5:6]
	global_store_b128 v[14:15], v[0:3], off
.LBB95_23:
	s_nop 0
	s_sendmsg sendmsg(MSG_DEALLOC_VGPRS)
	s_endpgm
	.section	.rodata,"a",@progbits
	.p2align	6, 0x0
	.amdhsa_kernel _ZN9rocsparseL19gebsrmvn_2xn_kernelILj128ELj5ELj64EdEEvi20rocsparse_direction_NS_24const_host_device_scalarIT2_EEPKiS6_PKS3_S8_S4_PS3_21rocsparse_index_base_b
		.amdhsa_group_segment_fixed_size 0
		.amdhsa_private_segment_fixed_size 0
		.amdhsa_kernarg_size 72
		.amdhsa_user_sgpr_count 15
		.amdhsa_user_sgpr_dispatch_ptr 0
		.amdhsa_user_sgpr_queue_ptr 0
		.amdhsa_user_sgpr_kernarg_segment_ptr 1
		.amdhsa_user_sgpr_dispatch_id 0
		.amdhsa_user_sgpr_private_segment_size 0
		.amdhsa_wavefront_size32 1
		.amdhsa_uses_dynamic_stack 0
		.amdhsa_enable_private_segment 0
		.amdhsa_system_sgpr_workgroup_id_x 1
		.amdhsa_system_sgpr_workgroup_id_y 0
		.amdhsa_system_sgpr_workgroup_id_z 0
		.amdhsa_system_sgpr_workgroup_info 0
		.amdhsa_system_vgpr_workitem_id 0
		.amdhsa_next_free_vgpr 48
		.amdhsa_next_free_sgpr 16
		.amdhsa_reserve_vcc 1
		.amdhsa_float_round_mode_32 0
		.amdhsa_float_round_mode_16_64 0
		.amdhsa_float_denorm_mode_32 3
		.amdhsa_float_denorm_mode_16_64 3
		.amdhsa_dx10_clamp 1
		.amdhsa_ieee_mode 1
		.amdhsa_fp16_overflow 0
		.amdhsa_workgroup_processor_mode 1
		.amdhsa_memory_ordered 1
		.amdhsa_forward_progress 0
		.amdhsa_shared_vgpr_count 0
		.amdhsa_exception_fp_ieee_invalid_op 0
		.amdhsa_exception_fp_denorm_src 0
		.amdhsa_exception_fp_ieee_div_zero 0
		.amdhsa_exception_fp_ieee_overflow 0
		.amdhsa_exception_fp_ieee_underflow 0
		.amdhsa_exception_fp_ieee_inexact 0
		.amdhsa_exception_int_div_zero 0
	.end_amdhsa_kernel
	.section	.text._ZN9rocsparseL19gebsrmvn_2xn_kernelILj128ELj5ELj64EdEEvi20rocsparse_direction_NS_24const_host_device_scalarIT2_EEPKiS6_PKS3_S8_S4_PS3_21rocsparse_index_base_b,"axG",@progbits,_ZN9rocsparseL19gebsrmvn_2xn_kernelILj128ELj5ELj64EdEEvi20rocsparse_direction_NS_24const_host_device_scalarIT2_EEPKiS6_PKS3_S8_S4_PS3_21rocsparse_index_base_b,comdat
.Lfunc_end95:
	.size	_ZN9rocsparseL19gebsrmvn_2xn_kernelILj128ELj5ELj64EdEEvi20rocsparse_direction_NS_24const_host_device_scalarIT2_EEPKiS6_PKS3_S8_S4_PS3_21rocsparse_index_base_b, .Lfunc_end95-_ZN9rocsparseL19gebsrmvn_2xn_kernelILj128ELj5ELj64EdEEvi20rocsparse_direction_NS_24const_host_device_scalarIT2_EEPKiS6_PKS3_S8_S4_PS3_21rocsparse_index_base_b
                                        ; -- End function
	.section	.AMDGPU.csdata,"",@progbits
; Kernel info:
; codeLenInByte = 2420
; NumSgprs: 18
; NumVgprs: 48
; ScratchSize: 0
; MemoryBound: 0
; FloatMode: 240
; IeeeMode: 1
; LDSByteSize: 0 bytes/workgroup (compile time only)
; SGPRBlocks: 2
; VGPRBlocks: 5
; NumSGPRsForWavesPerEU: 18
; NumVGPRsForWavesPerEU: 48
; Occupancy: 16
; WaveLimiterHint : 1
; COMPUTE_PGM_RSRC2:SCRATCH_EN: 0
; COMPUTE_PGM_RSRC2:USER_SGPR: 15
; COMPUTE_PGM_RSRC2:TRAP_HANDLER: 0
; COMPUTE_PGM_RSRC2:TGID_X_EN: 1
; COMPUTE_PGM_RSRC2:TGID_Y_EN: 0
; COMPUTE_PGM_RSRC2:TGID_Z_EN: 0
; COMPUTE_PGM_RSRC2:TIDIG_COMP_CNT: 0
	.section	.text._ZN9rocsparseL19gebsrmvn_2xn_kernelILj128ELj6ELj4EdEEvi20rocsparse_direction_NS_24const_host_device_scalarIT2_EEPKiS6_PKS3_S8_S4_PS3_21rocsparse_index_base_b,"axG",@progbits,_ZN9rocsparseL19gebsrmvn_2xn_kernelILj128ELj6ELj4EdEEvi20rocsparse_direction_NS_24const_host_device_scalarIT2_EEPKiS6_PKS3_S8_S4_PS3_21rocsparse_index_base_b,comdat
	.globl	_ZN9rocsparseL19gebsrmvn_2xn_kernelILj128ELj6ELj4EdEEvi20rocsparse_direction_NS_24const_host_device_scalarIT2_EEPKiS6_PKS3_S8_S4_PS3_21rocsparse_index_base_b ; -- Begin function _ZN9rocsparseL19gebsrmvn_2xn_kernelILj128ELj6ELj4EdEEvi20rocsparse_direction_NS_24const_host_device_scalarIT2_EEPKiS6_PKS3_S8_S4_PS3_21rocsparse_index_base_b
	.p2align	8
	.type	_ZN9rocsparseL19gebsrmvn_2xn_kernelILj128ELj6ELj4EdEEvi20rocsparse_direction_NS_24const_host_device_scalarIT2_EEPKiS6_PKS3_S8_S4_PS3_21rocsparse_index_base_b,@function
_ZN9rocsparseL19gebsrmvn_2xn_kernelILj128ELj6ELj4EdEEvi20rocsparse_direction_NS_24const_host_device_scalarIT2_EEPKiS6_PKS3_S8_S4_PS3_21rocsparse_index_base_b: ; @_ZN9rocsparseL19gebsrmvn_2xn_kernelILj128ELj6ELj4EdEEvi20rocsparse_direction_NS_24const_host_device_scalarIT2_EEPKiS6_PKS3_S8_S4_PS3_21rocsparse_index_base_b
; %bb.0:
	s_clause 0x2
	s_load_b64 s[12:13], s[0:1], 0x40
	s_load_b64 s[4:5], s[0:1], 0x8
	;; [unrolled: 1-line block ×3, first 2 shown]
	s_waitcnt lgkmcnt(0)
	s_bitcmp1_b32 s13, 0
	v_dual_mov_b32 v1, s4 :: v_dual_mov_b32 v2, s5
	s_cselect_b32 s6, -1, 0
	s_delay_alu instid0(SALU_CYCLE_1)
	s_and_b32 vcc_lo, exec_lo, s6
	s_xor_b32 s6, s6, -1
	s_cbranch_vccnz .LBB96_2
; %bb.1:
	v_dual_mov_b32 v1, s4 :: v_dual_mov_b32 v2, s5
	flat_load_b64 v[1:2], v[1:2]
.LBB96_2:
	v_dual_mov_b32 v4, s3 :: v_dual_mov_b32 v3, s2
	s_and_not1_b32 vcc_lo, exec_lo, s6
	s_cbranch_vccnz .LBB96_4
; %bb.3:
	v_dual_mov_b32 v4, s3 :: v_dual_mov_b32 v3, s2
	flat_load_b64 v[3:4], v[3:4]
.LBB96_4:
	s_waitcnt vmcnt(0) lgkmcnt(0)
	v_cmp_neq_f64_e32 vcc_lo, 0, v[1:2]
	v_cmp_neq_f64_e64 s2, 1.0, v[3:4]
	s_delay_alu instid0(VALU_DEP_1) | instskip(NEXT) | instid1(SALU_CYCLE_1)
	s_or_b32 s2, vcc_lo, s2
	s_and_saveexec_b32 s3, s2
	s_cbranch_execz .LBB96_23
; %bb.5:
	s_load_b64 s[2:3], s[0:1], 0x0
	v_lshrrev_b32_e32 v5, 2, v0
	s_delay_alu instid0(VALU_DEP_1) | instskip(SKIP_1) | instid1(VALU_DEP_1)
	v_lshl_or_b32 v5, s15, 5, v5
	s_waitcnt lgkmcnt(0)
	v_cmp_gt_i32_e32 vcc_lo, s2, v5
	s_and_b32 exec_lo, exec_lo, vcc_lo
	s_cbranch_execz .LBB96_23
; %bb.6:
	s_load_b256 s[4:11], s[0:1], 0x10
	v_ashrrev_i32_e32 v6, 31, v5
	v_and_b32_e32 v0, 3, v0
	s_cmp_lg_u32 s3, 0
	s_delay_alu instid0(VALU_DEP_2) | instskip(SKIP_1) | instid1(VALU_DEP_1)
	v_lshlrev_b64 v[6:7], 2, v[5:6]
	s_waitcnt lgkmcnt(0)
	v_add_co_u32 v6, vcc_lo, s4, v6
	s_delay_alu instid0(VALU_DEP_2) | instskip(SKIP_4) | instid1(VALU_DEP_2)
	v_add_co_ci_u32_e32 v7, vcc_lo, s5, v7, vcc_lo
	global_load_b64 v[6:7], v[6:7], off
	s_waitcnt vmcnt(0)
	v_subrev_nc_u32_e32 v6, s12, v6
	v_subrev_nc_u32_e32 v17, s12, v7
	v_add_nc_u32_e32 v6, v6, v0
	s_delay_alu instid0(VALU_DEP_1)
	v_cmp_lt_i32_e64 s2, v6, v17
	s_cbranch_scc0 .LBB96_12
; %bb.7:
	v_mov_b32_e32 v8, 0
	v_mov_b32_e32 v9, 0
	s_delay_alu instid0(VALU_DEP_1)
	v_dual_mov_b32 v11, v9 :: v_dual_mov_b32 v10, v8
	s_and_saveexec_b32 s3, s2
	s_cbranch_execz .LBB96_11
; %bb.8:
	v_dual_mov_b32 v8, 0 :: v_dual_mov_b32 v15, v6
	v_dual_mov_b32 v9, 0 :: v_dual_mov_b32 v14, 0
	v_mad_u64_u32 v[12:13], null, v6, 12, 10
	s_mov_b32 s4, 0
	s_delay_alu instid0(VALU_DEP_2)
	v_dual_mov_b32 v11, v9 :: v_dual_mov_b32 v10, v8
.LBB96_9:                               ; =>This Inner Loop Header: Depth=1
	v_ashrrev_i32_e32 v16, 31, v15
	s_delay_alu instid0(VALU_DEP_3) | instskip(SKIP_1) | instid1(VALU_DEP_3)
	v_add_nc_u32_e32 v13, -10, v12
	v_mov_b32_e32 v43, v14
	v_lshlrev_b64 v[18:19], 2, v[15:16]
	v_add_nc_u32_e32 v15, 4, v15
	s_delay_alu instid0(VALU_DEP_2) | instskip(NEXT) | instid1(VALU_DEP_3)
	v_add_co_u32 v18, vcc_lo, s6, v18
	v_add_co_ci_u32_e32 v19, vcc_lo, s7, v19, vcc_lo
	global_load_b32 v7, v[18:19], off
	v_lshlrev_b64 v[18:19], 3, v[13:14]
	v_add_nc_u32_e32 v13, -6, v12
	s_delay_alu instid0(VALU_DEP_1) | instskip(NEXT) | instid1(VALU_DEP_3)
	v_lshlrev_b64 v[30:31], 3, v[13:14]
	v_add_co_u32 v22, vcc_lo, s8, v18
	s_delay_alu instid0(VALU_DEP_4) | instskip(SKIP_2) | instid1(VALU_DEP_1)
	v_add_co_ci_u32_e32 v23, vcc_lo, s9, v19, vcc_lo
	s_waitcnt vmcnt(0)
	v_subrev_nc_u32_e32 v7, s12, v7
	v_mul_lo_u32 v42, v7, 6
	s_delay_alu instid0(VALU_DEP_1) | instskip(SKIP_1) | instid1(VALU_DEP_1)
	v_lshlrev_b64 v[20:21], 3, v[42:43]
	v_add_nc_u32_e32 v13, 2, v42
	v_lshlrev_b64 v[32:33], 3, v[13:14]
	s_delay_alu instid0(VALU_DEP_3) | instskip(NEXT) | instid1(VALU_DEP_4)
	v_add_co_u32 v26, vcc_lo, s10, v20
	v_add_co_ci_u32_e32 v27, vcc_lo, s11, v21, vcc_lo
	s_clause 0x1
	global_load_b128 v[18:21], v[22:23], off offset:16
	global_load_b128 v[22:25], v[22:23], off
	global_load_b128 v[26:29], v[26:27], off
	v_add_co_u32 v30, vcc_lo, s8, v30
	v_add_co_ci_u32_e32 v31, vcc_lo, s9, v31, vcc_lo
	v_add_co_u32 v34, vcc_lo, s10, v32
	v_add_co_ci_u32_e32 v35, vcc_lo, s11, v33, vcc_lo
	global_load_b128 v[30:33], v[30:31], off
	global_load_b128 v[34:37], v[34:35], off
	v_add_nc_u32_e32 v13, -4, v12
	s_delay_alu instid0(VALU_DEP_1) | instskip(SKIP_1) | instid1(VALU_DEP_2)
	v_lshlrev_b64 v[38:39], 3, v[13:14]
	v_add_nc_u32_e32 v13, -2, v12
	v_add_co_u32 v38, vcc_lo, s8, v38
	s_delay_alu instid0(VALU_DEP_3) | instskip(NEXT) | instid1(VALU_DEP_3)
	v_add_co_ci_u32_e32 v39, vcc_lo, s9, v39, vcc_lo
	v_lshlrev_b64 v[43:44], 3, v[13:14]
	v_add_nc_u32_e32 v13, 4, v42
	global_load_b128 v[38:41], v[38:39], off
	v_lshlrev_b64 v[45:46], 3, v[13:14]
	v_add_co_u32 v42, vcc_lo, s8, v43
	v_add_co_ci_u32_e32 v43, vcc_lo, s9, v44, vcc_lo
	v_mov_b32_e32 v13, v14
	s_delay_alu instid0(VALU_DEP_4)
	v_add_co_u32 v47, vcc_lo, s10, v45
	v_add_co_ci_u32_e32 v48, vcc_lo, s11, v46, vcc_lo
	global_load_b128 v[42:45], v[42:43], off
	global_load_b128 v[46:49], v[47:48], off
	v_lshlrev_b64 v[50:51], 3, v[12:13]
	v_add_nc_u32_e32 v12, 48, v12
	s_delay_alu instid0(VALU_DEP_2) | instskip(NEXT) | instid1(VALU_DEP_3)
	v_add_co_u32 v50, vcc_lo, s8, v50
	v_add_co_ci_u32_e32 v51, vcc_lo, s9, v51, vcc_lo
	v_cmp_ge_i32_e32 vcc_lo, v15, v17
	global_load_b128 v[50:53], v[50:51], off
	s_or_b32 s4, vcc_lo, s4
	s_waitcnt vmcnt(6)
	v_fma_f64 v[7:8], v[22:23], v[26:27], v[8:9]
	v_fma_f64 v[9:10], v[24:25], v[26:27], v[10:11]
	s_delay_alu instid0(VALU_DEP_2) | instskip(NEXT) | instid1(VALU_DEP_2)
	v_fma_f64 v[7:8], v[18:19], v[28:29], v[7:8]
	v_fma_f64 v[9:10], v[20:21], v[28:29], v[9:10]
	s_waitcnt vmcnt(4)
	s_delay_alu instid0(VALU_DEP_2) | instskip(NEXT) | instid1(VALU_DEP_2)
	v_fma_f64 v[7:8], v[30:31], v[34:35], v[7:8]
	v_fma_f64 v[9:10], v[32:33], v[34:35], v[9:10]
	s_waitcnt vmcnt(3)
	;; [unrolled: 4-line block ×4, first 2 shown]
	s_delay_alu instid0(VALU_DEP_2) | instskip(NEXT) | instid1(VALU_DEP_2)
	v_fma_f64 v[8:9], v[50:51], v[48:49], v[7:8]
	v_fma_f64 v[10:11], v[52:53], v[48:49], v[10:11]
	s_and_not1_b32 exec_lo, exec_lo, s4
	s_cbranch_execnz .LBB96_9
; %bb.10:
	s_or_b32 exec_lo, exec_lo, s4
.LBB96_11:
	s_delay_alu instid0(SALU_CYCLE_1)
	s_or_b32 exec_lo, exec_lo, s3
	s_cbranch_execz .LBB96_13
	s_branch .LBB96_18
.LBB96_12:
                                        ; implicit-def: $vgpr8_vgpr9
                                        ; implicit-def: $vgpr10_vgpr11
.LBB96_13:
	v_mov_b32_e32 v8, 0
	v_mov_b32_e32 v9, 0
	s_delay_alu instid0(VALU_DEP_1)
	v_dual_mov_b32 v11, v9 :: v_dual_mov_b32 v10, v8
	s_and_saveexec_b32 s3, s2
	s_cbranch_execz .LBB96_17
; %bb.14:
	v_mov_b32_e32 v8, 0
	v_dual_mov_b32 v9, 0 :: v_dual_mov_b32 v14, 0
	v_mad_u64_u32 v[12:13], null, v6, 12, 11
	s_mov_b32 s2, 0
	s_delay_alu instid0(VALU_DEP_2)
	v_dual_mov_b32 v11, v9 :: v_dual_mov_b32 v10, v8
.LBB96_15:                              ; =>This Inner Loop Header: Depth=1
	v_ashrrev_i32_e32 v7, 31, v6
	s_delay_alu instid0(VALU_DEP_3) | instskip(SKIP_1) | instid1(VALU_DEP_3)
	v_add_nc_u32_e32 v13, -11, v12
	v_mov_b32_e32 v35, v14
	v_lshlrev_b64 v[15:16], 2, v[6:7]
	v_add_nc_u32_e32 v6, 4, v6
	s_delay_alu instid0(VALU_DEP_2) | instskip(NEXT) | instid1(VALU_DEP_3)
	v_add_co_u32 v15, vcc_lo, s6, v15
	v_add_co_ci_u32_e32 v16, vcc_lo, s7, v16, vcc_lo
	global_load_b32 v7, v[15:16], off
	v_dual_mov_b32 v16, v14 :: v_dual_add_nc_u32 v15, -5, v12
	v_lshlrev_b64 v[18:19], 3, v[13:14]
	v_add_nc_u32_e32 v13, -4, v12
	s_delay_alu instid0(VALU_DEP_3) | instskip(NEXT) | instid1(VALU_DEP_3)
	v_lshlrev_b64 v[15:16], 3, v[15:16]
	v_add_co_u32 v22, vcc_lo, s8, v18
	s_delay_alu instid0(VALU_DEP_4) | instskip(NEXT) | instid1(VALU_DEP_3)
	v_add_co_ci_u32_e32 v23, vcc_lo, s9, v19, vcc_lo
	v_add_co_u32 v15, vcc_lo, s8, v15
	s_delay_alu instid0(VALU_DEP_4) | instskip(SKIP_3) | instid1(VALU_DEP_1)
	v_add_co_ci_u32_e32 v16, vcc_lo, s9, v16, vcc_lo
	v_lshlrev_b64 v[30:31], 3, v[13:14]
	s_waitcnt vmcnt(0)
	v_subrev_nc_u32_e32 v7, s12, v7
	v_mul_lo_u32 v34, v7, 6
	s_delay_alu instid0(VALU_DEP_1) | instskip(SKIP_1) | instid1(VALU_DEP_2)
	v_lshlrev_b64 v[18:19], 3, v[34:35]
	v_add_nc_u32_e32 v13, 2, v34
	v_add_co_u32 v26, vcc_lo, s10, v18
	s_delay_alu instid0(VALU_DEP_3)
	v_add_co_ci_u32_e32 v27, vcc_lo, s11, v19, vcc_lo
	s_clause 0x2
	global_load_b128 v[18:21], v[22:23], off offset:16
	global_load_b128 v[22:25], v[22:23], off
	global_load_b64 v[15:16], v[15:16], off
	global_load_b128 v[26:29], v[26:27], off
	v_add_co_u32 v30, vcc_lo, s8, v30
	v_add_co_ci_u32_e32 v31, vcc_lo, s9, v31, vcc_lo
	global_load_b64 v[38:39], v[30:31], off
	v_lshlrev_b64 v[30:31], 3, v[13:14]
	v_add_nc_u32_e32 v13, -3, v12
	s_delay_alu instid0(VALU_DEP_1) | instskip(NEXT) | instid1(VALU_DEP_3)
	v_lshlrev_b64 v[32:33], 3, v[13:14]
	v_add_co_u32 v30, vcc_lo, s10, v30
	s_delay_alu instid0(VALU_DEP_4) | instskip(SKIP_1) | instid1(VALU_DEP_4)
	v_add_co_ci_u32_e32 v31, vcc_lo, s11, v31, vcc_lo
	v_add_nc_u32_e32 v13, -2, v12
	v_add_co_u32 v35, vcc_lo, s8, v32
	v_add_co_ci_u32_e32 v36, vcc_lo, s9, v33, vcc_lo
	global_load_b128 v[30:33], v[30:31], off
	global_load_b64 v[40:41], v[35:36], off
	v_lshlrev_b64 v[35:36], 3, v[13:14]
	v_add_nc_u32_e32 v13, -7, v12
	s_delay_alu instid0(VALU_DEP_2) | instskip(NEXT) | instid1(VALU_DEP_3)
	v_add_co_u32 v35, vcc_lo, s8, v35
	v_add_co_ci_u32_e32 v36, vcc_lo, s9, v36, vcc_lo
	global_load_b64 v[42:43], v[35:36], off
	v_lshlrev_b64 v[35:36], 3, v[13:14]
	v_add_nc_u32_e32 v13, 4, v34
	s_delay_alu instid0(VALU_DEP_1) | instskip(SKIP_1) | instid1(VALU_DEP_4)
	v_lshlrev_b64 v[44:45], 3, v[13:14]
	v_add_nc_u32_e32 v13, -1, v12
	v_add_co_u32 v34, vcc_lo, s8, v35
	v_add_co_ci_u32_e32 v35, vcc_lo, s9, v36, vcc_lo
	s_delay_alu instid0(VALU_DEP_3) | instskip(SKIP_3) | instid1(VALU_DEP_4)
	v_lshlrev_b64 v[36:37], 3, v[13:14]
	v_add_co_u32 v44, vcc_lo, s10, v44
	v_add_co_ci_u32_e32 v45, vcc_lo, s11, v45, vcc_lo
	v_mov_b32_e32 v13, v14
	v_add_co_u32 v46, vcc_lo, s8, v36
	v_add_co_ci_u32_e32 v47, vcc_lo, s9, v37, vcc_lo
	global_load_b64 v[48:49], v[34:35], off
	global_load_b128 v[34:37], v[44:45], off
	global_load_b64 v[44:45], v[46:47], off
	v_lshlrev_b64 v[46:47], 3, v[12:13]
	v_add_nc_u32_e32 v13, -6, v12
	v_add_nc_u32_e32 v12, 48, v12
	s_delay_alu instid0(VALU_DEP_2) | instskip(NEXT) | instid1(VALU_DEP_4)
	v_lshlrev_b64 v[50:51], 3, v[13:14]
	v_add_co_u32 v46, vcc_lo, s8, v46
	v_add_co_ci_u32_e32 v47, vcc_lo, s9, v47, vcc_lo
	s_delay_alu instid0(VALU_DEP_3) | instskip(NEXT) | instid1(VALU_DEP_4)
	v_add_co_u32 v50, vcc_lo, s8, v50
	v_add_co_ci_u32_e32 v51, vcc_lo, s9, v51, vcc_lo
	s_clause 0x1
	global_load_b64 v[50:51], v[50:51], off
	global_load_b64 v[46:47], v[46:47], off
	v_cmp_ge_i32_e32 vcc_lo, v6, v17
	s_or_b32 s2, vcc_lo, s2
	s_waitcnt vmcnt(9)
	v_fma_f64 v[7:8], v[22:23], v[26:27], v[8:9]
	v_fma_f64 v[9:10], v[15:16], v[26:27], v[10:11]
	s_delay_alu instid0(VALU_DEP_2) | instskip(SKIP_1) | instid1(VALU_DEP_2)
	v_fma_f64 v[7:8], v[24:25], v[28:29], v[7:8]
	s_waitcnt vmcnt(8)
	v_fma_f64 v[9:10], v[38:39], v[28:29], v[9:10]
	s_waitcnt vmcnt(7)
	s_delay_alu instid0(VALU_DEP_2) | instskip(SKIP_1) | instid1(VALU_DEP_2)
	v_fma_f64 v[7:8], v[18:19], v[30:31], v[7:8]
	s_waitcnt vmcnt(6)
	v_fma_f64 v[9:10], v[40:41], v[30:31], v[9:10]
	s_delay_alu instid0(VALU_DEP_2) | instskip(SKIP_1) | instid1(VALU_DEP_2)
	v_fma_f64 v[7:8], v[20:21], v[32:33], v[7:8]
	s_waitcnt vmcnt(5)
	v_fma_f64 v[9:10], v[42:43], v[32:33], v[9:10]
	s_waitcnt vmcnt(3)
	s_delay_alu instid0(VALU_DEP_2) | instskip(SKIP_1) | instid1(VALU_DEP_2)
	v_fma_f64 v[7:8], v[48:49], v[34:35], v[7:8]
	s_waitcnt vmcnt(2)
	v_fma_f64 v[10:11], v[44:45], v[34:35], v[9:10]
	s_waitcnt vmcnt(1)
	s_delay_alu instid0(VALU_DEP_2) | instskip(SKIP_1) | instid1(VALU_DEP_2)
	v_fma_f64 v[8:9], v[50:51], v[36:37], v[7:8]
	s_waitcnt vmcnt(0)
	v_fma_f64 v[10:11], v[46:47], v[36:37], v[10:11]
	s_and_not1_b32 exec_lo, exec_lo, s2
	s_cbranch_execnz .LBB96_15
; %bb.16:
	s_or_b32 exec_lo, exec_lo, s2
.LBB96_17:
	s_delay_alu instid0(SALU_CYCLE_1)
	s_or_b32 exec_lo, exec_lo, s3
.LBB96_18:
	v_mbcnt_lo_u32_b32 v14, -1, 0
	s_delay_alu instid0(VALU_DEP_1) | instskip(NEXT) | instid1(VALU_DEP_1)
	v_xor_b32_e32 v6, 2, v14
	v_cmp_gt_i32_e32 vcc_lo, 32, v6
	v_cndmask_b32_e32 v6, v14, v6, vcc_lo
	s_delay_alu instid0(VALU_DEP_1)
	v_lshlrev_b32_e32 v13, 2, v6
	ds_bpermute_b32 v6, v13, v8
	ds_bpermute_b32 v7, v13, v9
	s_waitcnt lgkmcnt(0)
	v_add_f64 v[6:7], v[8:9], v[6:7]
	v_xor_b32_e32 v8, 1, v14
	s_delay_alu instid0(VALU_DEP_1)
	v_cmp_gt_i32_e32 vcc_lo, 32, v8
	v_cndmask_b32_e32 v8, v14, v8, vcc_lo
	ds_bpermute_b32 v12, v13, v10
	ds_bpermute_b32 v13, v13, v11
	v_cmp_eq_u32_e32 vcc_lo, 3, v0
	s_waitcnt lgkmcnt(0)
	v_add_f64 v[10:11], v[10:11], v[12:13]
	v_lshlrev_b32_e32 v13, 2, v8
	ds_bpermute_b32 v8, v13, v6
	ds_bpermute_b32 v9, v13, v7
	;; [unrolled: 1-line block ×4, first 2 shown]
	s_and_b32 exec_lo, exec_lo, vcc_lo
	s_cbranch_execz .LBB96_23
; %bb.19:
	s_waitcnt lgkmcnt(2)
	v_add_f64 v[8:9], v[6:7], v[8:9]
	s_waitcnt lgkmcnt(0)
	v_add_f64 v[6:7], v[10:11], v[12:13]
	s_load_b64 s[0:1], s[0:1], 0x38
	s_mov_b32 s2, exec_lo
	v_cmpx_eq_f64_e32 0, v[3:4]
	s_xor_b32 s2, exec_lo, s2
	s_cbranch_execz .LBB96_21
; %bb.20:
	s_delay_alu instid0(VALU_DEP_3) | instskip(NEXT) | instid1(VALU_DEP_3)
	v_mul_f64 v[8:9], v[1:2], v[8:9]
	v_mul_f64 v[10:11], v[1:2], v[6:7]
	v_lshlrev_b32_e32 v0, 1, v5
                                        ; implicit-def: $vgpr5
                                        ; implicit-def: $vgpr3_vgpr4
                                        ; implicit-def: $vgpr6_vgpr7
	s_delay_alu instid0(VALU_DEP_1) | instskip(NEXT) | instid1(VALU_DEP_1)
	v_ashrrev_i32_e32 v1, 31, v0
	v_lshlrev_b64 v[0:1], 3, v[0:1]
	s_waitcnt lgkmcnt(0)
	s_delay_alu instid0(VALU_DEP_1) | instskip(NEXT) | instid1(VALU_DEP_2)
	v_add_co_u32 v0, vcc_lo, s0, v0
	v_add_co_ci_u32_e32 v1, vcc_lo, s1, v1, vcc_lo
	global_store_b128 v[0:1], v[8:11], off
                                        ; implicit-def: $vgpr1_vgpr2
                                        ; implicit-def: $vgpr8_vgpr9
.LBB96_21:
	s_and_not1_saveexec_b32 s2, s2
	s_cbranch_execz .LBB96_23
; %bb.22:
	v_lshlrev_b32_e32 v10, 1, v5
	s_delay_alu instid0(VALU_DEP_4) | instskip(NEXT) | instid1(VALU_DEP_4)
	v_mul_f64 v[8:9], v[1:2], v[8:9]
	v_mul_f64 v[5:6], v[1:2], v[6:7]
	s_delay_alu instid0(VALU_DEP_3) | instskip(NEXT) | instid1(VALU_DEP_1)
	v_ashrrev_i32_e32 v11, 31, v10
	v_lshlrev_b64 v[10:11], 3, v[10:11]
	s_waitcnt lgkmcnt(0)
	s_delay_alu instid0(VALU_DEP_1) | instskip(NEXT) | instid1(VALU_DEP_2)
	v_add_co_u32 v14, vcc_lo, s0, v10
	v_add_co_ci_u32_e32 v15, vcc_lo, s1, v11, vcc_lo
	global_load_b128 v[10:13], v[14:15], off
	s_waitcnt vmcnt(0)
	v_fma_f64 v[0:1], v[3:4], v[10:11], v[8:9]
	v_fma_f64 v[2:3], v[3:4], v[12:13], v[5:6]
	global_store_b128 v[14:15], v[0:3], off
.LBB96_23:
	s_nop 0
	s_sendmsg sendmsg(MSG_DEALLOC_VGPRS)
	s_endpgm
	.section	.rodata,"a",@progbits
	.p2align	6, 0x0
	.amdhsa_kernel _ZN9rocsparseL19gebsrmvn_2xn_kernelILj128ELj6ELj4EdEEvi20rocsparse_direction_NS_24const_host_device_scalarIT2_EEPKiS6_PKS3_S8_S4_PS3_21rocsparse_index_base_b
		.amdhsa_group_segment_fixed_size 0
		.amdhsa_private_segment_fixed_size 0
		.amdhsa_kernarg_size 72
		.amdhsa_user_sgpr_count 15
		.amdhsa_user_sgpr_dispatch_ptr 0
		.amdhsa_user_sgpr_queue_ptr 0
		.amdhsa_user_sgpr_kernarg_segment_ptr 1
		.amdhsa_user_sgpr_dispatch_id 0
		.amdhsa_user_sgpr_private_segment_size 0
		.amdhsa_wavefront_size32 1
		.amdhsa_uses_dynamic_stack 0
		.amdhsa_enable_private_segment 0
		.amdhsa_system_sgpr_workgroup_id_x 1
		.amdhsa_system_sgpr_workgroup_id_y 0
		.amdhsa_system_sgpr_workgroup_id_z 0
		.amdhsa_system_sgpr_workgroup_info 0
		.amdhsa_system_vgpr_workitem_id 0
		.amdhsa_next_free_vgpr 54
		.amdhsa_next_free_sgpr 16
		.amdhsa_reserve_vcc 1
		.amdhsa_float_round_mode_32 0
		.amdhsa_float_round_mode_16_64 0
		.amdhsa_float_denorm_mode_32 3
		.amdhsa_float_denorm_mode_16_64 3
		.amdhsa_dx10_clamp 1
		.amdhsa_ieee_mode 1
		.amdhsa_fp16_overflow 0
		.amdhsa_workgroup_processor_mode 1
		.amdhsa_memory_ordered 1
		.amdhsa_forward_progress 0
		.amdhsa_shared_vgpr_count 0
		.amdhsa_exception_fp_ieee_invalid_op 0
		.amdhsa_exception_fp_denorm_src 0
		.amdhsa_exception_fp_ieee_div_zero 0
		.amdhsa_exception_fp_ieee_overflow 0
		.amdhsa_exception_fp_ieee_underflow 0
		.amdhsa_exception_fp_ieee_inexact 0
		.amdhsa_exception_int_div_zero 0
	.end_amdhsa_kernel
	.section	.text._ZN9rocsparseL19gebsrmvn_2xn_kernelILj128ELj6ELj4EdEEvi20rocsparse_direction_NS_24const_host_device_scalarIT2_EEPKiS6_PKS3_S8_S4_PS3_21rocsparse_index_base_b,"axG",@progbits,_ZN9rocsparseL19gebsrmvn_2xn_kernelILj128ELj6ELj4EdEEvi20rocsparse_direction_NS_24const_host_device_scalarIT2_EEPKiS6_PKS3_S8_S4_PS3_21rocsparse_index_base_b,comdat
.Lfunc_end96:
	.size	_ZN9rocsparseL19gebsrmvn_2xn_kernelILj128ELj6ELj4EdEEvi20rocsparse_direction_NS_24const_host_device_scalarIT2_EEPKiS6_PKS3_S8_S4_PS3_21rocsparse_index_base_b, .Lfunc_end96-_ZN9rocsparseL19gebsrmvn_2xn_kernelILj128ELj6ELj4EdEEvi20rocsparse_direction_NS_24const_host_device_scalarIT2_EEPKiS6_PKS3_S8_S4_PS3_21rocsparse_index_base_b
                                        ; -- End function
	.section	.AMDGPU.csdata,"",@progbits
; Kernel info:
; codeLenInByte = 2024
; NumSgprs: 18
; NumVgprs: 54
; ScratchSize: 0
; MemoryBound: 0
; FloatMode: 240
; IeeeMode: 1
; LDSByteSize: 0 bytes/workgroup (compile time only)
; SGPRBlocks: 2
; VGPRBlocks: 6
; NumSGPRsForWavesPerEU: 18
; NumVGPRsForWavesPerEU: 54
; Occupancy: 16
; WaveLimiterHint : 1
; COMPUTE_PGM_RSRC2:SCRATCH_EN: 0
; COMPUTE_PGM_RSRC2:USER_SGPR: 15
; COMPUTE_PGM_RSRC2:TRAP_HANDLER: 0
; COMPUTE_PGM_RSRC2:TGID_X_EN: 1
; COMPUTE_PGM_RSRC2:TGID_Y_EN: 0
; COMPUTE_PGM_RSRC2:TGID_Z_EN: 0
; COMPUTE_PGM_RSRC2:TIDIG_COMP_CNT: 0
	.section	.text._ZN9rocsparseL19gebsrmvn_2xn_kernelILj128ELj6ELj8EdEEvi20rocsparse_direction_NS_24const_host_device_scalarIT2_EEPKiS6_PKS3_S8_S4_PS3_21rocsparse_index_base_b,"axG",@progbits,_ZN9rocsparseL19gebsrmvn_2xn_kernelILj128ELj6ELj8EdEEvi20rocsparse_direction_NS_24const_host_device_scalarIT2_EEPKiS6_PKS3_S8_S4_PS3_21rocsparse_index_base_b,comdat
	.globl	_ZN9rocsparseL19gebsrmvn_2xn_kernelILj128ELj6ELj8EdEEvi20rocsparse_direction_NS_24const_host_device_scalarIT2_EEPKiS6_PKS3_S8_S4_PS3_21rocsparse_index_base_b ; -- Begin function _ZN9rocsparseL19gebsrmvn_2xn_kernelILj128ELj6ELj8EdEEvi20rocsparse_direction_NS_24const_host_device_scalarIT2_EEPKiS6_PKS3_S8_S4_PS3_21rocsparse_index_base_b
	.p2align	8
	.type	_ZN9rocsparseL19gebsrmvn_2xn_kernelILj128ELj6ELj8EdEEvi20rocsparse_direction_NS_24const_host_device_scalarIT2_EEPKiS6_PKS3_S8_S4_PS3_21rocsparse_index_base_b,@function
_ZN9rocsparseL19gebsrmvn_2xn_kernelILj128ELj6ELj8EdEEvi20rocsparse_direction_NS_24const_host_device_scalarIT2_EEPKiS6_PKS3_S8_S4_PS3_21rocsparse_index_base_b: ; @_ZN9rocsparseL19gebsrmvn_2xn_kernelILj128ELj6ELj8EdEEvi20rocsparse_direction_NS_24const_host_device_scalarIT2_EEPKiS6_PKS3_S8_S4_PS3_21rocsparse_index_base_b
; %bb.0:
	s_clause 0x2
	s_load_b64 s[12:13], s[0:1], 0x40
	s_load_b64 s[4:5], s[0:1], 0x8
	;; [unrolled: 1-line block ×3, first 2 shown]
	s_waitcnt lgkmcnt(0)
	s_bitcmp1_b32 s13, 0
	v_dual_mov_b32 v1, s4 :: v_dual_mov_b32 v2, s5
	s_cselect_b32 s6, -1, 0
	s_delay_alu instid0(SALU_CYCLE_1)
	s_and_b32 vcc_lo, exec_lo, s6
	s_xor_b32 s6, s6, -1
	s_cbranch_vccnz .LBB97_2
; %bb.1:
	v_dual_mov_b32 v1, s4 :: v_dual_mov_b32 v2, s5
	flat_load_b64 v[1:2], v[1:2]
.LBB97_2:
	v_dual_mov_b32 v4, s3 :: v_dual_mov_b32 v3, s2
	s_and_not1_b32 vcc_lo, exec_lo, s6
	s_cbranch_vccnz .LBB97_4
; %bb.3:
	v_dual_mov_b32 v4, s3 :: v_dual_mov_b32 v3, s2
	flat_load_b64 v[3:4], v[3:4]
.LBB97_4:
	s_waitcnt vmcnt(0) lgkmcnt(0)
	v_cmp_neq_f64_e32 vcc_lo, 0, v[1:2]
	v_cmp_neq_f64_e64 s2, 1.0, v[3:4]
	s_delay_alu instid0(VALU_DEP_1) | instskip(NEXT) | instid1(SALU_CYCLE_1)
	s_or_b32 s2, vcc_lo, s2
	s_and_saveexec_b32 s3, s2
	s_cbranch_execz .LBB97_23
; %bb.5:
	s_load_b64 s[2:3], s[0:1], 0x0
	v_lshrrev_b32_e32 v5, 3, v0
	s_delay_alu instid0(VALU_DEP_1) | instskip(SKIP_1) | instid1(VALU_DEP_1)
	v_lshl_or_b32 v5, s15, 4, v5
	s_waitcnt lgkmcnt(0)
	v_cmp_gt_i32_e32 vcc_lo, s2, v5
	s_and_b32 exec_lo, exec_lo, vcc_lo
	s_cbranch_execz .LBB97_23
; %bb.6:
	s_load_b256 s[4:11], s[0:1], 0x10
	v_ashrrev_i32_e32 v6, 31, v5
	v_and_b32_e32 v0, 7, v0
	s_cmp_lg_u32 s3, 0
	s_delay_alu instid0(VALU_DEP_2) | instskip(SKIP_1) | instid1(VALU_DEP_1)
	v_lshlrev_b64 v[6:7], 2, v[5:6]
	s_waitcnt lgkmcnt(0)
	v_add_co_u32 v6, vcc_lo, s4, v6
	s_delay_alu instid0(VALU_DEP_2) | instskip(SKIP_4) | instid1(VALU_DEP_2)
	v_add_co_ci_u32_e32 v7, vcc_lo, s5, v7, vcc_lo
	global_load_b64 v[6:7], v[6:7], off
	s_waitcnt vmcnt(0)
	v_subrev_nc_u32_e32 v6, s12, v6
	v_subrev_nc_u32_e32 v17, s12, v7
	v_add_nc_u32_e32 v6, v6, v0
	s_delay_alu instid0(VALU_DEP_1)
	v_cmp_lt_i32_e64 s2, v6, v17
	s_cbranch_scc0 .LBB97_12
; %bb.7:
	v_mov_b32_e32 v8, 0
	v_mov_b32_e32 v9, 0
	s_delay_alu instid0(VALU_DEP_1)
	v_dual_mov_b32 v11, v9 :: v_dual_mov_b32 v10, v8
	s_and_saveexec_b32 s3, s2
	s_cbranch_execz .LBB97_11
; %bb.8:
	v_dual_mov_b32 v8, 0 :: v_dual_mov_b32 v15, v6
	v_dual_mov_b32 v9, 0 :: v_dual_mov_b32 v14, 0
	v_mad_u64_u32 v[12:13], null, v6, 12, 10
	s_mov_b32 s4, 0
	s_delay_alu instid0(VALU_DEP_2)
	v_dual_mov_b32 v11, v9 :: v_dual_mov_b32 v10, v8
.LBB97_9:                               ; =>This Inner Loop Header: Depth=1
	v_ashrrev_i32_e32 v16, 31, v15
	s_delay_alu instid0(VALU_DEP_3) | instskip(SKIP_1) | instid1(VALU_DEP_3)
	v_add_nc_u32_e32 v13, -10, v12
	v_mov_b32_e32 v43, v14
	v_lshlrev_b64 v[18:19], 2, v[15:16]
	v_add_nc_u32_e32 v15, 8, v15
	s_delay_alu instid0(VALU_DEP_2) | instskip(NEXT) | instid1(VALU_DEP_3)
	v_add_co_u32 v18, vcc_lo, s6, v18
	v_add_co_ci_u32_e32 v19, vcc_lo, s7, v19, vcc_lo
	global_load_b32 v7, v[18:19], off
	v_lshlrev_b64 v[18:19], 3, v[13:14]
	v_add_nc_u32_e32 v13, -6, v12
	s_delay_alu instid0(VALU_DEP_1) | instskip(NEXT) | instid1(VALU_DEP_3)
	v_lshlrev_b64 v[30:31], 3, v[13:14]
	v_add_co_u32 v22, vcc_lo, s8, v18
	s_delay_alu instid0(VALU_DEP_4) | instskip(SKIP_2) | instid1(VALU_DEP_1)
	v_add_co_ci_u32_e32 v23, vcc_lo, s9, v19, vcc_lo
	s_waitcnt vmcnt(0)
	v_subrev_nc_u32_e32 v7, s12, v7
	v_mul_lo_u32 v42, v7, 6
	s_delay_alu instid0(VALU_DEP_1) | instskip(SKIP_1) | instid1(VALU_DEP_1)
	v_lshlrev_b64 v[20:21], 3, v[42:43]
	v_add_nc_u32_e32 v13, 2, v42
	v_lshlrev_b64 v[32:33], 3, v[13:14]
	s_delay_alu instid0(VALU_DEP_3) | instskip(NEXT) | instid1(VALU_DEP_4)
	v_add_co_u32 v26, vcc_lo, s10, v20
	v_add_co_ci_u32_e32 v27, vcc_lo, s11, v21, vcc_lo
	s_clause 0x1
	global_load_b128 v[18:21], v[22:23], off offset:16
	global_load_b128 v[22:25], v[22:23], off
	global_load_b128 v[26:29], v[26:27], off
	v_add_co_u32 v30, vcc_lo, s8, v30
	v_add_co_ci_u32_e32 v31, vcc_lo, s9, v31, vcc_lo
	v_add_co_u32 v34, vcc_lo, s10, v32
	v_add_co_ci_u32_e32 v35, vcc_lo, s11, v33, vcc_lo
	global_load_b128 v[30:33], v[30:31], off
	global_load_b128 v[34:37], v[34:35], off
	v_add_nc_u32_e32 v13, -4, v12
	s_delay_alu instid0(VALU_DEP_1) | instskip(SKIP_1) | instid1(VALU_DEP_2)
	v_lshlrev_b64 v[38:39], 3, v[13:14]
	v_add_nc_u32_e32 v13, -2, v12
	v_add_co_u32 v38, vcc_lo, s8, v38
	s_delay_alu instid0(VALU_DEP_3) | instskip(NEXT) | instid1(VALU_DEP_3)
	v_add_co_ci_u32_e32 v39, vcc_lo, s9, v39, vcc_lo
	v_lshlrev_b64 v[43:44], 3, v[13:14]
	v_add_nc_u32_e32 v13, 4, v42
	global_load_b128 v[38:41], v[38:39], off
	v_lshlrev_b64 v[45:46], 3, v[13:14]
	v_add_co_u32 v42, vcc_lo, s8, v43
	v_add_co_ci_u32_e32 v43, vcc_lo, s9, v44, vcc_lo
	v_mov_b32_e32 v13, v14
	s_delay_alu instid0(VALU_DEP_4)
	v_add_co_u32 v47, vcc_lo, s10, v45
	v_add_co_ci_u32_e32 v48, vcc_lo, s11, v46, vcc_lo
	global_load_b128 v[42:45], v[42:43], off
	global_load_b128 v[46:49], v[47:48], off
	v_lshlrev_b64 v[50:51], 3, v[12:13]
	v_add_nc_u32_e32 v12, 0x60, v12
	s_delay_alu instid0(VALU_DEP_2) | instskip(NEXT) | instid1(VALU_DEP_3)
	v_add_co_u32 v50, vcc_lo, s8, v50
	v_add_co_ci_u32_e32 v51, vcc_lo, s9, v51, vcc_lo
	v_cmp_ge_i32_e32 vcc_lo, v15, v17
	global_load_b128 v[50:53], v[50:51], off
	s_or_b32 s4, vcc_lo, s4
	s_waitcnt vmcnt(6)
	v_fma_f64 v[7:8], v[22:23], v[26:27], v[8:9]
	v_fma_f64 v[9:10], v[24:25], v[26:27], v[10:11]
	s_delay_alu instid0(VALU_DEP_2) | instskip(NEXT) | instid1(VALU_DEP_2)
	v_fma_f64 v[7:8], v[18:19], v[28:29], v[7:8]
	v_fma_f64 v[9:10], v[20:21], v[28:29], v[9:10]
	s_waitcnt vmcnt(4)
	s_delay_alu instid0(VALU_DEP_2) | instskip(NEXT) | instid1(VALU_DEP_2)
	v_fma_f64 v[7:8], v[30:31], v[34:35], v[7:8]
	v_fma_f64 v[9:10], v[32:33], v[34:35], v[9:10]
	s_waitcnt vmcnt(3)
	;; [unrolled: 4-line block ×4, first 2 shown]
	s_delay_alu instid0(VALU_DEP_2) | instskip(NEXT) | instid1(VALU_DEP_2)
	v_fma_f64 v[8:9], v[50:51], v[48:49], v[7:8]
	v_fma_f64 v[10:11], v[52:53], v[48:49], v[10:11]
	s_and_not1_b32 exec_lo, exec_lo, s4
	s_cbranch_execnz .LBB97_9
; %bb.10:
	s_or_b32 exec_lo, exec_lo, s4
.LBB97_11:
	s_delay_alu instid0(SALU_CYCLE_1)
	s_or_b32 exec_lo, exec_lo, s3
	s_cbranch_execz .LBB97_13
	s_branch .LBB97_18
.LBB97_12:
                                        ; implicit-def: $vgpr8_vgpr9
                                        ; implicit-def: $vgpr10_vgpr11
.LBB97_13:
	v_mov_b32_e32 v8, 0
	v_mov_b32_e32 v9, 0
	s_delay_alu instid0(VALU_DEP_1)
	v_dual_mov_b32 v11, v9 :: v_dual_mov_b32 v10, v8
	s_and_saveexec_b32 s3, s2
	s_cbranch_execz .LBB97_17
; %bb.14:
	v_mov_b32_e32 v8, 0
	v_dual_mov_b32 v9, 0 :: v_dual_mov_b32 v14, 0
	v_mad_u64_u32 v[12:13], null, v6, 12, 11
	s_mov_b32 s2, 0
	s_delay_alu instid0(VALU_DEP_2)
	v_dual_mov_b32 v11, v9 :: v_dual_mov_b32 v10, v8
.LBB97_15:                              ; =>This Inner Loop Header: Depth=1
	v_ashrrev_i32_e32 v7, 31, v6
	s_delay_alu instid0(VALU_DEP_3) | instskip(SKIP_1) | instid1(VALU_DEP_3)
	v_add_nc_u32_e32 v13, -11, v12
	v_mov_b32_e32 v35, v14
	v_lshlrev_b64 v[15:16], 2, v[6:7]
	v_add_nc_u32_e32 v6, 8, v6
	s_delay_alu instid0(VALU_DEP_2) | instskip(NEXT) | instid1(VALU_DEP_3)
	v_add_co_u32 v15, vcc_lo, s6, v15
	v_add_co_ci_u32_e32 v16, vcc_lo, s7, v16, vcc_lo
	global_load_b32 v7, v[15:16], off
	v_dual_mov_b32 v16, v14 :: v_dual_add_nc_u32 v15, -5, v12
	v_lshlrev_b64 v[18:19], 3, v[13:14]
	v_add_nc_u32_e32 v13, -4, v12
	s_delay_alu instid0(VALU_DEP_3) | instskip(NEXT) | instid1(VALU_DEP_3)
	v_lshlrev_b64 v[15:16], 3, v[15:16]
	v_add_co_u32 v22, vcc_lo, s8, v18
	s_delay_alu instid0(VALU_DEP_4) | instskip(NEXT) | instid1(VALU_DEP_3)
	v_add_co_ci_u32_e32 v23, vcc_lo, s9, v19, vcc_lo
	v_add_co_u32 v15, vcc_lo, s8, v15
	s_delay_alu instid0(VALU_DEP_4) | instskip(SKIP_3) | instid1(VALU_DEP_1)
	v_add_co_ci_u32_e32 v16, vcc_lo, s9, v16, vcc_lo
	v_lshlrev_b64 v[30:31], 3, v[13:14]
	s_waitcnt vmcnt(0)
	v_subrev_nc_u32_e32 v7, s12, v7
	v_mul_lo_u32 v34, v7, 6
	s_delay_alu instid0(VALU_DEP_1) | instskip(SKIP_1) | instid1(VALU_DEP_2)
	v_lshlrev_b64 v[18:19], 3, v[34:35]
	v_add_nc_u32_e32 v13, 2, v34
	v_add_co_u32 v26, vcc_lo, s10, v18
	s_delay_alu instid0(VALU_DEP_3)
	v_add_co_ci_u32_e32 v27, vcc_lo, s11, v19, vcc_lo
	s_clause 0x2
	global_load_b128 v[18:21], v[22:23], off offset:16
	global_load_b128 v[22:25], v[22:23], off
	global_load_b64 v[15:16], v[15:16], off
	global_load_b128 v[26:29], v[26:27], off
	v_add_co_u32 v30, vcc_lo, s8, v30
	v_add_co_ci_u32_e32 v31, vcc_lo, s9, v31, vcc_lo
	global_load_b64 v[38:39], v[30:31], off
	v_lshlrev_b64 v[30:31], 3, v[13:14]
	v_add_nc_u32_e32 v13, -3, v12
	s_delay_alu instid0(VALU_DEP_1) | instskip(NEXT) | instid1(VALU_DEP_3)
	v_lshlrev_b64 v[32:33], 3, v[13:14]
	v_add_co_u32 v30, vcc_lo, s10, v30
	s_delay_alu instid0(VALU_DEP_4) | instskip(SKIP_1) | instid1(VALU_DEP_4)
	v_add_co_ci_u32_e32 v31, vcc_lo, s11, v31, vcc_lo
	v_add_nc_u32_e32 v13, -2, v12
	v_add_co_u32 v35, vcc_lo, s8, v32
	v_add_co_ci_u32_e32 v36, vcc_lo, s9, v33, vcc_lo
	global_load_b128 v[30:33], v[30:31], off
	global_load_b64 v[40:41], v[35:36], off
	v_lshlrev_b64 v[35:36], 3, v[13:14]
	v_add_nc_u32_e32 v13, -7, v12
	s_delay_alu instid0(VALU_DEP_2) | instskip(NEXT) | instid1(VALU_DEP_3)
	v_add_co_u32 v35, vcc_lo, s8, v35
	v_add_co_ci_u32_e32 v36, vcc_lo, s9, v36, vcc_lo
	global_load_b64 v[42:43], v[35:36], off
	v_lshlrev_b64 v[35:36], 3, v[13:14]
	v_add_nc_u32_e32 v13, 4, v34
	s_delay_alu instid0(VALU_DEP_1) | instskip(SKIP_1) | instid1(VALU_DEP_4)
	v_lshlrev_b64 v[44:45], 3, v[13:14]
	v_add_nc_u32_e32 v13, -1, v12
	v_add_co_u32 v34, vcc_lo, s8, v35
	v_add_co_ci_u32_e32 v35, vcc_lo, s9, v36, vcc_lo
	s_delay_alu instid0(VALU_DEP_3) | instskip(SKIP_3) | instid1(VALU_DEP_4)
	v_lshlrev_b64 v[36:37], 3, v[13:14]
	v_add_co_u32 v44, vcc_lo, s10, v44
	v_add_co_ci_u32_e32 v45, vcc_lo, s11, v45, vcc_lo
	v_mov_b32_e32 v13, v14
	v_add_co_u32 v46, vcc_lo, s8, v36
	v_add_co_ci_u32_e32 v47, vcc_lo, s9, v37, vcc_lo
	global_load_b64 v[48:49], v[34:35], off
	global_load_b128 v[34:37], v[44:45], off
	global_load_b64 v[44:45], v[46:47], off
	v_lshlrev_b64 v[46:47], 3, v[12:13]
	v_add_nc_u32_e32 v13, -6, v12
	v_add_nc_u32_e32 v12, 0x60, v12
	s_delay_alu instid0(VALU_DEP_2) | instskip(NEXT) | instid1(VALU_DEP_4)
	v_lshlrev_b64 v[50:51], 3, v[13:14]
	v_add_co_u32 v46, vcc_lo, s8, v46
	v_add_co_ci_u32_e32 v47, vcc_lo, s9, v47, vcc_lo
	s_delay_alu instid0(VALU_DEP_3) | instskip(NEXT) | instid1(VALU_DEP_4)
	v_add_co_u32 v50, vcc_lo, s8, v50
	v_add_co_ci_u32_e32 v51, vcc_lo, s9, v51, vcc_lo
	s_clause 0x1
	global_load_b64 v[50:51], v[50:51], off
	global_load_b64 v[46:47], v[46:47], off
	v_cmp_ge_i32_e32 vcc_lo, v6, v17
	s_or_b32 s2, vcc_lo, s2
	s_waitcnt vmcnt(9)
	v_fma_f64 v[7:8], v[22:23], v[26:27], v[8:9]
	v_fma_f64 v[9:10], v[15:16], v[26:27], v[10:11]
	s_delay_alu instid0(VALU_DEP_2) | instskip(SKIP_1) | instid1(VALU_DEP_2)
	v_fma_f64 v[7:8], v[24:25], v[28:29], v[7:8]
	s_waitcnt vmcnt(8)
	v_fma_f64 v[9:10], v[38:39], v[28:29], v[9:10]
	s_waitcnt vmcnt(7)
	s_delay_alu instid0(VALU_DEP_2) | instskip(SKIP_1) | instid1(VALU_DEP_2)
	v_fma_f64 v[7:8], v[18:19], v[30:31], v[7:8]
	s_waitcnt vmcnt(6)
	v_fma_f64 v[9:10], v[40:41], v[30:31], v[9:10]
	s_delay_alu instid0(VALU_DEP_2) | instskip(SKIP_1) | instid1(VALU_DEP_2)
	v_fma_f64 v[7:8], v[20:21], v[32:33], v[7:8]
	s_waitcnt vmcnt(5)
	v_fma_f64 v[9:10], v[42:43], v[32:33], v[9:10]
	s_waitcnt vmcnt(3)
	s_delay_alu instid0(VALU_DEP_2) | instskip(SKIP_1) | instid1(VALU_DEP_2)
	v_fma_f64 v[7:8], v[48:49], v[34:35], v[7:8]
	s_waitcnt vmcnt(2)
	v_fma_f64 v[10:11], v[44:45], v[34:35], v[9:10]
	s_waitcnt vmcnt(1)
	s_delay_alu instid0(VALU_DEP_2) | instskip(SKIP_1) | instid1(VALU_DEP_2)
	v_fma_f64 v[8:9], v[50:51], v[36:37], v[7:8]
	s_waitcnt vmcnt(0)
	v_fma_f64 v[10:11], v[46:47], v[36:37], v[10:11]
	s_and_not1_b32 exec_lo, exec_lo, s2
	s_cbranch_execnz .LBB97_15
; %bb.16:
	s_or_b32 exec_lo, exec_lo, s2
.LBB97_17:
	s_delay_alu instid0(SALU_CYCLE_1)
	s_or_b32 exec_lo, exec_lo, s3
.LBB97_18:
	v_mbcnt_lo_u32_b32 v14, -1, 0
	s_delay_alu instid0(VALU_DEP_1) | instskip(NEXT) | instid1(VALU_DEP_1)
	v_xor_b32_e32 v6, 4, v14
	v_cmp_gt_i32_e32 vcc_lo, 32, v6
	v_cndmask_b32_e32 v6, v14, v6, vcc_lo
	s_delay_alu instid0(VALU_DEP_1)
	v_lshlrev_b32_e32 v13, 2, v6
	ds_bpermute_b32 v6, v13, v8
	ds_bpermute_b32 v7, v13, v9
	ds_bpermute_b32 v12, v13, v10
	ds_bpermute_b32 v13, v13, v11
	s_waitcnt lgkmcnt(2)
	v_add_f64 v[6:7], v[8:9], v[6:7]
	s_waitcnt lgkmcnt(0)
	v_add_f64 v[8:9], v[10:11], v[12:13]
	v_xor_b32_e32 v10, 2, v14
	s_delay_alu instid0(VALU_DEP_1) | instskip(SKIP_1) | instid1(VALU_DEP_1)
	v_cmp_gt_i32_e32 vcc_lo, 32, v10
	v_cndmask_b32_e32 v10, v14, v10, vcc_lo
	v_lshlrev_b32_e32 v13, 2, v10
	ds_bpermute_b32 v10, v13, v6
	ds_bpermute_b32 v11, v13, v7
	;; [unrolled: 1-line block ×4, first 2 shown]
	s_waitcnt lgkmcnt(2)
	v_add_f64 v[6:7], v[6:7], v[10:11]
	s_waitcnt lgkmcnt(0)
	v_add_f64 v[10:11], v[8:9], v[12:13]
	v_xor_b32_e32 v8, 1, v14
	s_delay_alu instid0(VALU_DEP_1) | instskip(SKIP_2) | instid1(VALU_DEP_2)
	v_cmp_gt_i32_e32 vcc_lo, 32, v8
	v_cndmask_b32_e32 v8, v14, v8, vcc_lo
	v_cmp_eq_u32_e32 vcc_lo, 7, v0
	v_lshlrev_b32_e32 v13, 2, v8
	ds_bpermute_b32 v8, v13, v6
	ds_bpermute_b32 v9, v13, v7
	ds_bpermute_b32 v12, v13, v10
	ds_bpermute_b32 v13, v13, v11
	s_and_b32 exec_lo, exec_lo, vcc_lo
	s_cbranch_execz .LBB97_23
; %bb.19:
	s_waitcnt lgkmcnt(2)
	v_add_f64 v[8:9], v[6:7], v[8:9]
	s_waitcnt lgkmcnt(0)
	v_add_f64 v[6:7], v[10:11], v[12:13]
	s_load_b64 s[0:1], s[0:1], 0x38
	s_mov_b32 s2, exec_lo
	v_cmpx_eq_f64_e32 0, v[3:4]
	s_xor_b32 s2, exec_lo, s2
	s_cbranch_execz .LBB97_21
; %bb.20:
	s_delay_alu instid0(VALU_DEP_3) | instskip(NEXT) | instid1(VALU_DEP_3)
	v_mul_f64 v[8:9], v[1:2], v[8:9]
	v_mul_f64 v[10:11], v[1:2], v[6:7]
	v_lshlrev_b32_e32 v0, 1, v5
                                        ; implicit-def: $vgpr5
                                        ; implicit-def: $vgpr3_vgpr4
                                        ; implicit-def: $vgpr6_vgpr7
	s_delay_alu instid0(VALU_DEP_1) | instskip(NEXT) | instid1(VALU_DEP_1)
	v_ashrrev_i32_e32 v1, 31, v0
	v_lshlrev_b64 v[0:1], 3, v[0:1]
	s_waitcnt lgkmcnt(0)
	s_delay_alu instid0(VALU_DEP_1) | instskip(NEXT) | instid1(VALU_DEP_2)
	v_add_co_u32 v0, vcc_lo, s0, v0
	v_add_co_ci_u32_e32 v1, vcc_lo, s1, v1, vcc_lo
	global_store_b128 v[0:1], v[8:11], off
                                        ; implicit-def: $vgpr1_vgpr2
                                        ; implicit-def: $vgpr8_vgpr9
.LBB97_21:
	s_and_not1_saveexec_b32 s2, s2
	s_cbranch_execz .LBB97_23
; %bb.22:
	v_lshlrev_b32_e32 v10, 1, v5
	s_delay_alu instid0(VALU_DEP_4) | instskip(NEXT) | instid1(VALU_DEP_4)
	v_mul_f64 v[8:9], v[1:2], v[8:9]
	v_mul_f64 v[5:6], v[1:2], v[6:7]
	s_delay_alu instid0(VALU_DEP_3) | instskip(NEXT) | instid1(VALU_DEP_1)
	v_ashrrev_i32_e32 v11, 31, v10
	v_lshlrev_b64 v[10:11], 3, v[10:11]
	s_waitcnt lgkmcnt(0)
	s_delay_alu instid0(VALU_DEP_1) | instskip(NEXT) | instid1(VALU_DEP_2)
	v_add_co_u32 v14, vcc_lo, s0, v10
	v_add_co_ci_u32_e32 v15, vcc_lo, s1, v11, vcc_lo
	global_load_b128 v[10:13], v[14:15], off
	s_waitcnt vmcnt(0)
	v_fma_f64 v[0:1], v[3:4], v[10:11], v[8:9]
	v_fma_f64 v[2:3], v[3:4], v[12:13], v[5:6]
	global_store_b128 v[14:15], v[0:3], off
.LBB97_23:
	s_nop 0
	s_sendmsg sendmsg(MSG_DEALLOC_VGPRS)
	s_endpgm
	.section	.rodata,"a",@progbits
	.p2align	6, 0x0
	.amdhsa_kernel _ZN9rocsparseL19gebsrmvn_2xn_kernelILj128ELj6ELj8EdEEvi20rocsparse_direction_NS_24const_host_device_scalarIT2_EEPKiS6_PKS3_S8_S4_PS3_21rocsparse_index_base_b
		.amdhsa_group_segment_fixed_size 0
		.amdhsa_private_segment_fixed_size 0
		.amdhsa_kernarg_size 72
		.amdhsa_user_sgpr_count 15
		.amdhsa_user_sgpr_dispatch_ptr 0
		.amdhsa_user_sgpr_queue_ptr 0
		.amdhsa_user_sgpr_kernarg_segment_ptr 1
		.amdhsa_user_sgpr_dispatch_id 0
		.amdhsa_user_sgpr_private_segment_size 0
		.amdhsa_wavefront_size32 1
		.amdhsa_uses_dynamic_stack 0
		.amdhsa_enable_private_segment 0
		.amdhsa_system_sgpr_workgroup_id_x 1
		.amdhsa_system_sgpr_workgroup_id_y 0
		.amdhsa_system_sgpr_workgroup_id_z 0
		.amdhsa_system_sgpr_workgroup_info 0
		.amdhsa_system_vgpr_workitem_id 0
		.amdhsa_next_free_vgpr 54
		.amdhsa_next_free_sgpr 16
		.amdhsa_reserve_vcc 1
		.amdhsa_float_round_mode_32 0
		.amdhsa_float_round_mode_16_64 0
		.amdhsa_float_denorm_mode_32 3
		.amdhsa_float_denorm_mode_16_64 3
		.amdhsa_dx10_clamp 1
		.amdhsa_ieee_mode 1
		.amdhsa_fp16_overflow 0
		.amdhsa_workgroup_processor_mode 1
		.amdhsa_memory_ordered 1
		.amdhsa_forward_progress 0
		.amdhsa_shared_vgpr_count 0
		.amdhsa_exception_fp_ieee_invalid_op 0
		.amdhsa_exception_fp_denorm_src 0
		.amdhsa_exception_fp_ieee_div_zero 0
		.amdhsa_exception_fp_ieee_overflow 0
		.amdhsa_exception_fp_ieee_underflow 0
		.amdhsa_exception_fp_ieee_inexact 0
		.amdhsa_exception_int_div_zero 0
	.end_amdhsa_kernel
	.section	.text._ZN9rocsparseL19gebsrmvn_2xn_kernelILj128ELj6ELj8EdEEvi20rocsparse_direction_NS_24const_host_device_scalarIT2_EEPKiS6_PKS3_S8_S4_PS3_21rocsparse_index_base_b,"axG",@progbits,_ZN9rocsparseL19gebsrmvn_2xn_kernelILj128ELj6ELj8EdEEvi20rocsparse_direction_NS_24const_host_device_scalarIT2_EEPKiS6_PKS3_S8_S4_PS3_21rocsparse_index_base_b,comdat
.Lfunc_end97:
	.size	_ZN9rocsparseL19gebsrmvn_2xn_kernelILj128ELj6ELj8EdEEvi20rocsparse_direction_NS_24const_host_device_scalarIT2_EEPKiS6_PKS3_S8_S4_PS3_21rocsparse_index_base_b, .Lfunc_end97-_ZN9rocsparseL19gebsrmvn_2xn_kernelILj128ELj6ELj8EdEEvi20rocsparse_direction_NS_24const_host_device_scalarIT2_EEPKiS6_PKS3_S8_S4_PS3_21rocsparse_index_base_b
                                        ; -- End function
	.section	.AMDGPU.csdata,"",@progbits
; Kernel info:
; codeLenInByte = 2108
; NumSgprs: 18
; NumVgprs: 54
; ScratchSize: 0
; MemoryBound: 0
; FloatMode: 240
; IeeeMode: 1
; LDSByteSize: 0 bytes/workgroup (compile time only)
; SGPRBlocks: 2
; VGPRBlocks: 6
; NumSGPRsForWavesPerEU: 18
; NumVGPRsForWavesPerEU: 54
; Occupancy: 16
; WaveLimiterHint : 1
; COMPUTE_PGM_RSRC2:SCRATCH_EN: 0
; COMPUTE_PGM_RSRC2:USER_SGPR: 15
; COMPUTE_PGM_RSRC2:TRAP_HANDLER: 0
; COMPUTE_PGM_RSRC2:TGID_X_EN: 1
; COMPUTE_PGM_RSRC2:TGID_Y_EN: 0
; COMPUTE_PGM_RSRC2:TGID_Z_EN: 0
; COMPUTE_PGM_RSRC2:TIDIG_COMP_CNT: 0
	.section	.text._ZN9rocsparseL19gebsrmvn_2xn_kernelILj128ELj6ELj16EdEEvi20rocsparse_direction_NS_24const_host_device_scalarIT2_EEPKiS6_PKS3_S8_S4_PS3_21rocsparse_index_base_b,"axG",@progbits,_ZN9rocsparseL19gebsrmvn_2xn_kernelILj128ELj6ELj16EdEEvi20rocsparse_direction_NS_24const_host_device_scalarIT2_EEPKiS6_PKS3_S8_S4_PS3_21rocsparse_index_base_b,comdat
	.globl	_ZN9rocsparseL19gebsrmvn_2xn_kernelILj128ELj6ELj16EdEEvi20rocsparse_direction_NS_24const_host_device_scalarIT2_EEPKiS6_PKS3_S8_S4_PS3_21rocsparse_index_base_b ; -- Begin function _ZN9rocsparseL19gebsrmvn_2xn_kernelILj128ELj6ELj16EdEEvi20rocsparse_direction_NS_24const_host_device_scalarIT2_EEPKiS6_PKS3_S8_S4_PS3_21rocsparse_index_base_b
	.p2align	8
	.type	_ZN9rocsparseL19gebsrmvn_2xn_kernelILj128ELj6ELj16EdEEvi20rocsparse_direction_NS_24const_host_device_scalarIT2_EEPKiS6_PKS3_S8_S4_PS3_21rocsparse_index_base_b,@function
_ZN9rocsparseL19gebsrmvn_2xn_kernelILj128ELj6ELj16EdEEvi20rocsparse_direction_NS_24const_host_device_scalarIT2_EEPKiS6_PKS3_S8_S4_PS3_21rocsparse_index_base_b: ; @_ZN9rocsparseL19gebsrmvn_2xn_kernelILj128ELj6ELj16EdEEvi20rocsparse_direction_NS_24const_host_device_scalarIT2_EEPKiS6_PKS3_S8_S4_PS3_21rocsparse_index_base_b
; %bb.0:
	s_clause 0x2
	s_load_b64 s[12:13], s[0:1], 0x40
	s_load_b64 s[4:5], s[0:1], 0x8
	;; [unrolled: 1-line block ×3, first 2 shown]
	s_waitcnt lgkmcnt(0)
	s_bitcmp1_b32 s13, 0
	v_dual_mov_b32 v1, s4 :: v_dual_mov_b32 v2, s5
	s_cselect_b32 s6, -1, 0
	s_delay_alu instid0(SALU_CYCLE_1)
	s_and_b32 vcc_lo, exec_lo, s6
	s_xor_b32 s6, s6, -1
	s_cbranch_vccnz .LBB98_2
; %bb.1:
	v_dual_mov_b32 v1, s4 :: v_dual_mov_b32 v2, s5
	flat_load_b64 v[1:2], v[1:2]
.LBB98_2:
	v_dual_mov_b32 v4, s3 :: v_dual_mov_b32 v3, s2
	s_and_not1_b32 vcc_lo, exec_lo, s6
	s_cbranch_vccnz .LBB98_4
; %bb.3:
	v_dual_mov_b32 v4, s3 :: v_dual_mov_b32 v3, s2
	flat_load_b64 v[3:4], v[3:4]
.LBB98_4:
	s_waitcnt vmcnt(0) lgkmcnt(0)
	v_cmp_neq_f64_e32 vcc_lo, 0, v[1:2]
	v_cmp_neq_f64_e64 s2, 1.0, v[3:4]
	s_delay_alu instid0(VALU_DEP_1) | instskip(NEXT) | instid1(SALU_CYCLE_1)
	s_or_b32 s2, vcc_lo, s2
	s_and_saveexec_b32 s3, s2
	s_cbranch_execz .LBB98_23
; %bb.5:
	s_load_b64 s[2:3], s[0:1], 0x0
	v_lshrrev_b32_e32 v5, 4, v0
	s_delay_alu instid0(VALU_DEP_1) | instskip(SKIP_1) | instid1(VALU_DEP_1)
	v_lshl_or_b32 v5, s15, 3, v5
	s_waitcnt lgkmcnt(0)
	v_cmp_gt_i32_e32 vcc_lo, s2, v5
	s_and_b32 exec_lo, exec_lo, vcc_lo
	s_cbranch_execz .LBB98_23
; %bb.6:
	s_load_b256 s[4:11], s[0:1], 0x10
	v_ashrrev_i32_e32 v6, 31, v5
	v_and_b32_e32 v0, 15, v0
	s_cmp_lg_u32 s3, 0
	s_delay_alu instid0(VALU_DEP_2) | instskip(SKIP_1) | instid1(VALU_DEP_1)
	v_lshlrev_b64 v[6:7], 2, v[5:6]
	s_waitcnt lgkmcnt(0)
	v_add_co_u32 v6, vcc_lo, s4, v6
	s_delay_alu instid0(VALU_DEP_2) | instskip(SKIP_4) | instid1(VALU_DEP_2)
	v_add_co_ci_u32_e32 v7, vcc_lo, s5, v7, vcc_lo
	global_load_b64 v[6:7], v[6:7], off
	s_waitcnt vmcnt(0)
	v_subrev_nc_u32_e32 v6, s12, v6
	v_subrev_nc_u32_e32 v17, s12, v7
	v_add_nc_u32_e32 v8, v6, v0
	s_delay_alu instid0(VALU_DEP_1)
	v_cmp_lt_i32_e64 s2, v8, v17
	s_cbranch_scc0 .LBB98_12
; %bb.7:
	v_mov_b32_e32 v6, 0
	v_mov_b32_e32 v7, 0
	s_delay_alu instid0(VALU_DEP_1)
	v_dual_mov_b32 v11, v7 :: v_dual_mov_b32 v10, v6
	s_and_saveexec_b32 s3, s2
	s_cbranch_execz .LBB98_11
; %bb.8:
	v_dual_mov_b32 v6, 0 :: v_dual_mov_b32 v15, v8
	v_dual_mov_b32 v7, 0 :: v_dual_mov_b32 v14, 0
	v_mad_u64_u32 v[12:13], null, v8, 12, 10
	s_mov_b32 s4, 0
	s_delay_alu instid0(VALU_DEP_2)
	v_dual_mov_b32 v11, v7 :: v_dual_mov_b32 v10, v6
.LBB98_9:                               ; =>This Inner Loop Header: Depth=1
	v_ashrrev_i32_e32 v16, 31, v15
	s_delay_alu instid0(VALU_DEP_3) | instskip(SKIP_1) | instid1(VALU_DEP_3)
	v_add_nc_u32_e32 v13, -10, v12
	v_mov_b32_e32 v43, v14
	v_lshlrev_b64 v[18:19], 2, v[15:16]
	v_add_nc_u32_e32 v15, 16, v15
	s_delay_alu instid0(VALU_DEP_2) | instskip(NEXT) | instid1(VALU_DEP_3)
	v_add_co_u32 v18, vcc_lo, s6, v18
	v_add_co_ci_u32_e32 v19, vcc_lo, s7, v19, vcc_lo
	global_load_b32 v9, v[18:19], off
	v_lshlrev_b64 v[18:19], 3, v[13:14]
	v_add_nc_u32_e32 v13, -6, v12
	s_delay_alu instid0(VALU_DEP_1) | instskip(NEXT) | instid1(VALU_DEP_3)
	v_lshlrev_b64 v[30:31], 3, v[13:14]
	v_add_co_u32 v22, vcc_lo, s8, v18
	s_delay_alu instid0(VALU_DEP_4) | instskip(SKIP_2) | instid1(VALU_DEP_1)
	v_add_co_ci_u32_e32 v23, vcc_lo, s9, v19, vcc_lo
	s_waitcnt vmcnt(0)
	v_subrev_nc_u32_e32 v9, s12, v9
	v_mul_lo_u32 v42, v9, 6
	s_delay_alu instid0(VALU_DEP_1) | instskip(SKIP_1) | instid1(VALU_DEP_1)
	v_lshlrev_b64 v[20:21], 3, v[42:43]
	v_add_nc_u32_e32 v13, 2, v42
	v_lshlrev_b64 v[32:33], 3, v[13:14]
	s_delay_alu instid0(VALU_DEP_3) | instskip(NEXT) | instid1(VALU_DEP_4)
	v_add_co_u32 v26, vcc_lo, s10, v20
	v_add_co_ci_u32_e32 v27, vcc_lo, s11, v21, vcc_lo
	s_clause 0x1
	global_load_b128 v[18:21], v[22:23], off offset:16
	global_load_b128 v[22:25], v[22:23], off
	global_load_b128 v[26:29], v[26:27], off
	v_add_co_u32 v30, vcc_lo, s8, v30
	v_add_co_ci_u32_e32 v31, vcc_lo, s9, v31, vcc_lo
	v_add_co_u32 v34, vcc_lo, s10, v32
	v_add_co_ci_u32_e32 v35, vcc_lo, s11, v33, vcc_lo
	global_load_b128 v[30:33], v[30:31], off
	global_load_b128 v[34:37], v[34:35], off
	v_add_nc_u32_e32 v13, -4, v12
	s_delay_alu instid0(VALU_DEP_1) | instskip(SKIP_1) | instid1(VALU_DEP_2)
	v_lshlrev_b64 v[38:39], 3, v[13:14]
	v_add_nc_u32_e32 v13, -2, v12
	v_add_co_u32 v38, vcc_lo, s8, v38
	s_delay_alu instid0(VALU_DEP_3) | instskip(NEXT) | instid1(VALU_DEP_3)
	v_add_co_ci_u32_e32 v39, vcc_lo, s9, v39, vcc_lo
	v_lshlrev_b64 v[43:44], 3, v[13:14]
	v_add_nc_u32_e32 v13, 4, v42
	global_load_b128 v[38:41], v[38:39], off
	v_lshlrev_b64 v[45:46], 3, v[13:14]
	v_add_co_u32 v42, vcc_lo, s8, v43
	v_add_co_ci_u32_e32 v43, vcc_lo, s9, v44, vcc_lo
	v_mov_b32_e32 v13, v14
	s_delay_alu instid0(VALU_DEP_4)
	v_add_co_u32 v47, vcc_lo, s10, v45
	v_add_co_ci_u32_e32 v48, vcc_lo, s11, v46, vcc_lo
	global_load_b128 v[42:45], v[42:43], off
	global_load_b128 v[46:49], v[47:48], off
	v_lshlrev_b64 v[50:51], 3, v[12:13]
	v_add_nc_u32_e32 v12, 0xc0, v12
	s_delay_alu instid0(VALU_DEP_2) | instskip(NEXT) | instid1(VALU_DEP_3)
	v_add_co_u32 v50, vcc_lo, s8, v50
	v_add_co_ci_u32_e32 v51, vcc_lo, s9, v51, vcc_lo
	v_cmp_ge_i32_e32 vcc_lo, v15, v17
	global_load_b128 v[50:53], v[50:51], off
	s_or_b32 s4, vcc_lo, s4
	s_waitcnt vmcnt(6)
	v_fma_f64 v[6:7], v[22:23], v[26:27], v[6:7]
	v_fma_f64 v[9:10], v[24:25], v[26:27], v[10:11]
	s_delay_alu instid0(VALU_DEP_2) | instskip(NEXT) | instid1(VALU_DEP_2)
	v_fma_f64 v[6:7], v[18:19], v[28:29], v[6:7]
	v_fma_f64 v[9:10], v[20:21], v[28:29], v[9:10]
	s_waitcnt vmcnt(4)
	s_delay_alu instid0(VALU_DEP_2) | instskip(NEXT) | instid1(VALU_DEP_2)
	v_fma_f64 v[6:7], v[30:31], v[34:35], v[6:7]
	v_fma_f64 v[9:10], v[32:33], v[34:35], v[9:10]
	s_waitcnt vmcnt(3)
	;; [unrolled: 4-line block ×4, first 2 shown]
	s_delay_alu instid0(VALU_DEP_2) | instskip(NEXT) | instid1(VALU_DEP_2)
	v_fma_f64 v[6:7], v[50:51], v[48:49], v[6:7]
	v_fma_f64 v[10:11], v[52:53], v[48:49], v[9:10]
	s_and_not1_b32 exec_lo, exec_lo, s4
	s_cbranch_execnz .LBB98_9
; %bb.10:
	s_or_b32 exec_lo, exec_lo, s4
.LBB98_11:
	s_delay_alu instid0(SALU_CYCLE_1)
	s_or_b32 exec_lo, exec_lo, s3
	s_cbranch_execz .LBB98_13
	s_branch .LBB98_18
.LBB98_12:
                                        ; implicit-def: $vgpr6_vgpr7
                                        ; implicit-def: $vgpr10_vgpr11
.LBB98_13:
	v_mov_b32_e32 v6, 0
	v_mov_b32_e32 v7, 0
	s_delay_alu instid0(VALU_DEP_1)
	v_dual_mov_b32 v11, v7 :: v_dual_mov_b32 v10, v6
	s_and_saveexec_b32 s3, s2
	s_cbranch_execz .LBB98_17
; %bb.14:
	v_mov_b32_e32 v6, 0
	v_dual_mov_b32 v7, 0 :: v_dual_mov_b32 v14, 0
	v_mad_u64_u32 v[12:13], null, v8, 12, 11
	s_mov_b32 s2, 0
	s_delay_alu instid0(VALU_DEP_2)
	v_dual_mov_b32 v11, v7 :: v_dual_mov_b32 v10, v6
.LBB98_15:                              ; =>This Inner Loop Header: Depth=1
	v_ashrrev_i32_e32 v9, 31, v8
	s_delay_alu instid0(VALU_DEP_3) | instskip(SKIP_1) | instid1(VALU_DEP_3)
	v_add_nc_u32_e32 v13, -11, v12
	v_mov_b32_e32 v35, v14
	v_lshlrev_b64 v[15:16], 2, v[8:9]
	v_add_nc_u32_e32 v8, 16, v8
	s_delay_alu instid0(VALU_DEP_2) | instskip(NEXT) | instid1(VALU_DEP_3)
	v_add_co_u32 v15, vcc_lo, s6, v15
	v_add_co_ci_u32_e32 v16, vcc_lo, s7, v16, vcc_lo
	global_load_b32 v9, v[15:16], off
	v_dual_mov_b32 v16, v14 :: v_dual_add_nc_u32 v15, -5, v12
	v_lshlrev_b64 v[18:19], 3, v[13:14]
	v_add_nc_u32_e32 v13, -4, v12
	s_delay_alu instid0(VALU_DEP_3) | instskip(NEXT) | instid1(VALU_DEP_3)
	v_lshlrev_b64 v[15:16], 3, v[15:16]
	v_add_co_u32 v22, vcc_lo, s8, v18
	s_delay_alu instid0(VALU_DEP_4) | instskip(NEXT) | instid1(VALU_DEP_3)
	v_add_co_ci_u32_e32 v23, vcc_lo, s9, v19, vcc_lo
	v_add_co_u32 v15, vcc_lo, s8, v15
	s_delay_alu instid0(VALU_DEP_4) | instskip(SKIP_3) | instid1(VALU_DEP_1)
	v_add_co_ci_u32_e32 v16, vcc_lo, s9, v16, vcc_lo
	v_lshlrev_b64 v[30:31], 3, v[13:14]
	s_waitcnt vmcnt(0)
	v_subrev_nc_u32_e32 v9, s12, v9
	v_mul_lo_u32 v34, v9, 6
	s_delay_alu instid0(VALU_DEP_1) | instskip(SKIP_1) | instid1(VALU_DEP_2)
	v_lshlrev_b64 v[18:19], 3, v[34:35]
	v_add_nc_u32_e32 v13, 2, v34
	v_add_co_u32 v26, vcc_lo, s10, v18
	s_delay_alu instid0(VALU_DEP_3)
	v_add_co_ci_u32_e32 v27, vcc_lo, s11, v19, vcc_lo
	s_clause 0x2
	global_load_b128 v[18:21], v[22:23], off offset:16
	global_load_b128 v[22:25], v[22:23], off
	global_load_b64 v[15:16], v[15:16], off
	global_load_b128 v[26:29], v[26:27], off
	v_add_co_u32 v30, vcc_lo, s8, v30
	v_add_co_ci_u32_e32 v31, vcc_lo, s9, v31, vcc_lo
	global_load_b64 v[38:39], v[30:31], off
	v_lshlrev_b64 v[30:31], 3, v[13:14]
	v_add_nc_u32_e32 v13, -3, v12
	s_delay_alu instid0(VALU_DEP_1) | instskip(NEXT) | instid1(VALU_DEP_3)
	v_lshlrev_b64 v[32:33], 3, v[13:14]
	v_add_co_u32 v30, vcc_lo, s10, v30
	s_delay_alu instid0(VALU_DEP_4) | instskip(SKIP_1) | instid1(VALU_DEP_4)
	v_add_co_ci_u32_e32 v31, vcc_lo, s11, v31, vcc_lo
	v_add_nc_u32_e32 v13, -2, v12
	v_add_co_u32 v35, vcc_lo, s8, v32
	v_add_co_ci_u32_e32 v36, vcc_lo, s9, v33, vcc_lo
	global_load_b128 v[30:33], v[30:31], off
	global_load_b64 v[40:41], v[35:36], off
	v_lshlrev_b64 v[35:36], 3, v[13:14]
	v_add_nc_u32_e32 v13, -7, v12
	s_delay_alu instid0(VALU_DEP_2) | instskip(NEXT) | instid1(VALU_DEP_3)
	v_add_co_u32 v35, vcc_lo, s8, v35
	v_add_co_ci_u32_e32 v36, vcc_lo, s9, v36, vcc_lo
	global_load_b64 v[42:43], v[35:36], off
	v_lshlrev_b64 v[35:36], 3, v[13:14]
	v_add_nc_u32_e32 v13, 4, v34
	s_delay_alu instid0(VALU_DEP_1) | instskip(SKIP_1) | instid1(VALU_DEP_4)
	v_lshlrev_b64 v[44:45], 3, v[13:14]
	v_add_nc_u32_e32 v13, -1, v12
	v_add_co_u32 v34, vcc_lo, s8, v35
	v_add_co_ci_u32_e32 v35, vcc_lo, s9, v36, vcc_lo
	s_delay_alu instid0(VALU_DEP_3) | instskip(SKIP_3) | instid1(VALU_DEP_4)
	v_lshlrev_b64 v[36:37], 3, v[13:14]
	v_add_co_u32 v44, vcc_lo, s10, v44
	v_add_co_ci_u32_e32 v45, vcc_lo, s11, v45, vcc_lo
	v_mov_b32_e32 v13, v14
	v_add_co_u32 v46, vcc_lo, s8, v36
	v_add_co_ci_u32_e32 v47, vcc_lo, s9, v37, vcc_lo
	global_load_b64 v[48:49], v[34:35], off
	global_load_b128 v[34:37], v[44:45], off
	global_load_b64 v[44:45], v[46:47], off
	v_lshlrev_b64 v[46:47], 3, v[12:13]
	v_add_nc_u32_e32 v13, -6, v12
	v_add_nc_u32_e32 v12, 0xc0, v12
	s_delay_alu instid0(VALU_DEP_2) | instskip(NEXT) | instid1(VALU_DEP_4)
	v_lshlrev_b64 v[50:51], 3, v[13:14]
	v_add_co_u32 v46, vcc_lo, s8, v46
	v_add_co_ci_u32_e32 v47, vcc_lo, s9, v47, vcc_lo
	s_delay_alu instid0(VALU_DEP_3) | instskip(NEXT) | instid1(VALU_DEP_4)
	v_add_co_u32 v50, vcc_lo, s8, v50
	v_add_co_ci_u32_e32 v51, vcc_lo, s9, v51, vcc_lo
	s_clause 0x1
	global_load_b64 v[50:51], v[50:51], off
	global_load_b64 v[46:47], v[46:47], off
	v_cmp_ge_i32_e32 vcc_lo, v8, v17
	s_or_b32 s2, vcc_lo, s2
	s_waitcnt vmcnt(9)
	v_fma_f64 v[6:7], v[22:23], v[26:27], v[6:7]
	v_fma_f64 v[9:10], v[15:16], v[26:27], v[10:11]
	s_delay_alu instid0(VALU_DEP_2) | instskip(SKIP_1) | instid1(VALU_DEP_2)
	v_fma_f64 v[6:7], v[24:25], v[28:29], v[6:7]
	s_waitcnt vmcnt(8)
	v_fma_f64 v[9:10], v[38:39], v[28:29], v[9:10]
	s_waitcnt vmcnt(7)
	s_delay_alu instid0(VALU_DEP_2) | instskip(SKIP_1) | instid1(VALU_DEP_2)
	v_fma_f64 v[6:7], v[18:19], v[30:31], v[6:7]
	s_waitcnt vmcnt(6)
	v_fma_f64 v[9:10], v[40:41], v[30:31], v[9:10]
	s_delay_alu instid0(VALU_DEP_2) | instskip(SKIP_1) | instid1(VALU_DEP_2)
	v_fma_f64 v[6:7], v[20:21], v[32:33], v[6:7]
	s_waitcnt vmcnt(5)
	v_fma_f64 v[9:10], v[42:43], v[32:33], v[9:10]
	s_waitcnt vmcnt(3)
	s_delay_alu instid0(VALU_DEP_2) | instskip(SKIP_1) | instid1(VALU_DEP_2)
	v_fma_f64 v[6:7], v[48:49], v[34:35], v[6:7]
	s_waitcnt vmcnt(2)
	v_fma_f64 v[9:10], v[44:45], v[34:35], v[9:10]
	s_waitcnt vmcnt(1)
	s_delay_alu instid0(VALU_DEP_2) | instskip(SKIP_1) | instid1(VALU_DEP_2)
	v_fma_f64 v[6:7], v[50:51], v[36:37], v[6:7]
	s_waitcnt vmcnt(0)
	v_fma_f64 v[10:11], v[46:47], v[36:37], v[9:10]
	s_and_not1_b32 exec_lo, exec_lo, s2
	s_cbranch_execnz .LBB98_15
; %bb.16:
	s_or_b32 exec_lo, exec_lo, s2
.LBB98_17:
	s_delay_alu instid0(SALU_CYCLE_1)
	s_or_b32 exec_lo, exec_lo, s3
.LBB98_18:
	v_mbcnt_lo_u32_b32 v14, -1, 0
	s_delay_alu instid0(VALU_DEP_1) | instskip(NEXT) | instid1(VALU_DEP_1)
	v_xor_b32_e32 v8, 8, v14
	v_cmp_gt_i32_e32 vcc_lo, 32, v8
	v_cndmask_b32_e32 v8, v14, v8, vcc_lo
	s_delay_alu instid0(VALU_DEP_1)
	v_lshlrev_b32_e32 v13, 2, v8
	ds_bpermute_b32 v8, v13, v6
	ds_bpermute_b32 v9, v13, v7
	;; [unrolled: 1-line block ×4, first 2 shown]
	s_waitcnt lgkmcnt(2)
	v_add_f64 v[6:7], v[6:7], v[8:9]
	s_waitcnt lgkmcnt(0)
	v_add_f64 v[8:9], v[10:11], v[12:13]
	v_xor_b32_e32 v10, 4, v14
	s_delay_alu instid0(VALU_DEP_1) | instskip(SKIP_1) | instid1(VALU_DEP_1)
	v_cmp_gt_i32_e32 vcc_lo, 32, v10
	v_cndmask_b32_e32 v10, v14, v10, vcc_lo
	v_lshlrev_b32_e32 v13, 2, v10
	ds_bpermute_b32 v10, v13, v6
	ds_bpermute_b32 v11, v13, v7
	;; [unrolled: 1-line block ×4, first 2 shown]
	s_waitcnt lgkmcnt(2)
	v_add_f64 v[6:7], v[6:7], v[10:11]
	v_xor_b32_e32 v10, 2, v14
	s_waitcnt lgkmcnt(0)
	v_add_f64 v[8:9], v[8:9], v[12:13]
	s_delay_alu instid0(VALU_DEP_2) | instskip(SKIP_1) | instid1(VALU_DEP_1)
	v_cmp_gt_i32_e32 vcc_lo, 32, v10
	v_cndmask_b32_e32 v10, v14, v10, vcc_lo
	v_lshlrev_b32_e32 v13, 2, v10
	ds_bpermute_b32 v10, v13, v6
	ds_bpermute_b32 v11, v13, v7
	ds_bpermute_b32 v12, v13, v8
	ds_bpermute_b32 v13, v13, v9
	s_waitcnt lgkmcnt(2)
	v_add_f64 v[6:7], v[6:7], v[10:11]
	s_waitcnt lgkmcnt(0)
	v_add_f64 v[10:11], v[8:9], v[12:13]
	v_xor_b32_e32 v8, 1, v14
	s_delay_alu instid0(VALU_DEP_1) | instskip(SKIP_2) | instid1(VALU_DEP_2)
	v_cmp_gt_i32_e32 vcc_lo, 32, v8
	v_cndmask_b32_e32 v8, v14, v8, vcc_lo
	v_cmp_eq_u32_e32 vcc_lo, 15, v0
	v_lshlrev_b32_e32 v13, 2, v8
	ds_bpermute_b32 v8, v13, v6
	ds_bpermute_b32 v9, v13, v7
	;; [unrolled: 1-line block ×4, first 2 shown]
	s_and_b32 exec_lo, exec_lo, vcc_lo
	s_cbranch_execz .LBB98_23
; %bb.19:
	s_waitcnt lgkmcnt(2)
	v_add_f64 v[8:9], v[6:7], v[8:9]
	s_waitcnt lgkmcnt(0)
	v_add_f64 v[6:7], v[10:11], v[12:13]
	s_load_b64 s[0:1], s[0:1], 0x38
	s_mov_b32 s2, exec_lo
	v_cmpx_eq_f64_e32 0, v[3:4]
	s_xor_b32 s2, exec_lo, s2
	s_cbranch_execz .LBB98_21
; %bb.20:
	s_delay_alu instid0(VALU_DEP_3) | instskip(NEXT) | instid1(VALU_DEP_3)
	v_mul_f64 v[8:9], v[1:2], v[8:9]
	v_mul_f64 v[10:11], v[1:2], v[6:7]
	v_lshlrev_b32_e32 v0, 1, v5
                                        ; implicit-def: $vgpr5
                                        ; implicit-def: $vgpr3_vgpr4
                                        ; implicit-def: $vgpr6_vgpr7
	s_delay_alu instid0(VALU_DEP_1) | instskip(NEXT) | instid1(VALU_DEP_1)
	v_ashrrev_i32_e32 v1, 31, v0
	v_lshlrev_b64 v[0:1], 3, v[0:1]
	s_waitcnt lgkmcnt(0)
	s_delay_alu instid0(VALU_DEP_1) | instskip(NEXT) | instid1(VALU_DEP_2)
	v_add_co_u32 v0, vcc_lo, s0, v0
	v_add_co_ci_u32_e32 v1, vcc_lo, s1, v1, vcc_lo
	global_store_b128 v[0:1], v[8:11], off
                                        ; implicit-def: $vgpr1_vgpr2
                                        ; implicit-def: $vgpr8_vgpr9
.LBB98_21:
	s_and_not1_saveexec_b32 s2, s2
	s_cbranch_execz .LBB98_23
; %bb.22:
	v_lshlrev_b32_e32 v10, 1, v5
	s_delay_alu instid0(VALU_DEP_4) | instskip(NEXT) | instid1(VALU_DEP_4)
	v_mul_f64 v[8:9], v[1:2], v[8:9]
	v_mul_f64 v[5:6], v[1:2], v[6:7]
	s_delay_alu instid0(VALU_DEP_3) | instskip(NEXT) | instid1(VALU_DEP_1)
	v_ashrrev_i32_e32 v11, 31, v10
	v_lshlrev_b64 v[10:11], 3, v[10:11]
	s_waitcnt lgkmcnt(0)
	s_delay_alu instid0(VALU_DEP_1) | instskip(NEXT) | instid1(VALU_DEP_2)
	v_add_co_u32 v14, vcc_lo, s0, v10
	v_add_co_ci_u32_e32 v15, vcc_lo, s1, v11, vcc_lo
	global_load_b128 v[10:13], v[14:15], off
	s_waitcnt vmcnt(0)
	v_fma_f64 v[0:1], v[3:4], v[10:11], v[8:9]
	v_fma_f64 v[2:3], v[3:4], v[12:13], v[5:6]
	global_store_b128 v[14:15], v[0:3], off
.LBB98_23:
	s_nop 0
	s_sendmsg sendmsg(MSG_DEALLOC_VGPRS)
	s_endpgm
	.section	.rodata,"a",@progbits
	.p2align	6, 0x0
	.amdhsa_kernel _ZN9rocsparseL19gebsrmvn_2xn_kernelILj128ELj6ELj16EdEEvi20rocsparse_direction_NS_24const_host_device_scalarIT2_EEPKiS6_PKS3_S8_S4_PS3_21rocsparse_index_base_b
		.amdhsa_group_segment_fixed_size 0
		.amdhsa_private_segment_fixed_size 0
		.amdhsa_kernarg_size 72
		.amdhsa_user_sgpr_count 15
		.amdhsa_user_sgpr_dispatch_ptr 0
		.amdhsa_user_sgpr_queue_ptr 0
		.amdhsa_user_sgpr_kernarg_segment_ptr 1
		.amdhsa_user_sgpr_dispatch_id 0
		.amdhsa_user_sgpr_private_segment_size 0
		.amdhsa_wavefront_size32 1
		.amdhsa_uses_dynamic_stack 0
		.amdhsa_enable_private_segment 0
		.amdhsa_system_sgpr_workgroup_id_x 1
		.amdhsa_system_sgpr_workgroup_id_y 0
		.amdhsa_system_sgpr_workgroup_id_z 0
		.amdhsa_system_sgpr_workgroup_info 0
		.amdhsa_system_vgpr_workitem_id 0
		.amdhsa_next_free_vgpr 54
		.amdhsa_next_free_sgpr 16
		.amdhsa_reserve_vcc 1
		.amdhsa_float_round_mode_32 0
		.amdhsa_float_round_mode_16_64 0
		.amdhsa_float_denorm_mode_32 3
		.amdhsa_float_denorm_mode_16_64 3
		.amdhsa_dx10_clamp 1
		.amdhsa_ieee_mode 1
		.amdhsa_fp16_overflow 0
		.amdhsa_workgroup_processor_mode 1
		.amdhsa_memory_ordered 1
		.amdhsa_forward_progress 0
		.amdhsa_shared_vgpr_count 0
		.amdhsa_exception_fp_ieee_invalid_op 0
		.amdhsa_exception_fp_denorm_src 0
		.amdhsa_exception_fp_ieee_div_zero 0
		.amdhsa_exception_fp_ieee_overflow 0
		.amdhsa_exception_fp_ieee_underflow 0
		.amdhsa_exception_fp_ieee_inexact 0
		.amdhsa_exception_int_div_zero 0
	.end_amdhsa_kernel
	.section	.text._ZN9rocsparseL19gebsrmvn_2xn_kernelILj128ELj6ELj16EdEEvi20rocsparse_direction_NS_24const_host_device_scalarIT2_EEPKiS6_PKS3_S8_S4_PS3_21rocsparse_index_base_b,"axG",@progbits,_ZN9rocsparseL19gebsrmvn_2xn_kernelILj128ELj6ELj16EdEEvi20rocsparse_direction_NS_24const_host_device_scalarIT2_EEPKiS6_PKS3_S8_S4_PS3_21rocsparse_index_base_b,comdat
.Lfunc_end98:
	.size	_ZN9rocsparseL19gebsrmvn_2xn_kernelILj128ELj6ELj16EdEEvi20rocsparse_direction_NS_24const_host_device_scalarIT2_EEPKiS6_PKS3_S8_S4_PS3_21rocsparse_index_base_b, .Lfunc_end98-_ZN9rocsparseL19gebsrmvn_2xn_kernelILj128ELj6ELj16EdEEvi20rocsparse_direction_NS_24const_host_device_scalarIT2_EEPKiS6_PKS3_S8_S4_PS3_21rocsparse_index_base_b
                                        ; -- End function
	.section	.AMDGPU.csdata,"",@progbits
; Kernel info:
; codeLenInByte = 2184
; NumSgprs: 18
; NumVgprs: 54
; ScratchSize: 0
; MemoryBound: 0
; FloatMode: 240
; IeeeMode: 1
; LDSByteSize: 0 bytes/workgroup (compile time only)
; SGPRBlocks: 2
; VGPRBlocks: 6
; NumSGPRsForWavesPerEU: 18
; NumVGPRsForWavesPerEU: 54
; Occupancy: 16
; WaveLimiterHint : 1
; COMPUTE_PGM_RSRC2:SCRATCH_EN: 0
; COMPUTE_PGM_RSRC2:USER_SGPR: 15
; COMPUTE_PGM_RSRC2:TRAP_HANDLER: 0
; COMPUTE_PGM_RSRC2:TGID_X_EN: 1
; COMPUTE_PGM_RSRC2:TGID_Y_EN: 0
; COMPUTE_PGM_RSRC2:TGID_Z_EN: 0
; COMPUTE_PGM_RSRC2:TIDIG_COMP_CNT: 0
	.section	.text._ZN9rocsparseL19gebsrmvn_2xn_kernelILj128ELj6ELj32EdEEvi20rocsparse_direction_NS_24const_host_device_scalarIT2_EEPKiS6_PKS3_S8_S4_PS3_21rocsparse_index_base_b,"axG",@progbits,_ZN9rocsparseL19gebsrmvn_2xn_kernelILj128ELj6ELj32EdEEvi20rocsparse_direction_NS_24const_host_device_scalarIT2_EEPKiS6_PKS3_S8_S4_PS3_21rocsparse_index_base_b,comdat
	.globl	_ZN9rocsparseL19gebsrmvn_2xn_kernelILj128ELj6ELj32EdEEvi20rocsparse_direction_NS_24const_host_device_scalarIT2_EEPKiS6_PKS3_S8_S4_PS3_21rocsparse_index_base_b ; -- Begin function _ZN9rocsparseL19gebsrmvn_2xn_kernelILj128ELj6ELj32EdEEvi20rocsparse_direction_NS_24const_host_device_scalarIT2_EEPKiS6_PKS3_S8_S4_PS3_21rocsparse_index_base_b
	.p2align	8
	.type	_ZN9rocsparseL19gebsrmvn_2xn_kernelILj128ELj6ELj32EdEEvi20rocsparse_direction_NS_24const_host_device_scalarIT2_EEPKiS6_PKS3_S8_S4_PS3_21rocsparse_index_base_b,@function
_ZN9rocsparseL19gebsrmvn_2xn_kernelILj128ELj6ELj32EdEEvi20rocsparse_direction_NS_24const_host_device_scalarIT2_EEPKiS6_PKS3_S8_S4_PS3_21rocsparse_index_base_b: ; @_ZN9rocsparseL19gebsrmvn_2xn_kernelILj128ELj6ELj32EdEEvi20rocsparse_direction_NS_24const_host_device_scalarIT2_EEPKiS6_PKS3_S8_S4_PS3_21rocsparse_index_base_b
; %bb.0:
	s_clause 0x2
	s_load_b64 s[12:13], s[0:1], 0x40
	s_load_b64 s[4:5], s[0:1], 0x8
	;; [unrolled: 1-line block ×3, first 2 shown]
	s_waitcnt lgkmcnt(0)
	s_bitcmp1_b32 s13, 0
	v_dual_mov_b32 v1, s4 :: v_dual_mov_b32 v2, s5
	s_cselect_b32 s6, -1, 0
	s_delay_alu instid0(SALU_CYCLE_1)
	s_and_b32 vcc_lo, exec_lo, s6
	s_xor_b32 s6, s6, -1
	s_cbranch_vccnz .LBB99_2
; %bb.1:
	v_dual_mov_b32 v1, s4 :: v_dual_mov_b32 v2, s5
	flat_load_b64 v[1:2], v[1:2]
.LBB99_2:
	v_dual_mov_b32 v4, s3 :: v_dual_mov_b32 v3, s2
	s_and_not1_b32 vcc_lo, exec_lo, s6
	s_cbranch_vccnz .LBB99_4
; %bb.3:
	v_dual_mov_b32 v4, s3 :: v_dual_mov_b32 v3, s2
	flat_load_b64 v[3:4], v[3:4]
.LBB99_4:
	s_waitcnt vmcnt(0) lgkmcnt(0)
	v_cmp_neq_f64_e32 vcc_lo, 0, v[1:2]
	v_cmp_neq_f64_e64 s2, 1.0, v[3:4]
	s_delay_alu instid0(VALU_DEP_1) | instskip(NEXT) | instid1(SALU_CYCLE_1)
	s_or_b32 s2, vcc_lo, s2
	s_and_saveexec_b32 s3, s2
	s_cbranch_execz .LBB99_23
; %bb.5:
	s_load_b64 s[2:3], s[0:1], 0x0
	v_lshrrev_b32_e32 v5, 5, v0
	s_delay_alu instid0(VALU_DEP_1) | instskip(SKIP_1) | instid1(VALU_DEP_1)
	v_lshl_or_b32 v5, s15, 2, v5
	s_waitcnt lgkmcnt(0)
	v_cmp_gt_i32_e32 vcc_lo, s2, v5
	s_and_b32 exec_lo, exec_lo, vcc_lo
	s_cbranch_execz .LBB99_23
; %bb.6:
	s_load_b256 s[4:11], s[0:1], 0x10
	v_ashrrev_i32_e32 v6, 31, v5
	v_and_b32_e32 v0, 31, v0
	s_cmp_lg_u32 s3, 0
	s_delay_alu instid0(VALU_DEP_2) | instskip(SKIP_1) | instid1(VALU_DEP_1)
	v_lshlrev_b64 v[6:7], 2, v[5:6]
	s_waitcnt lgkmcnt(0)
	v_add_co_u32 v6, vcc_lo, s4, v6
	s_delay_alu instid0(VALU_DEP_2) | instskip(SKIP_4) | instid1(VALU_DEP_2)
	v_add_co_ci_u32_e32 v7, vcc_lo, s5, v7, vcc_lo
	global_load_b64 v[6:7], v[6:7], off
	s_waitcnt vmcnt(0)
	v_subrev_nc_u32_e32 v6, s12, v6
	v_subrev_nc_u32_e32 v17, s12, v7
	v_add_nc_u32_e32 v8, v6, v0
	s_delay_alu instid0(VALU_DEP_1)
	v_cmp_lt_i32_e64 s2, v8, v17
	s_cbranch_scc0 .LBB99_12
; %bb.7:
	v_mov_b32_e32 v6, 0
	v_mov_b32_e32 v7, 0
	s_delay_alu instid0(VALU_DEP_1)
	v_dual_mov_b32 v11, v7 :: v_dual_mov_b32 v10, v6
	s_and_saveexec_b32 s3, s2
	s_cbranch_execz .LBB99_11
; %bb.8:
	v_dual_mov_b32 v6, 0 :: v_dual_mov_b32 v15, v8
	v_dual_mov_b32 v7, 0 :: v_dual_mov_b32 v14, 0
	v_mad_u64_u32 v[12:13], null, v8, 12, 10
	s_mov_b32 s4, 0
	s_delay_alu instid0(VALU_DEP_2)
	v_dual_mov_b32 v11, v7 :: v_dual_mov_b32 v10, v6
.LBB99_9:                               ; =>This Inner Loop Header: Depth=1
	v_ashrrev_i32_e32 v16, 31, v15
	s_delay_alu instid0(VALU_DEP_3) | instskip(SKIP_1) | instid1(VALU_DEP_3)
	v_add_nc_u32_e32 v13, -10, v12
	v_mov_b32_e32 v43, v14
	v_lshlrev_b64 v[18:19], 2, v[15:16]
	v_add_nc_u32_e32 v15, 32, v15
	s_delay_alu instid0(VALU_DEP_2) | instskip(NEXT) | instid1(VALU_DEP_3)
	v_add_co_u32 v18, vcc_lo, s6, v18
	v_add_co_ci_u32_e32 v19, vcc_lo, s7, v19, vcc_lo
	global_load_b32 v9, v[18:19], off
	v_lshlrev_b64 v[18:19], 3, v[13:14]
	v_add_nc_u32_e32 v13, -6, v12
	s_delay_alu instid0(VALU_DEP_1) | instskip(NEXT) | instid1(VALU_DEP_3)
	v_lshlrev_b64 v[30:31], 3, v[13:14]
	v_add_co_u32 v22, vcc_lo, s8, v18
	s_delay_alu instid0(VALU_DEP_4) | instskip(SKIP_2) | instid1(VALU_DEP_1)
	v_add_co_ci_u32_e32 v23, vcc_lo, s9, v19, vcc_lo
	s_waitcnt vmcnt(0)
	v_subrev_nc_u32_e32 v9, s12, v9
	v_mul_lo_u32 v42, v9, 6
	s_delay_alu instid0(VALU_DEP_1) | instskip(SKIP_1) | instid1(VALU_DEP_1)
	v_lshlrev_b64 v[20:21], 3, v[42:43]
	v_add_nc_u32_e32 v13, 2, v42
	v_lshlrev_b64 v[32:33], 3, v[13:14]
	s_delay_alu instid0(VALU_DEP_3) | instskip(NEXT) | instid1(VALU_DEP_4)
	v_add_co_u32 v26, vcc_lo, s10, v20
	v_add_co_ci_u32_e32 v27, vcc_lo, s11, v21, vcc_lo
	s_clause 0x1
	global_load_b128 v[18:21], v[22:23], off offset:16
	global_load_b128 v[22:25], v[22:23], off
	global_load_b128 v[26:29], v[26:27], off
	v_add_co_u32 v30, vcc_lo, s8, v30
	v_add_co_ci_u32_e32 v31, vcc_lo, s9, v31, vcc_lo
	v_add_co_u32 v34, vcc_lo, s10, v32
	v_add_co_ci_u32_e32 v35, vcc_lo, s11, v33, vcc_lo
	global_load_b128 v[30:33], v[30:31], off
	global_load_b128 v[34:37], v[34:35], off
	v_add_nc_u32_e32 v13, -4, v12
	s_delay_alu instid0(VALU_DEP_1) | instskip(SKIP_1) | instid1(VALU_DEP_2)
	v_lshlrev_b64 v[38:39], 3, v[13:14]
	v_add_nc_u32_e32 v13, -2, v12
	v_add_co_u32 v38, vcc_lo, s8, v38
	s_delay_alu instid0(VALU_DEP_3) | instskip(NEXT) | instid1(VALU_DEP_3)
	v_add_co_ci_u32_e32 v39, vcc_lo, s9, v39, vcc_lo
	v_lshlrev_b64 v[43:44], 3, v[13:14]
	v_add_nc_u32_e32 v13, 4, v42
	global_load_b128 v[38:41], v[38:39], off
	v_lshlrev_b64 v[45:46], 3, v[13:14]
	v_add_co_u32 v42, vcc_lo, s8, v43
	v_add_co_ci_u32_e32 v43, vcc_lo, s9, v44, vcc_lo
	v_mov_b32_e32 v13, v14
	s_delay_alu instid0(VALU_DEP_4)
	v_add_co_u32 v47, vcc_lo, s10, v45
	v_add_co_ci_u32_e32 v48, vcc_lo, s11, v46, vcc_lo
	global_load_b128 v[42:45], v[42:43], off
	global_load_b128 v[46:49], v[47:48], off
	v_lshlrev_b64 v[50:51], 3, v[12:13]
	v_add_nc_u32_e32 v12, 0x180, v12
	s_delay_alu instid0(VALU_DEP_2) | instskip(NEXT) | instid1(VALU_DEP_3)
	v_add_co_u32 v50, vcc_lo, s8, v50
	v_add_co_ci_u32_e32 v51, vcc_lo, s9, v51, vcc_lo
	v_cmp_ge_i32_e32 vcc_lo, v15, v17
	global_load_b128 v[50:53], v[50:51], off
	s_or_b32 s4, vcc_lo, s4
	s_waitcnt vmcnt(6)
	v_fma_f64 v[6:7], v[22:23], v[26:27], v[6:7]
	v_fma_f64 v[9:10], v[24:25], v[26:27], v[10:11]
	s_delay_alu instid0(VALU_DEP_2) | instskip(NEXT) | instid1(VALU_DEP_2)
	v_fma_f64 v[6:7], v[18:19], v[28:29], v[6:7]
	v_fma_f64 v[9:10], v[20:21], v[28:29], v[9:10]
	s_waitcnt vmcnt(4)
	s_delay_alu instid0(VALU_DEP_2) | instskip(NEXT) | instid1(VALU_DEP_2)
	v_fma_f64 v[6:7], v[30:31], v[34:35], v[6:7]
	v_fma_f64 v[9:10], v[32:33], v[34:35], v[9:10]
	s_waitcnt vmcnt(3)
	;; [unrolled: 4-line block ×4, first 2 shown]
	s_delay_alu instid0(VALU_DEP_2) | instskip(NEXT) | instid1(VALU_DEP_2)
	v_fma_f64 v[6:7], v[50:51], v[48:49], v[6:7]
	v_fma_f64 v[10:11], v[52:53], v[48:49], v[9:10]
	s_and_not1_b32 exec_lo, exec_lo, s4
	s_cbranch_execnz .LBB99_9
; %bb.10:
	s_or_b32 exec_lo, exec_lo, s4
.LBB99_11:
	s_delay_alu instid0(SALU_CYCLE_1)
	s_or_b32 exec_lo, exec_lo, s3
	s_cbranch_execz .LBB99_13
	s_branch .LBB99_18
.LBB99_12:
                                        ; implicit-def: $vgpr6_vgpr7
                                        ; implicit-def: $vgpr10_vgpr11
.LBB99_13:
	v_mov_b32_e32 v6, 0
	v_mov_b32_e32 v7, 0
	s_delay_alu instid0(VALU_DEP_1)
	v_dual_mov_b32 v11, v7 :: v_dual_mov_b32 v10, v6
	s_and_saveexec_b32 s3, s2
	s_cbranch_execz .LBB99_17
; %bb.14:
	v_mov_b32_e32 v6, 0
	v_dual_mov_b32 v7, 0 :: v_dual_mov_b32 v14, 0
	v_mad_u64_u32 v[12:13], null, v8, 12, 11
	s_mov_b32 s2, 0
	s_delay_alu instid0(VALU_DEP_2)
	v_dual_mov_b32 v11, v7 :: v_dual_mov_b32 v10, v6
.LBB99_15:                              ; =>This Inner Loop Header: Depth=1
	v_ashrrev_i32_e32 v9, 31, v8
	s_delay_alu instid0(VALU_DEP_3) | instskip(SKIP_1) | instid1(VALU_DEP_3)
	v_add_nc_u32_e32 v13, -11, v12
	v_mov_b32_e32 v35, v14
	v_lshlrev_b64 v[15:16], 2, v[8:9]
	v_add_nc_u32_e32 v8, 32, v8
	s_delay_alu instid0(VALU_DEP_2) | instskip(NEXT) | instid1(VALU_DEP_3)
	v_add_co_u32 v15, vcc_lo, s6, v15
	v_add_co_ci_u32_e32 v16, vcc_lo, s7, v16, vcc_lo
	global_load_b32 v9, v[15:16], off
	v_dual_mov_b32 v16, v14 :: v_dual_add_nc_u32 v15, -5, v12
	v_lshlrev_b64 v[18:19], 3, v[13:14]
	v_add_nc_u32_e32 v13, -4, v12
	s_delay_alu instid0(VALU_DEP_3) | instskip(NEXT) | instid1(VALU_DEP_3)
	v_lshlrev_b64 v[15:16], 3, v[15:16]
	v_add_co_u32 v22, vcc_lo, s8, v18
	s_delay_alu instid0(VALU_DEP_4) | instskip(NEXT) | instid1(VALU_DEP_3)
	v_add_co_ci_u32_e32 v23, vcc_lo, s9, v19, vcc_lo
	v_add_co_u32 v15, vcc_lo, s8, v15
	s_delay_alu instid0(VALU_DEP_4) | instskip(SKIP_3) | instid1(VALU_DEP_1)
	v_add_co_ci_u32_e32 v16, vcc_lo, s9, v16, vcc_lo
	v_lshlrev_b64 v[30:31], 3, v[13:14]
	s_waitcnt vmcnt(0)
	v_subrev_nc_u32_e32 v9, s12, v9
	v_mul_lo_u32 v34, v9, 6
	s_delay_alu instid0(VALU_DEP_1) | instskip(SKIP_1) | instid1(VALU_DEP_2)
	v_lshlrev_b64 v[18:19], 3, v[34:35]
	v_add_nc_u32_e32 v13, 2, v34
	v_add_co_u32 v26, vcc_lo, s10, v18
	s_delay_alu instid0(VALU_DEP_3)
	v_add_co_ci_u32_e32 v27, vcc_lo, s11, v19, vcc_lo
	s_clause 0x2
	global_load_b128 v[18:21], v[22:23], off offset:16
	global_load_b128 v[22:25], v[22:23], off
	global_load_b64 v[15:16], v[15:16], off
	global_load_b128 v[26:29], v[26:27], off
	v_add_co_u32 v30, vcc_lo, s8, v30
	v_add_co_ci_u32_e32 v31, vcc_lo, s9, v31, vcc_lo
	global_load_b64 v[38:39], v[30:31], off
	v_lshlrev_b64 v[30:31], 3, v[13:14]
	v_add_nc_u32_e32 v13, -3, v12
	s_delay_alu instid0(VALU_DEP_1) | instskip(NEXT) | instid1(VALU_DEP_3)
	v_lshlrev_b64 v[32:33], 3, v[13:14]
	v_add_co_u32 v30, vcc_lo, s10, v30
	s_delay_alu instid0(VALU_DEP_4) | instskip(SKIP_1) | instid1(VALU_DEP_4)
	v_add_co_ci_u32_e32 v31, vcc_lo, s11, v31, vcc_lo
	v_add_nc_u32_e32 v13, -2, v12
	v_add_co_u32 v35, vcc_lo, s8, v32
	v_add_co_ci_u32_e32 v36, vcc_lo, s9, v33, vcc_lo
	global_load_b128 v[30:33], v[30:31], off
	global_load_b64 v[40:41], v[35:36], off
	v_lshlrev_b64 v[35:36], 3, v[13:14]
	v_add_nc_u32_e32 v13, -7, v12
	s_delay_alu instid0(VALU_DEP_2) | instskip(NEXT) | instid1(VALU_DEP_3)
	v_add_co_u32 v35, vcc_lo, s8, v35
	v_add_co_ci_u32_e32 v36, vcc_lo, s9, v36, vcc_lo
	global_load_b64 v[42:43], v[35:36], off
	v_lshlrev_b64 v[35:36], 3, v[13:14]
	v_add_nc_u32_e32 v13, 4, v34
	s_delay_alu instid0(VALU_DEP_1) | instskip(SKIP_1) | instid1(VALU_DEP_4)
	v_lshlrev_b64 v[44:45], 3, v[13:14]
	v_add_nc_u32_e32 v13, -1, v12
	v_add_co_u32 v34, vcc_lo, s8, v35
	v_add_co_ci_u32_e32 v35, vcc_lo, s9, v36, vcc_lo
	s_delay_alu instid0(VALU_DEP_3) | instskip(SKIP_3) | instid1(VALU_DEP_4)
	v_lshlrev_b64 v[36:37], 3, v[13:14]
	v_add_co_u32 v44, vcc_lo, s10, v44
	v_add_co_ci_u32_e32 v45, vcc_lo, s11, v45, vcc_lo
	v_mov_b32_e32 v13, v14
	v_add_co_u32 v46, vcc_lo, s8, v36
	v_add_co_ci_u32_e32 v47, vcc_lo, s9, v37, vcc_lo
	global_load_b64 v[48:49], v[34:35], off
	global_load_b128 v[34:37], v[44:45], off
	global_load_b64 v[44:45], v[46:47], off
	v_lshlrev_b64 v[46:47], 3, v[12:13]
	v_add_nc_u32_e32 v13, -6, v12
	v_add_nc_u32_e32 v12, 0x180, v12
	s_delay_alu instid0(VALU_DEP_2) | instskip(NEXT) | instid1(VALU_DEP_4)
	v_lshlrev_b64 v[50:51], 3, v[13:14]
	v_add_co_u32 v46, vcc_lo, s8, v46
	v_add_co_ci_u32_e32 v47, vcc_lo, s9, v47, vcc_lo
	s_delay_alu instid0(VALU_DEP_3) | instskip(NEXT) | instid1(VALU_DEP_4)
	v_add_co_u32 v50, vcc_lo, s8, v50
	v_add_co_ci_u32_e32 v51, vcc_lo, s9, v51, vcc_lo
	s_clause 0x1
	global_load_b64 v[50:51], v[50:51], off
	global_load_b64 v[46:47], v[46:47], off
	v_cmp_ge_i32_e32 vcc_lo, v8, v17
	s_or_b32 s2, vcc_lo, s2
	s_waitcnt vmcnt(9)
	v_fma_f64 v[6:7], v[22:23], v[26:27], v[6:7]
	v_fma_f64 v[9:10], v[15:16], v[26:27], v[10:11]
	s_delay_alu instid0(VALU_DEP_2) | instskip(SKIP_1) | instid1(VALU_DEP_2)
	v_fma_f64 v[6:7], v[24:25], v[28:29], v[6:7]
	s_waitcnt vmcnt(8)
	v_fma_f64 v[9:10], v[38:39], v[28:29], v[9:10]
	s_waitcnt vmcnt(7)
	s_delay_alu instid0(VALU_DEP_2) | instskip(SKIP_1) | instid1(VALU_DEP_2)
	v_fma_f64 v[6:7], v[18:19], v[30:31], v[6:7]
	s_waitcnt vmcnt(6)
	v_fma_f64 v[9:10], v[40:41], v[30:31], v[9:10]
	s_delay_alu instid0(VALU_DEP_2) | instskip(SKIP_1) | instid1(VALU_DEP_2)
	v_fma_f64 v[6:7], v[20:21], v[32:33], v[6:7]
	s_waitcnt vmcnt(5)
	v_fma_f64 v[9:10], v[42:43], v[32:33], v[9:10]
	s_waitcnt vmcnt(3)
	s_delay_alu instid0(VALU_DEP_2) | instskip(SKIP_1) | instid1(VALU_DEP_2)
	v_fma_f64 v[6:7], v[48:49], v[34:35], v[6:7]
	s_waitcnt vmcnt(2)
	v_fma_f64 v[9:10], v[44:45], v[34:35], v[9:10]
	s_waitcnt vmcnt(1)
	s_delay_alu instid0(VALU_DEP_2) | instskip(SKIP_1) | instid1(VALU_DEP_2)
	v_fma_f64 v[6:7], v[50:51], v[36:37], v[6:7]
	s_waitcnt vmcnt(0)
	v_fma_f64 v[10:11], v[46:47], v[36:37], v[9:10]
	s_and_not1_b32 exec_lo, exec_lo, s2
	s_cbranch_execnz .LBB99_15
; %bb.16:
	s_or_b32 exec_lo, exec_lo, s2
.LBB99_17:
	s_delay_alu instid0(SALU_CYCLE_1)
	s_or_b32 exec_lo, exec_lo, s3
.LBB99_18:
	v_mbcnt_lo_u32_b32 v14, -1, 0
	s_delay_alu instid0(VALU_DEP_1) | instskip(NEXT) | instid1(VALU_DEP_1)
	v_xor_b32_e32 v8, 16, v14
	v_cmp_gt_i32_e32 vcc_lo, 32, v8
	v_cndmask_b32_e32 v8, v14, v8, vcc_lo
	s_delay_alu instid0(VALU_DEP_1)
	v_lshlrev_b32_e32 v13, 2, v8
	ds_bpermute_b32 v8, v13, v6
	ds_bpermute_b32 v9, v13, v7
	;; [unrolled: 1-line block ×4, first 2 shown]
	s_waitcnt lgkmcnt(2)
	v_add_f64 v[6:7], v[6:7], v[8:9]
	s_waitcnt lgkmcnt(0)
	v_add_f64 v[8:9], v[10:11], v[12:13]
	v_xor_b32_e32 v10, 8, v14
	s_delay_alu instid0(VALU_DEP_1) | instskip(SKIP_1) | instid1(VALU_DEP_1)
	v_cmp_gt_i32_e32 vcc_lo, 32, v10
	v_cndmask_b32_e32 v10, v14, v10, vcc_lo
	v_lshlrev_b32_e32 v13, 2, v10
	ds_bpermute_b32 v10, v13, v6
	ds_bpermute_b32 v11, v13, v7
	;; [unrolled: 1-line block ×4, first 2 shown]
	s_waitcnt lgkmcnt(2)
	v_add_f64 v[6:7], v[6:7], v[10:11]
	v_xor_b32_e32 v10, 4, v14
	s_waitcnt lgkmcnt(0)
	v_add_f64 v[8:9], v[8:9], v[12:13]
	s_delay_alu instid0(VALU_DEP_2) | instskip(SKIP_1) | instid1(VALU_DEP_1)
	v_cmp_gt_i32_e32 vcc_lo, 32, v10
	v_cndmask_b32_e32 v10, v14, v10, vcc_lo
	v_lshlrev_b32_e32 v13, 2, v10
	ds_bpermute_b32 v10, v13, v6
	ds_bpermute_b32 v11, v13, v7
	ds_bpermute_b32 v12, v13, v8
	ds_bpermute_b32 v13, v13, v9
	s_waitcnt lgkmcnt(2)
	v_add_f64 v[6:7], v[6:7], v[10:11]
	v_xor_b32_e32 v10, 2, v14
	s_waitcnt lgkmcnt(0)
	v_add_f64 v[8:9], v[8:9], v[12:13]
	s_delay_alu instid0(VALU_DEP_2) | instskip(SKIP_1) | instid1(VALU_DEP_1)
	v_cmp_gt_i32_e32 vcc_lo, 32, v10
	v_cndmask_b32_e32 v10, v14, v10, vcc_lo
	v_lshlrev_b32_e32 v13, 2, v10
	ds_bpermute_b32 v10, v13, v6
	ds_bpermute_b32 v11, v13, v7
	;; [unrolled: 1-line block ×4, first 2 shown]
	s_waitcnt lgkmcnt(2)
	v_add_f64 v[6:7], v[6:7], v[10:11]
	s_waitcnt lgkmcnt(0)
	v_add_f64 v[10:11], v[8:9], v[12:13]
	v_xor_b32_e32 v8, 1, v14
	s_delay_alu instid0(VALU_DEP_1) | instskip(SKIP_2) | instid1(VALU_DEP_2)
	v_cmp_gt_i32_e32 vcc_lo, 32, v8
	v_cndmask_b32_e32 v8, v14, v8, vcc_lo
	v_cmp_eq_u32_e32 vcc_lo, 31, v0
	v_lshlrev_b32_e32 v13, 2, v8
	ds_bpermute_b32 v8, v13, v6
	ds_bpermute_b32 v9, v13, v7
	;; [unrolled: 1-line block ×4, first 2 shown]
	s_and_b32 exec_lo, exec_lo, vcc_lo
	s_cbranch_execz .LBB99_23
; %bb.19:
	s_waitcnt lgkmcnt(2)
	v_add_f64 v[8:9], v[6:7], v[8:9]
	s_waitcnt lgkmcnt(0)
	v_add_f64 v[6:7], v[10:11], v[12:13]
	s_load_b64 s[0:1], s[0:1], 0x38
	s_mov_b32 s2, exec_lo
	v_cmpx_eq_f64_e32 0, v[3:4]
	s_xor_b32 s2, exec_lo, s2
	s_cbranch_execz .LBB99_21
; %bb.20:
	s_delay_alu instid0(VALU_DEP_3) | instskip(NEXT) | instid1(VALU_DEP_3)
	v_mul_f64 v[8:9], v[1:2], v[8:9]
	v_mul_f64 v[10:11], v[1:2], v[6:7]
	v_lshlrev_b32_e32 v0, 1, v5
                                        ; implicit-def: $vgpr5
                                        ; implicit-def: $vgpr3_vgpr4
                                        ; implicit-def: $vgpr6_vgpr7
	s_delay_alu instid0(VALU_DEP_1) | instskip(NEXT) | instid1(VALU_DEP_1)
	v_ashrrev_i32_e32 v1, 31, v0
	v_lshlrev_b64 v[0:1], 3, v[0:1]
	s_waitcnt lgkmcnt(0)
	s_delay_alu instid0(VALU_DEP_1) | instskip(NEXT) | instid1(VALU_DEP_2)
	v_add_co_u32 v0, vcc_lo, s0, v0
	v_add_co_ci_u32_e32 v1, vcc_lo, s1, v1, vcc_lo
	global_store_b128 v[0:1], v[8:11], off
                                        ; implicit-def: $vgpr1_vgpr2
                                        ; implicit-def: $vgpr8_vgpr9
.LBB99_21:
	s_and_not1_saveexec_b32 s2, s2
	s_cbranch_execz .LBB99_23
; %bb.22:
	v_lshlrev_b32_e32 v10, 1, v5
	s_delay_alu instid0(VALU_DEP_4) | instskip(NEXT) | instid1(VALU_DEP_4)
	v_mul_f64 v[8:9], v[1:2], v[8:9]
	v_mul_f64 v[5:6], v[1:2], v[6:7]
	s_delay_alu instid0(VALU_DEP_3) | instskip(NEXT) | instid1(VALU_DEP_1)
	v_ashrrev_i32_e32 v11, 31, v10
	v_lshlrev_b64 v[10:11], 3, v[10:11]
	s_waitcnt lgkmcnt(0)
	s_delay_alu instid0(VALU_DEP_1) | instskip(NEXT) | instid1(VALU_DEP_2)
	v_add_co_u32 v14, vcc_lo, s0, v10
	v_add_co_ci_u32_e32 v15, vcc_lo, s1, v11, vcc_lo
	global_load_b128 v[10:13], v[14:15], off
	s_waitcnt vmcnt(0)
	v_fma_f64 v[0:1], v[3:4], v[10:11], v[8:9]
	v_fma_f64 v[2:3], v[3:4], v[12:13], v[5:6]
	global_store_b128 v[14:15], v[0:3], off
.LBB99_23:
	s_nop 0
	s_sendmsg sendmsg(MSG_DEALLOC_VGPRS)
	s_endpgm
	.section	.rodata,"a",@progbits
	.p2align	6, 0x0
	.amdhsa_kernel _ZN9rocsparseL19gebsrmvn_2xn_kernelILj128ELj6ELj32EdEEvi20rocsparse_direction_NS_24const_host_device_scalarIT2_EEPKiS6_PKS3_S8_S4_PS3_21rocsparse_index_base_b
		.amdhsa_group_segment_fixed_size 0
		.amdhsa_private_segment_fixed_size 0
		.amdhsa_kernarg_size 72
		.amdhsa_user_sgpr_count 15
		.amdhsa_user_sgpr_dispatch_ptr 0
		.amdhsa_user_sgpr_queue_ptr 0
		.amdhsa_user_sgpr_kernarg_segment_ptr 1
		.amdhsa_user_sgpr_dispatch_id 0
		.amdhsa_user_sgpr_private_segment_size 0
		.amdhsa_wavefront_size32 1
		.amdhsa_uses_dynamic_stack 0
		.amdhsa_enable_private_segment 0
		.amdhsa_system_sgpr_workgroup_id_x 1
		.amdhsa_system_sgpr_workgroup_id_y 0
		.amdhsa_system_sgpr_workgroup_id_z 0
		.amdhsa_system_sgpr_workgroup_info 0
		.amdhsa_system_vgpr_workitem_id 0
		.amdhsa_next_free_vgpr 54
		.amdhsa_next_free_sgpr 16
		.amdhsa_reserve_vcc 1
		.amdhsa_float_round_mode_32 0
		.amdhsa_float_round_mode_16_64 0
		.amdhsa_float_denorm_mode_32 3
		.amdhsa_float_denorm_mode_16_64 3
		.amdhsa_dx10_clamp 1
		.amdhsa_ieee_mode 1
		.amdhsa_fp16_overflow 0
		.amdhsa_workgroup_processor_mode 1
		.amdhsa_memory_ordered 1
		.amdhsa_forward_progress 0
		.amdhsa_shared_vgpr_count 0
		.amdhsa_exception_fp_ieee_invalid_op 0
		.amdhsa_exception_fp_denorm_src 0
		.amdhsa_exception_fp_ieee_div_zero 0
		.amdhsa_exception_fp_ieee_overflow 0
		.amdhsa_exception_fp_ieee_underflow 0
		.amdhsa_exception_fp_ieee_inexact 0
		.amdhsa_exception_int_div_zero 0
	.end_amdhsa_kernel
	.section	.text._ZN9rocsparseL19gebsrmvn_2xn_kernelILj128ELj6ELj32EdEEvi20rocsparse_direction_NS_24const_host_device_scalarIT2_EEPKiS6_PKS3_S8_S4_PS3_21rocsparse_index_base_b,"axG",@progbits,_ZN9rocsparseL19gebsrmvn_2xn_kernelILj128ELj6ELj32EdEEvi20rocsparse_direction_NS_24const_host_device_scalarIT2_EEPKiS6_PKS3_S8_S4_PS3_21rocsparse_index_base_b,comdat
.Lfunc_end99:
	.size	_ZN9rocsparseL19gebsrmvn_2xn_kernelILj128ELj6ELj32EdEEvi20rocsparse_direction_NS_24const_host_device_scalarIT2_EEPKiS6_PKS3_S8_S4_PS3_21rocsparse_index_base_b, .Lfunc_end99-_ZN9rocsparseL19gebsrmvn_2xn_kernelILj128ELj6ELj32EdEEvi20rocsparse_direction_NS_24const_host_device_scalarIT2_EEPKiS6_PKS3_S8_S4_PS3_21rocsparse_index_base_b
                                        ; -- End function
	.section	.AMDGPU.csdata,"",@progbits
; Kernel info:
; codeLenInByte = 2260
; NumSgprs: 18
; NumVgprs: 54
; ScratchSize: 0
; MemoryBound: 0
; FloatMode: 240
; IeeeMode: 1
; LDSByteSize: 0 bytes/workgroup (compile time only)
; SGPRBlocks: 2
; VGPRBlocks: 6
; NumSGPRsForWavesPerEU: 18
; NumVGPRsForWavesPerEU: 54
; Occupancy: 16
; WaveLimiterHint : 1
; COMPUTE_PGM_RSRC2:SCRATCH_EN: 0
; COMPUTE_PGM_RSRC2:USER_SGPR: 15
; COMPUTE_PGM_RSRC2:TRAP_HANDLER: 0
; COMPUTE_PGM_RSRC2:TGID_X_EN: 1
; COMPUTE_PGM_RSRC2:TGID_Y_EN: 0
; COMPUTE_PGM_RSRC2:TGID_Z_EN: 0
; COMPUTE_PGM_RSRC2:TIDIG_COMP_CNT: 0
	.section	.text._ZN9rocsparseL19gebsrmvn_2xn_kernelILj128ELj6ELj64EdEEvi20rocsparse_direction_NS_24const_host_device_scalarIT2_EEPKiS6_PKS3_S8_S4_PS3_21rocsparse_index_base_b,"axG",@progbits,_ZN9rocsparseL19gebsrmvn_2xn_kernelILj128ELj6ELj64EdEEvi20rocsparse_direction_NS_24const_host_device_scalarIT2_EEPKiS6_PKS3_S8_S4_PS3_21rocsparse_index_base_b,comdat
	.globl	_ZN9rocsparseL19gebsrmvn_2xn_kernelILj128ELj6ELj64EdEEvi20rocsparse_direction_NS_24const_host_device_scalarIT2_EEPKiS6_PKS3_S8_S4_PS3_21rocsparse_index_base_b ; -- Begin function _ZN9rocsparseL19gebsrmvn_2xn_kernelILj128ELj6ELj64EdEEvi20rocsparse_direction_NS_24const_host_device_scalarIT2_EEPKiS6_PKS3_S8_S4_PS3_21rocsparse_index_base_b
	.p2align	8
	.type	_ZN9rocsparseL19gebsrmvn_2xn_kernelILj128ELj6ELj64EdEEvi20rocsparse_direction_NS_24const_host_device_scalarIT2_EEPKiS6_PKS3_S8_S4_PS3_21rocsparse_index_base_b,@function
_ZN9rocsparseL19gebsrmvn_2xn_kernelILj128ELj6ELj64EdEEvi20rocsparse_direction_NS_24const_host_device_scalarIT2_EEPKiS6_PKS3_S8_S4_PS3_21rocsparse_index_base_b: ; @_ZN9rocsparseL19gebsrmvn_2xn_kernelILj128ELj6ELj64EdEEvi20rocsparse_direction_NS_24const_host_device_scalarIT2_EEPKiS6_PKS3_S8_S4_PS3_21rocsparse_index_base_b
; %bb.0:
	s_clause 0x2
	s_load_b64 s[12:13], s[0:1], 0x40
	s_load_b64 s[4:5], s[0:1], 0x8
	;; [unrolled: 1-line block ×3, first 2 shown]
	s_waitcnt lgkmcnt(0)
	s_bitcmp1_b32 s13, 0
	v_dual_mov_b32 v1, s4 :: v_dual_mov_b32 v2, s5
	s_cselect_b32 s6, -1, 0
	s_delay_alu instid0(SALU_CYCLE_1)
	s_and_b32 vcc_lo, exec_lo, s6
	s_xor_b32 s6, s6, -1
	s_cbranch_vccnz .LBB100_2
; %bb.1:
	v_dual_mov_b32 v1, s4 :: v_dual_mov_b32 v2, s5
	flat_load_b64 v[1:2], v[1:2]
.LBB100_2:
	v_dual_mov_b32 v4, s3 :: v_dual_mov_b32 v3, s2
	s_and_not1_b32 vcc_lo, exec_lo, s6
	s_cbranch_vccnz .LBB100_4
; %bb.3:
	v_dual_mov_b32 v4, s3 :: v_dual_mov_b32 v3, s2
	flat_load_b64 v[3:4], v[3:4]
.LBB100_4:
	s_waitcnt vmcnt(0) lgkmcnt(0)
	v_cmp_neq_f64_e32 vcc_lo, 0, v[1:2]
	v_cmp_neq_f64_e64 s2, 1.0, v[3:4]
	s_delay_alu instid0(VALU_DEP_1) | instskip(NEXT) | instid1(SALU_CYCLE_1)
	s_or_b32 s2, vcc_lo, s2
	s_and_saveexec_b32 s3, s2
	s_cbranch_execz .LBB100_23
; %bb.5:
	s_load_b64 s[2:3], s[0:1], 0x0
	v_lshrrev_b32_e32 v5, 6, v0
	s_delay_alu instid0(VALU_DEP_1) | instskip(SKIP_1) | instid1(VALU_DEP_1)
	v_lshl_or_b32 v5, s15, 1, v5
	s_waitcnt lgkmcnt(0)
	v_cmp_gt_i32_e32 vcc_lo, s2, v5
	s_and_b32 exec_lo, exec_lo, vcc_lo
	s_cbranch_execz .LBB100_23
; %bb.6:
	s_load_b256 s[4:11], s[0:1], 0x10
	v_ashrrev_i32_e32 v6, 31, v5
	v_and_b32_e32 v0, 63, v0
	s_cmp_lg_u32 s3, 0
	s_delay_alu instid0(VALU_DEP_2) | instskip(SKIP_1) | instid1(VALU_DEP_1)
	v_lshlrev_b64 v[6:7], 2, v[5:6]
	s_waitcnt lgkmcnt(0)
	v_add_co_u32 v6, vcc_lo, s4, v6
	s_delay_alu instid0(VALU_DEP_2) | instskip(SKIP_4) | instid1(VALU_DEP_2)
	v_add_co_ci_u32_e32 v7, vcc_lo, s5, v7, vcc_lo
	global_load_b64 v[6:7], v[6:7], off
	s_waitcnt vmcnt(0)
	v_subrev_nc_u32_e32 v6, s12, v6
	v_subrev_nc_u32_e32 v16, s12, v7
	v_add_nc_u32_e32 v10, v6, v0
	s_delay_alu instid0(VALU_DEP_1)
	v_cmp_lt_i32_e64 s2, v10, v16
	s_cbranch_scc0 .LBB100_12
; %bb.7:
	v_mov_b32_e32 v6, 0
	v_mov_b32_e32 v7, 0
	s_delay_alu instid0(VALU_DEP_1)
	v_dual_mov_b32 v9, v7 :: v_dual_mov_b32 v8, v6
	s_and_saveexec_b32 s3, s2
	s_cbranch_execz .LBB100_11
; %bb.8:
	v_dual_mov_b32 v6, 0 :: v_dual_mov_b32 v13, 0
	v_dual_mov_b32 v7, 0 :: v_dual_mov_b32 v14, v10
	v_mad_u64_u32 v[11:12], null, v10, 12, 10
	s_mov_b32 s4, 0
	s_delay_alu instid0(VALU_DEP_2)
	v_dual_mov_b32 v9, v7 :: v_dual_mov_b32 v8, v6
.LBB100_9:                              ; =>This Inner Loop Header: Depth=1
	s_delay_alu instid0(VALU_DEP_3) | instskip(NEXT) | instid1(VALU_DEP_3)
	v_ashrrev_i32_e32 v15, 31, v14
	v_add_nc_u32_e32 v12, -10, v11
	v_mov_b32_e32 v42, v13
	s_delay_alu instid0(VALU_DEP_3) | instskip(SKIP_1) | instid1(VALU_DEP_2)
	v_lshlrev_b64 v[17:18], 2, v[14:15]
	v_add_nc_u32_e32 v14, 64, v14
	v_add_co_u32 v17, vcc_lo, s6, v17
	s_delay_alu instid0(VALU_DEP_3) | instskip(SKIP_3) | instid1(VALU_DEP_1)
	v_add_co_ci_u32_e32 v18, vcc_lo, s7, v18, vcc_lo
	global_load_b32 v15, v[17:18], off
	v_lshlrev_b64 v[17:18], 3, v[12:13]
	v_add_nc_u32_e32 v12, -6, v11
	v_lshlrev_b64 v[29:30], 3, v[12:13]
	s_delay_alu instid0(VALU_DEP_3) | instskip(NEXT) | instid1(VALU_DEP_4)
	v_add_co_u32 v21, vcc_lo, s8, v17
	v_add_co_ci_u32_e32 v22, vcc_lo, s9, v18, vcc_lo
	s_waitcnt vmcnt(0)
	v_subrev_nc_u32_e32 v15, s12, v15
	s_delay_alu instid0(VALU_DEP_1) | instskip(NEXT) | instid1(VALU_DEP_1)
	v_mul_lo_u32 v41, v15, 6
	v_lshlrev_b64 v[19:20], 3, v[41:42]
	v_add_nc_u32_e32 v12, 2, v41
	s_delay_alu instid0(VALU_DEP_1) | instskip(NEXT) | instid1(VALU_DEP_3)
	v_lshlrev_b64 v[31:32], 3, v[12:13]
	v_add_co_u32 v25, vcc_lo, s10, v19
	s_delay_alu instid0(VALU_DEP_4)
	v_add_co_ci_u32_e32 v26, vcc_lo, s11, v20, vcc_lo
	s_clause 0x1
	global_load_b128 v[17:20], v[21:22], off offset:16
	global_load_b128 v[21:24], v[21:22], off
	global_load_b128 v[25:28], v[25:26], off
	v_add_co_u32 v29, vcc_lo, s8, v29
	v_add_co_ci_u32_e32 v30, vcc_lo, s9, v30, vcc_lo
	v_add_co_u32 v33, vcc_lo, s10, v31
	v_add_co_ci_u32_e32 v34, vcc_lo, s11, v32, vcc_lo
	global_load_b128 v[29:32], v[29:30], off
	global_load_b128 v[33:36], v[33:34], off
	v_add_nc_u32_e32 v12, -4, v11
	s_delay_alu instid0(VALU_DEP_1) | instskip(SKIP_1) | instid1(VALU_DEP_2)
	v_lshlrev_b64 v[37:38], 3, v[12:13]
	v_add_nc_u32_e32 v12, -2, v11
	v_add_co_u32 v37, vcc_lo, s8, v37
	s_delay_alu instid0(VALU_DEP_3) | instskip(NEXT) | instid1(VALU_DEP_3)
	v_add_co_ci_u32_e32 v38, vcc_lo, s9, v38, vcc_lo
	v_lshlrev_b64 v[42:43], 3, v[12:13]
	v_add_nc_u32_e32 v12, 4, v41
	global_load_b128 v[37:40], v[37:38], off
	v_lshlrev_b64 v[44:45], 3, v[12:13]
	v_add_co_u32 v41, vcc_lo, s8, v42
	v_add_co_ci_u32_e32 v42, vcc_lo, s9, v43, vcc_lo
	v_mov_b32_e32 v12, v13
	s_delay_alu instid0(VALU_DEP_4)
	v_add_co_u32 v46, vcc_lo, s10, v44
	v_add_co_ci_u32_e32 v47, vcc_lo, s11, v45, vcc_lo
	global_load_b128 v[41:44], v[41:42], off
	global_load_b128 v[45:48], v[46:47], off
	v_lshlrev_b64 v[49:50], 3, v[11:12]
	v_add_nc_u32_e32 v11, 0x300, v11
	s_delay_alu instid0(VALU_DEP_2) | instskip(NEXT) | instid1(VALU_DEP_3)
	v_add_co_u32 v49, vcc_lo, s8, v49
	v_add_co_ci_u32_e32 v50, vcc_lo, s9, v50, vcc_lo
	v_cmp_ge_i32_e32 vcc_lo, v14, v16
	global_load_b128 v[49:52], v[49:50], off
	s_or_b32 s4, vcc_lo, s4
	s_waitcnt vmcnt(6)
	v_fma_f64 v[6:7], v[21:22], v[25:26], v[6:7]
	v_fma_f64 v[8:9], v[23:24], v[25:26], v[8:9]
	s_delay_alu instid0(VALU_DEP_2) | instskip(NEXT) | instid1(VALU_DEP_2)
	v_fma_f64 v[6:7], v[17:18], v[27:28], v[6:7]
	v_fma_f64 v[8:9], v[19:20], v[27:28], v[8:9]
	s_waitcnt vmcnt(4)
	s_delay_alu instid0(VALU_DEP_2) | instskip(NEXT) | instid1(VALU_DEP_2)
	v_fma_f64 v[6:7], v[29:30], v[33:34], v[6:7]
	v_fma_f64 v[8:9], v[31:32], v[33:34], v[8:9]
	s_waitcnt vmcnt(3)
	;; [unrolled: 4-line block ×4, first 2 shown]
	s_delay_alu instid0(VALU_DEP_2) | instskip(NEXT) | instid1(VALU_DEP_2)
	v_fma_f64 v[6:7], v[49:50], v[47:48], v[6:7]
	v_fma_f64 v[8:9], v[51:52], v[47:48], v[8:9]
	s_and_not1_b32 exec_lo, exec_lo, s4
	s_cbranch_execnz .LBB100_9
; %bb.10:
	s_or_b32 exec_lo, exec_lo, s4
.LBB100_11:
	s_delay_alu instid0(SALU_CYCLE_1)
	s_or_b32 exec_lo, exec_lo, s3
	s_cbranch_execz .LBB100_13
	s_branch .LBB100_18
.LBB100_12:
                                        ; implicit-def: $vgpr6_vgpr7
                                        ; implicit-def: $vgpr8_vgpr9
.LBB100_13:
	v_mov_b32_e32 v6, 0
	v_mov_b32_e32 v7, 0
	s_delay_alu instid0(VALU_DEP_1)
	v_dual_mov_b32 v9, v7 :: v_dual_mov_b32 v8, v6
	s_and_saveexec_b32 s3, s2
	s_cbranch_execz .LBB100_17
; %bb.14:
	v_mov_b32_e32 v6, 0
	v_dual_mov_b32 v7, 0 :: v_dual_mov_b32 v14, 0
	v_mad_u64_u32 v[12:13], null, v10, 12, 11
	s_mov_b32 s2, 0
	s_delay_alu instid0(VALU_DEP_2)
	v_dual_mov_b32 v9, v7 :: v_dual_mov_b32 v8, v6
.LBB100_15:                             ; =>This Inner Loop Header: Depth=1
	v_ashrrev_i32_e32 v11, 31, v10
	s_delay_alu instid0(VALU_DEP_3) | instskip(NEXT) | instid1(VALU_DEP_2)
	v_dual_mov_b32 v34, v14 :: v_dual_add_nc_u32 v13, -11, v12
	v_lshlrev_b64 v[17:18], 2, v[10:11]
	v_add_nc_u32_e32 v10, 64, v10
	s_delay_alu instid0(VALU_DEP_2) | instskip(NEXT) | instid1(VALU_DEP_3)
	v_add_co_u32 v17, vcc_lo, s6, v17
	v_add_co_ci_u32_e32 v18, vcc_lo, s7, v18, vcc_lo
	global_load_b32 v11, v[17:18], off
	v_dual_mov_b32 v18, v14 :: v_dual_add_nc_u32 v17, -5, v12
	v_lshlrev_b64 v[19:20], 3, v[13:14]
	v_add_nc_u32_e32 v13, -4, v12
	s_delay_alu instid0(VALU_DEP_3) | instskip(NEXT) | instid1(VALU_DEP_3)
	v_lshlrev_b64 v[17:18], 3, v[17:18]
	v_add_co_u32 v21, vcc_lo, s8, v19
	s_delay_alu instid0(VALU_DEP_4) | instskip(NEXT) | instid1(VALU_DEP_3)
	v_add_co_ci_u32_e32 v22, vcc_lo, s9, v20, vcc_lo
	v_add_co_u32 v25, vcc_lo, s8, v17
	s_delay_alu instid0(VALU_DEP_4) | instskip(SKIP_3) | instid1(VALU_DEP_1)
	v_add_co_ci_u32_e32 v26, vcc_lo, s9, v18, vcc_lo
	v_lshlrev_b64 v[29:30], 3, v[13:14]
	s_waitcnt vmcnt(0)
	v_subrev_nc_u32_e32 v11, s12, v11
	v_mul_lo_u32 v33, v11, 6
	s_delay_alu instid0(VALU_DEP_1) | instskip(SKIP_1) | instid1(VALU_DEP_2)
	v_lshlrev_b64 v[19:20], 3, v[33:34]
	v_add_nc_u32_e32 v13, 2, v33
	v_add_co_u32 v27, vcc_lo, s10, v19
	s_delay_alu instid0(VALU_DEP_3)
	v_add_co_ci_u32_e32 v28, vcc_lo, s11, v20, vcc_lo
	s_clause 0x2
	global_load_b128 v[17:20], v[21:22], off offset:16
	global_load_b128 v[21:24], v[21:22], off
	global_load_b64 v[37:38], v[25:26], off
	global_load_b128 v[25:28], v[27:28], off
	v_add_co_u32 v29, vcc_lo, s8, v29
	v_add_co_ci_u32_e32 v30, vcc_lo, s9, v30, vcc_lo
	global_load_b64 v[39:40], v[29:30], off
	v_lshlrev_b64 v[29:30], 3, v[13:14]
	v_add_nc_u32_e32 v13, -3, v12
	s_delay_alu instid0(VALU_DEP_1) | instskip(NEXT) | instid1(VALU_DEP_3)
	v_lshlrev_b64 v[31:32], 3, v[13:14]
	v_add_co_u32 v29, vcc_lo, s10, v29
	s_delay_alu instid0(VALU_DEP_4) | instskip(SKIP_1) | instid1(VALU_DEP_4)
	v_add_co_ci_u32_e32 v30, vcc_lo, s11, v30, vcc_lo
	v_add_nc_u32_e32 v13, -2, v12
	v_add_co_u32 v34, vcc_lo, s8, v31
	v_add_co_ci_u32_e32 v35, vcc_lo, s9, v32, vcc_lo
	global_load_b128 v[29:32], v[29:30], off
	global_load_b64 v[41:42], v[34:35], off
	v_lshlrev_b64 v[34:35], 3, v[13:14]
	v_add_nc_u32_e32 v13, -7, v12
	s_delay_alu instid0(VALU_DEP_2) | instskip(NEXT) | instid1(VALU_DEP_3)
	v_add_co_u32 v34, vcc_lo, s8, v34
	v_add_co_ci_u32_e32 v35, vcc_lo, s9, v35, vcc_lo
	global_load_b64 v[43:44], v[34:35], off
	v_lshlrev_b64 v[34:35], 3, v[13:14]
	v_add_nc_u32_e32 v13, 4, v33
	s_delay_alu instid0(VALU_DEP_1) | instskip(SKIP_1) | instid1(VALU_DEP_4)
	v_lshlrev_b64 v[45:46], 3, v[13:14]
	v_add_nc_u32_e32 v13, -1, v12
	v_add_co_u32 v33, vcc_lo, s8, v34
	v_add_co_ci_u32_e32 v34, vcc_lo, s9, v35, vcc_lo
	s_delay_alu instid0(VALU_DEP_3) | instskip(SKIP_3) | instid1(VALU_DEP_4)
	v_lshlrev_b64 v[35:36], 3, v[13:14]
	v_add_co_u32 v45, vcc_lo, s10, v45
	v_add_co_ci_u32_e32 v46, vcc_lo, s11, v46, vcc_lo
	v_mov_b32_e32 v13, v14
	v_add_co_u32 v47, vcc_lo, s8, v35
	v_add_co_ci_u32_e32 v48, vcc_lo, s9, v36, vcc_lo
	global_load_b64 v[49:50], v[33:34], off
	global_load_b128 v[33:36], v[45:46], off
	global_load_b64 v[45:46], v[47:48], off
	v_lshlrev_b64 v[47:48], 3, v[12:13]
	v_add_nc_u32_e32 v13, -6, v12
	v_add_nc_u32_e32 v12, 0x300, v12
	s_delay_alu instid0(VALU_DEP_2) | instskip(NEXT) | instid1(VALU_DEP_4)
	v_lshlrev_b64 v[51:52], 3, v[13:14]
	v_add_co_u32 v47, vcc_lo, s8, v47
	v_add_co_ci_u32_e32 v48, vcc_lo, s9, v48, vcc_lo
	s_delay_alu instid0(VALU_DEP_3) | instskip(NEXT) | instid1(VALU_DEP_4)
	v_add_co_u32 v51, vcc_lo, s8, v51
	v_add_co_ci_u32_e32 v52, vcc_lo, s9, v52, vcc_lo
	s_clause 0x1
	global_load_b64 v[51:52], v[51:52], off
	global_load_b64 v[47:48], v[47:48], off
	v_cmp_ge_i32_e32 vcc_lo, v10, v16
	s_or_b32 s2, vcc_lo, s2
	s_waitcnt vmcnt(9)
	v_fma_f64 v[6:7], v[21:22], v[25:26], v[6:7]
	v_fma_f64 v[8:9], v[37:38], v[25:26], v[8:9]
	s_delay_alu instid0(VALU_DEP_2) | instskip(SKIP_1) | instid1(VALU_DEP_2)
	v_fma_f64 v[6:7], v[23:24], v[27:28], v[6:7]
	s_waitcnt vmcnt(8)
	v_fma_f64 v[8:9], v[39:40], v[27:28], v[8:9]
	s_waitcnt vmcnt(7)
	s_delay_alu instid0(VALU_DEP_2) | instskip(SKIP_1) | instid1(VALU_DEP_2)
	v_fma_f64 v[6:7], v[17:18], v[29:30], v[6:7]
	s_waitcnt vmcnt(6)
	v_fma_f64 v[8:9], v[41:42], v[29:30], v[8:9]
	s_delay_alu instid0(VALU_DEP_2) | instskip(SKIP_1) | instid1(VALU_DEP_2)
	v_fma_f64 v[6:7], v[19:20], v[31:32], v[6:7]
	s_waitcnt vmcnt(5)
	v_fma_f64 v[8:9], v[43:44], v[31:32], v[8:9]
	s_waitcnt vmcnt(3)
	s_delay_alu instid0(VALU_DEP_2) | instskip(SKIP_1) | instid1(VALU_DEP_2)
	v_fma_f64 v[6:7], v[49:50], v[33:34], v[6:7]
	s_waitcnt vmcnt(2)
	v_fma_f64 v[8:9], v[45:46], v[33:34], v[8:9]
	s_waitcnt vmcnt(1)
	s_delay_alu instid0(VALU_DEP_2) | instskip(SKIP_1) | instid1(VALU_DEP_2)
	v_fma_f64 v[6:7], v[51:52], v[35:36], v[6:7]
	s_waitcnt vmcnt(0)
	v_fma_f64 v[8:9], v[47:48], v[35:36], v[8:9]
	s_and_not1_b32 exec_lo, exec_lo, s2
	s_cbranch_execnz .LBB100_15
; %bb.16:
	s_or_b32 exec_lo, exec_lo, s2
.LBB100_17:
	s_delay_alu instid0(SALU_CYCLE_1)
	s_or_b32 exec_lo, exec_lo, s3
.LBB100_18:
	v_mbcnt_lo_u32_b32 v14, -1, 0
	s_delay_alu instid0(VALU_DEP_1) | instskip(NEXT) | instid1(VALU_DEP_1)
	v_or_b32_e32 v10, 32, v14
	v_cmp_gt_i32_e32 vcc_lo, 32, v10
	v_cndmask_b32_e32 v10, v14, v10, vcc_lo
	s_delay_alu instid0(VALU_DEP_1)
	v_lshlrev_b32_e32 v13, 2, v10
	ds_bpermute_b32 v10, v13, v6
	ds_bpermute_b32 v11, v13, v7
	ds_bpermute_b32 v12, v13, v8
	ds_bpermute_b32 v13, v13, v9
	s_waitcnt lgkmcnt(2)
	v_add_f64 v[6:7], v[6:7], v[10:11]
	v_xor_b32_e32 v10, 16, v14
	s_waitcnt lgkmcnt(0)
	v_add_f64 v[8:9], v[8:9], v[12:13]
	s_delay_alu instid0(VALU_DEP_2) | instskip(SKIP_1) | instid1(VALU_DEP_1)
	v_cmp_gt_i32_e32 vcc_lo, 32, v10
	v_cndmask_b32_e32 v10, v14, v10, vcc_lo
	v_lshlrev_b32_e32 v13, 2, v10
	ds_bpermute_b32 v10, v13, v6
	ds_bpermute_b32 v11, v13, v7
	ds_bpermute_b32 v12, v13, v8
	ds_bpermute_b32 v13, v13, v9
	s_waitcnt lgkmcnt(2)
	v_add_f64 v[6:7], v[6:7], v[10:11]
	v_xor_b32_e32 v10, 8, v14
	s_waitcnt lgkmcnt(0)
	v_add_f64 v[8:9], v[8:9], v[12:13]
	s_delay_alu instid0(VALU_DEP_2) | instskip(SKIP_1) | instid1(VALU_DEP_1)
	v_cmp_gt_i32_e32 vcc_lo, 32, v10
	v_cndmask_b32_e32 v10, v14, v10, vcc_lo
	;; [unrolled: 13-line block ×4, first 2 shown]
	v_lshlrev_b32_e32 v13, 2, v10
	ds_bpermute_b32 v10, v13, v6
	ds_bpermute_b32 v11, v13, v7
	;; [unrolled: 1-line block ×4, first 2 shown]
	s_waitcnt lgkmcnt(2)
	v_add_f64 v[6:7], v[6:7], v[10:11]
	s_waitcnt lgkmcnt(0)
	v_add_f64 v[10:11], v[8:9], v[12:13]
	v_xor_b32_e32 v8, 1, v14
	s_delay_alu instid0(VALU_DEP_1) | instskip(SKIP_2) | instid1(VALU_DEP_2)
	v_cmp_gt_i32_e32 vcc_lo, 32, v8
	v_cndmask_b32_e32 v8, v14, v8, vcc_lo
	v_cmp_eq_u32_e32 vcc_lo, 63, v0
	v_lshlrev_b32_e32 v13, 2, v8
	ds_bpermute_b32 v8, v13, v6
	ds_bpermute_b32 v9, v13, v7
	ds_bpermute_b32 v12, v13, v10
	ds_bpermute_b32 v13, v13, v11
	s_and_b32 exec_lo, exec_lo, vcc_lo
	s_cbranch_execz .LBB100_23
; %bb.19:
	s_waitcnt lgkmcnt(2)
	v_add_f64 v[8:9], v[6:7], v[8:9]
	s_waitcnt lgkmcnt(0)
	v_add_f64 v[6:7], v[10:11], v[12:13]
	s_load_b64 s[0:1], s[0:1], 0x38
	s_mov_b32 s2, exec_lo
	v_cmpx_eq_f64_e32 0, v[3:4]
	s_xor_b32 s2, exec_lo, s2
	s_cbranch_execz .LBB100_21
; %bb.20:
	s_delay_alu instid0(VALU_DEP_3) | instskip(NEXT) | instid1(VALU_DEP_3)
	v_mul_f64 v[8:9], v[1:2], v[8:9]
	v_mul_f64 v[10:11], v[1:2], v[6:7]
	v_lshlrev_b32_e32 v0, 1, v5
                                        ; implicit-def: $vgpr5
                                        ; implicit-def: $vgpr3_vgpr4
                                        ; implicit-def: $vgpr6_vgpr7
	s_delay_alu instid0(VALU_DEP_1) | instskip(NEXT) | instid1(VALU_DEP_1)
	v_ashrrev_i32_e32 v1, 31, v0
	v_lshlrev_b64 v[0:1], 3, v[0:1]
	s_waitcnt lgkmcnt(0)
	s_delay_alu instid0(VALU_DEP_1) | instskip(NEXT) | instid1(VALU_DEP_2)
	v_add_co_u32 v0, vcc_lo, s0, v0
	v_add_co_ci_u32_e32 v1, vcc_lo, s1, v1, vcc_lo
	global_store_b128 v[0:1], v[8:11], off
                                        ; implicit-def: $vgpr1_vgpr2
                                        ; implicit-def: $vgpr8_vgpr9
.LBB100_21:
	s_and_not1_saveexec_b32 s2, s2
	s_cbranch_execz .LBB100_23
; %bb.22:
	v_lshlrev_b32_e32 v10, 1, v5
	s_delay_alu instid0(VALU_DEP_4) | instskip(NEXT) | instid1(VALU_DEP_4)
	v_mul_f64 v[8:9], v[1:2], v[8:9]
	v_mul_f64 v[5:6], v[1:2], v[6:7]
	s_delay_alu instid0(VALU_DEP_3) | instskip(NEXT) | instid1(VALU_DEP_1)
	v_ashrrev_i32_e32 v11, 31, v10
	v_lshlrev_b64 v[10:11], 3, v[10:11]
	s_waitcnt lgkmcnt(0)
	s_delay_alu instid0(VALU_DEP_1) | instskip(NEXT) | instid1(VALU_DEP_2)
	v_add_co_u32 v14, vcc_lo, s0, v10
	v_add_co_ci_u32_e32 v15, vcc_lo, s1, v11, vcc_lo
	global_load_b128 v[10:13], v[14:15], off
	s_waitcnt vmcnt(0)
	v_fma_f64 v[0:1], v[3:4], v[10:11], v[8:9]
	v_fma_f64 v[2:3], v[3:4], v[12:13], v[5:6]
	global_store_b128 v[14:15], v[0:3], off
.LBB100_23:
	s_nop 0
	s_sendmsg sendmsg(MSG_DEALLOC_VGPRS)
	s_endpgm
	.section	.rodata,"a",@progbits
	.p2align	6, 0x0
	.amdhsa_kernel _ZN9rocsparseL19gebsrmvn_2xn_kernelILj128ELj6ELj64EdEEvi20rocsparse_direction_NS_24const_host_device_scalarIT2_EEPKiS6_PKS3_S8_S4_PS3_21rocsparse_index_base_b
		.amdhsa_group_segment_fixed_size 0
		.amdhsa_private_segment_fixed_size 0
		.amdhsa_kernarg_size 72
		.amdhsa_user_sgpr_count 15
		.amdhsa_user_sgpr_dispatch_ptr 0
		.amdhsa_user_sgpr_queue_ptr 0
		.amdhsa_user_sgpr_kernarg_segment_ptr 1
		.amdhsa_user_sgpr_dispatch_id 0
		.amdhsa_user_sgpr_private_segment_size 0
		.amdhsa_wavefront_size32 1
		.amdhsa_uses_dynamic_stack 0
		.amdhsa_enable_private_segment 0
		.amdhsa_system_sgpr_workgroup_id_x 1
		.amdhsa_system_sgpr_workgroup_id_y 0
		.amdhsa_system_sgpr_workgroup_id_z 0
		.amdhsa_system_sgpr_workgroup_info 0
		.amdhsa_system_vgpr_workitem_id 0
		.amdhsa_next_free_vgpr 53
		.amdhsa_next_free_sgpr 16
		.amdhsa_reserve_vcc 1
		.amdhsa_float_round_mode_32 0
		.amdhsa_float_round_mode_16_64 0
		.amdhsa_float_denorm_mode_32 3
		.amdhsa_float_denorm_mode_16_64 3
		.amdhsa_dx10_clamp 1
		.amdhsa_ieee_mode 1
		.amdhsa_fp16_overflow 0
		.amdhsa_workgroup_processor_mode 1
		.amdhsa_memory_ordered 1
		.amdhsa_forward_progress 0
		.amdhsa_shared_vgpr_count 0
		.amdhsa_exception_fp_ieee_invalid_op 0
		.amdhsa_exception_fp_denorm_src 0
		.amdhsa_exception_fp_ieee_div_zero 0
		.amdhsa_exception_fp_ieee_overflow 0
		.amdhsa_exception_fp_ieee_underflow 0
		.amdhsa_exception_fp_ieee_inexact 0
		.amdhsa_exception_int_div_zero 0
	.end_amdhsa_kernel
	.section	.text._ZN9rocsparseL19gebsrmvn_2xn_kernelILj128ELj6ELj64EdEEvi20rocsparse_direction_NS_24const_host_device_scalarIT2_EEPKiS6_PKS3_S8_S4_PS3_21rocsparse_index_base_b,"axG",@progbits,_ZN9rocsparseL19gebsrmvn_2xn_kernelILj128ELj6ELj64EdEEvi20rocsparse_direction_NS_24const_host_device_scalarIT2_EEPKiS6_PKS3_S8_S4_PS3_21rocsparse_index_base_b,comdat
.Lfunc_end100:
	.size	_ZN9rocsparseL19gebsrmvn_2xn_kernelILj128ELj6ELj64EdEEvi20rocsparse_direction_NS_24const_host_device_scalarIT2_EEPKiS6_PKS3_S8_S4_PS3_21rocsparse_index_base_b, .Lfunc_end100-_ZN9rocsparseL19gebsrmvn_2xn_kernelILj128ELj6ELj64EdEEvi20rocsparse_direction_NS_24const_host_device_scalarIT2_EEPKiS6_PKS3_S8_S4_PS3_21rocsparse_index_base_b
                                        ; -- End function
	.section	.AMDGPU.csdata,"",@progbits
; Kernel info:
; codeLenInByte = 2340
; NumSgprs: 18
; NumVgprs: 53
; ScratchSize: 0
; MemoryBound: 0
; FloatMode: 240
; IeeeMode: 1
; LDSByteSize: 0 bytes/workgroup (compile time only)
; SGPRBlocks: 2
; VGPRBlocks: 6
; NumSGPRsForWavesPerEU: 18
; NumVGPRsForWavesPerEU: 53
; Occupancy: 16
; WaveLimiterHint : 1
; COMPUTE_PGM_RSRC2:SCRATCH_EN: 0
; COMPUTE_PGM_RSRC2:USER_SGPR: 15
; COMPUTE_PGM_RSRC2:TRAP_HANDLER: 0
; COMPUTE_PGM_RSRC2:TGID_X_EN: 1
; COMPUTE_PGM_RSRC2:TGID_Y_EN: 0
; COMPUTE_PGM_RSRC2:TGID_Z_EN: 0
; COMPUTE_PGM_RSRC2:TIDIG_COMP_CNT: 0
	.section	.text._ZN9rocsparseL19gebsrmvn_2xn_kernelILj128ELj7ELj4EdEEvi20rocsparse_direction_NS_24const_host_device_scalarIT2_EEPKiS6_PKS3_S8_S4_PS3_21rocsparse_index_base_b,"axG",@progbits,_ZN9rocsparseL19gebsrmvn_2xn_kernelILj128ELj7ELj4EdEEvi20rocsparse_direction_NS_24const_host_device_scalarIT2_EEPKiS6_PKS3_S8_S4_PS3_21rocsparse_index_base_b,comdat
	.globl	_ZN9rocsparseL19gebsrmvn_2xn_kernelILj128ELj7ELj4EdEEvi20rocsparse_direction_NS_24const_host_device_scalarIT2_EEPKiS6_PKS3_S8_S4_PS3_21rocsparse_index_base_b ; -- Begin function _ZN9rocsparseL19gebsrmvn_2xn_kernelILj128ELj7ELj4EdEEvi20rocsparse_direction_NS_24const_host_device_scalarIT2_EEPKiS6_PKS3_S8_S4_PS3_21rocsparse_index_base_b
	.p2align	8
	.type	_ZN9rocsparseL19gebsrmvn_2xn_kernelILj128ELj7ELj4EdEEvi20rocsparse_direction_NS_24const_host_device_scalarIT2_EEPKiS6_PKS3_S8_S4_PS3_21rocsparse_index_base_b,@function
_ZN9rocsparseL19gebsrmvn_2xn_kernelILj128ELj7ELj4EdEEvi20rocsparse_direction_NS_24const_host_device_scalarIT2_EEPKiS6_PKS3_S8_S4_PS3_21rocsparse_index_base_b: ; @_ZN9rocsparseL19gebsrmvn_2xn_kernelILj128ELj7ELj4EdEEvi20rocsparse_direction_NS_24const_host_device_scalarIT2_EEPKiS6_PKS3_S8_S4_PS3_21rocsparse_index_base_b
; %bb.0:
	s_clause 0x2
	s_load_b64 s[12:13], s[0:1], 0x40
	s_load_b64 s[4:5], s[0:1], 0x8
	;; [unrolled: 1-line block ×3, first 2 shown]
	s_waitcnt lgkmcnt(0)
	s_bitcmp1_b32 s13, 0
	v_dual_mov_b32 v1, s4 :: v_dual_mov_b32 v2, s5
	s_cselect_b32 s6, -1, 0
	s_delay_alu instid0(SALU_CYCLE_1)
	s_and_b32 vcc_lo, exec_lo, s6
	s_xor_b32 s6, s6, -1
	s_cbranch_vccnz .LBB101_2
; %bb.1:
	v_dual_mov_b32 v1, s4 :: v_dual_mov_b32 v2, s5
	flat_load_b64 v[1:2], v[1:2]
.LBB101_2:
	v_dual_mov_b32 v4, s3 :: v_dual_mov_b32 v3, s2
	s_and_not1_b32 vcc_lo, exec_lo, s6
	s_cbranch_vccnz .LBB101_4
; %bb.3:
	v_dual_mov_b32 v4, s3 :: v_dual_mov_b32 v3, s2
	flat_load_b64 v[3:4], v[3:4]
.LBB101_4:
	s_waitcnt vmcnt(0) lgkmcnt(0)
	v_cmp_neq_f64_e32 vcc_lo, 0, v[1:2]
	v_cmp_neq_f64_e64 s2, 1.0, v[3:4]
	s_delay_alu instid0(VALU_DEP_1) | instskip(NEXT) | instid1(SALU_CYCLE_1)
	s_or_b32 s2, vcc_lo, s2
	s_and_saveexec_b32 s3, s2
	s_cbranch_execz .LBB101_23
; %bb.5:
	s_load_b64 s[2:3], s[0:1], 0x0
	v_lshrrev_b32_e32 v5, 2, v0
	s_delay_alu instid0(VALU_DEP_1) | instskip(SKIP_1) | instid1(VALU_DEP_1)
	v_lshl_or_b32 v5, s15, 5, v5
	s_waitcnt lgkmcnt(0)
	v_cmp_gt_i32_e32 vcc_lo, s2, v5
	s_and_b32 exec_lo, exec_lo, vcc_lo
	s_cbranch_execz .LBB101_23
; %bb.6:
	s_load_b256 s[4:11], s[0:1], 0x10
	v_ashrrev_i32_e32 v6, 31, v5
	v_and_b32_e32 v0, 3, v0
	s_cmp_lg_u32 s3, 0
	s_delay_alu instid0(VALU_DEP_2) | instskip(SKIP_1) | instid1(VALU_DEP_1)
	v_lshlrev_b64 v[6:7], 2, v[5:6]
	s_waitcnt lgkmcnt(0)
	v_add_co_u32 v6, vcc_lo, s4, v6
	s_delay_alu instid0(VALU_DEP_2) | instskip(SKIP_4) | instid1(VALU_DEP_2)
	v_add_co_ci_u32_e32 v7, vcc_lo, s5, v7, vcc_lo
	global_load_b64 v[6:7], v[6:7], off
	s_waitcnt vmcnt(0)
	v_subrev_nc_u32_e32 v6, s12, v6
	v_subrev_nc_u32_e32 v17, s12, v7
	v_add_nc_u32_e32 v6, v6, v0
	s_delay_alu instid0(VALU_DEP_1)
	v_cmp_lt_i32_e64 s2, v6, v17
	s_cbranch_scc0 .LBB101_12
; %bb.7:
	v_mov_b32_e32 v8, 0
	v_mov_b32_e32 v9, 0
	s_delay_alu instid0(VALU_DEP_1)
	v_dual_mov_b32 v11, v9 :: v_dual_mov_b32 v10, v8
	s_and_saveexec_b32 s3, s2
	s_cbranch_execz .LBB101_11
; %bb.8:
	v_dual_mov_b32 v8, 0 :: v_dual_mov_b32 v15, v6
	v_dual_mov_b32 v9, 0 :: v_dual_mov_b32 v14, 0
	v_mad_u64_u32 v[12:13], null, v6, 14, 12
	s_mov_b32 s4, 0
	s_delay_alu instid0(VALU_DEP_2)
	v_dual_mov_b32 v11, v9 :: v_dual_mov_b32 v10, v8
.LBB101_9:                              ; =>This Inner Loop Header: Depth=1
	v_ashrrev_i32_e32 v16, 31, v15
	s_delay_alu instid0(VALU_DEP_3) | instskip(SKIP_1) | instid1(VALU_DEP_3)
	v_add_nc_u32_e32 v13, -12, v12
	v_mov_b32_e32 v43, v14
	v_lshlrev_b64 v[18:19], 2, v[15:16]
	v_add_nc_u32_e32 v15, 4, v15
	s_delay_alu instid0(VALU_DEP_2) | instskip(NEXT) | instid1(VALU_DEP_3)
	v_add_co_u32 v18, vcc_lo, s6, v18
	v_add_co_ci_u32_e32 v19, vcc_lo, s7, v19, vcc_lo
	global_load_b32 v7, v[18:19], off
	v_lshlrev_b64 v[18:19], 3, v[13:14]
	v_add_nc_u32_e32 v13, -10, v12
	s_delay_alu instid0(VALU_DEP_2) | instskip(NEXT) | instid1(VALU_DEP_3)
	v_add_co_u32 v18, vcc_lo, s8, v18
	v_add_co_ci_u32_e32 v19, vcc_lo, s9, v19, vcc_lo
	s_waitcnt vmcnt(0)
	v_subrev_nc_u32_e32 v7, s12, v7
	s_delay_alu instid0(VALU_DEP_1) | instskip(NEXT) | instid1(VALU_DEP_1)
	v_mul_lo_u32 v42, v7, 7
	v_lshlrev_b64 v[20:21], 3, v[42:43]
	s_delay_alu instid0(VALU_DEP_1) | instskip(NEXT) | instid1(VALU_DEP_2)
	v_add_co_u32 v22, vcc_lo, s10, v20
	v_add_co_ci_u32_e32 v23, vcc_lo, s11, v21, vcc_lo
	global_load_b128 v[18:21], v[18:19], off
	global_load_b64 v[46:47], v[22:23], off
	v_lshlrev_b64 v[22:23], 3, v[13:14]
	v_add_nc_u32_e32 v13, 1, v42
	s_delay_alu instid0(VALU_DEP_1) | instskip(NEXT) | instid1(VALU_DEP_3)
	v_lshlrev_b64 v[24:25], 3, v[13:14]
	v_add_co_u32 v22, vcc_lo, s8, v22
	s_delay_alu instid0(VALU_DEP_4) | instskip(SKIP_1) | instid1(VALU_DEP_4)
	v_add_co_ci_u32_e32 v23, vcc_lo, s9, v23, vcc_lo
	v_add_nc_u32_e32 v13, -8, v12
	v_add_co_u32 v26, vcc_lo, s10, v24
	v_add_co_ci_u32_e32 v27, vcc_lo, s11, v25, vcc_lo
	global_load_b128 v[22:25], v[22:23], off
	global_load_b64 v[48:49], v[26:27], off
	v_lshlrev_b64 v[26:27], 3, v[13:14]
	v_add_nc_u32_e32 v13, 2, v42
	s_delay_alu instid0(VALU_DEP_1) | instskip(NEXT) | instid1(VALU_DEP_3)
	v_lshlrev_b64 v[28:29], 3, v[13:14]
	v_add_co_u32 v26, vcc_lo, s8, v26
	s_delay_alu instid0(VALU_DEP_4) | instskip(SKIP_1) | instid1(VALU_DEP_4)
	v_add_co_ci_u32_e32 v27, vcc_lo, s9, v27, vcc_lo
	v_add_nc_u32_e32 v13, -6, v12
	;; [unrolled: 12-line block ×4, first 2 shown]
	v_add_co_u32 v38, vcc_lo, s10, v36
	v_add_co_ci_u32_e32 v39, vcc_lo, s11, v37, vcc_lo
	global_load_b128 v[34:37], v[34:35], off
	global_load_b64 v[54:55], v[38:39], off
	v_lshlrev_b64 v[38:39], 3, v[13:14]
	v_add_nc_u32_e32 v13, 5, v42
	s_delay_alu instid0(VALU_DEP_1) | instskip(NEXT) | instid1(VALU_DEP_3)
	v_lshlrev_b64 v[40:41], 3, v[13:14]
	v_add_co_u32 v38, vcc_lo, s8, v38
	s_delay_alu instid0(VALU_DEP_4) | instskip(SKIP_1) | instid1(VALU_DEP_4)
	v_add_co_ci_u32_e32 v39, vcc_lo, s9, v39, vcc_lo
	v_mov_b32_e32 v13, v14
	v_add_co_u32 v43, vcc_lo, s10, v40
	v_add_co_ci_u32_e32 v44, vcc_lo, s11, v41, vcc_lo
	global_load_b128 v[38:41], v[38:39], off
	global_load_b64 v[56:57], v[43:44], off
	v_lshlrev_b64 v[43:44], 3, v[12:13]
	v_add_nc_u32_e32 v12, 56, v12
	v_add_nc_u32_e32 v13, 6, v42
	s_delay_alu instid0(VALU_DEP_3) | instskip(NEXT) | instid1(VALU_DEP_2)
	v_add_co_u32 v42, vcc_lo, s8, v43
	v_lshlrev_b64 v[58:59], 3, v[13:14]
	v_add_co_ci_u32_e32 v43, vcc_lo, s9, v44, vcc_lo
	s_delay_alu instid0(VALU_DEP_2) | instskip(NEXT) | instid1(VALU_DEP_3)
	v_add_co_u32 v58, vcc_lo, s10, v58
	v_add_co_ci_u32_e32 v59, vcc_lo, s11, v59, vcc_lo
	global_load_b128 v[42:45], v[42:43], off
	global_load_b64 v[58:59], v[58:59], off
	v_cmp_ge_i32_e32 vcc_lo, v15, v17
	s_or_b32 s4, vcc_lo, s4
	s_waitcnt vmcnt(12)
	v_fma_f64 v[7:8], v[18:19], v[46:47], v[8:9]
	v_fma_f64 v[9:10], v[20:21], v[46:47], v[10:11]
	s_waitcnt vmcnt(10)
	s_delay_alu instid0(VALU_DEP_2) | instskip(NEXT) | instid1(VALU_DEP_2)
	v_fma_f64 v[7:8], v[22:23], v[48:49], v[7:8]
	v_fma_f64 v[9:10], v[24:25], v[48:49], v[9:10]
	s_waitcnt vmcnt(8)
	s_delay_alu instid0(VALU_DEP_2) | instskip(NEXT) | instid1(VALU_DEP_2)
	v_fma_f64 v[7:8], v[26:27], v[50:51], v[7:8]
	v_fma_f64 v[9:10], v[28:29], v[50:51], v[9:10]
	s_waitcnt vmcnt(6)
	s_delay_alu instid0(VALU_DEP_2) | instskip(NEXT) | instid1(VALU_DEP_2)
	v_fma_f64 v[7:8], v[30:31], v[52:53], v[7:8]
	v_fma_f64 v[9:10], v[32:33], v[52:53], v[9:10]
	s_waitcnt vmcnt(4)
	s_delay_alu instid0(VALU_DEP_2) | instskip(NEXT) | instid1(VALU_DEP_2)
	v_fma_f64 v[7:8], v[34:35], v[54:55], v[7:8]
	v_fma_f64 v[9:10], v[36:37], v[54:55], v[9:10]
	s_waitcnt vmcnt(2)
	s_delay_alu instid0(VALU_DEP_2) | instskip(NEXT) | instid1(VALU_DEP_2)
	v_fma_f64 v[7:8], v[38:39], v[56:57], v[7:8]
	v_fma_f64 v[10:11], v[40:41], v[56:57], v[9:10]
	s_waitcnt vmcnt(0)
	s_delay_alu instid0(VALU_DEP_2) | instskip(NEXT) | instid1(VALU_DEP_2)
	v_fma_f64 v[8:9], v[42:43], v[58:59], v[7:8]
	v_fma_f64 v[10:11], v[44:45], v[58:59], v[10:11]
	s_and_not1_b32 exec_lo, exec_lo, s4
	s_cbranch_execnz .LBB101_9
; %bb.10:
	s_or_b32 exec_lo, exec_lo, s4
.LBB101_11:
	s_delay_alu instid0(SALU_CYCLE_1)
	s_or_b32 exec_lo, exec_lo, s3
	s_cbranch_execz .LBB101_13
	s_branch .LBB101_18
.LBB101_12:
                                        ; implicit-def: $vgpr8_vgpr9
                                        ; implicit-def: $vgpr10_vgpr11
.LBB101_13:
	v_mov_b32_e32 v8, 0
	v_mov_b32_e32 v9, 0
	s_delay_alu instid0(VALU_DEP_1)
	v_dual_mov_b32 v11, v9 :: v_dual_mov_b32 v10, v8
	s_and_saveexec_b32 s3, s2
	s_cbranch_execz .LBB101_17
; %bb.14:
	v_mov_b32_e32 v8, 0
	v_dual_mov_b32 v9, 0 :: v_dual_mov_b32 v14, 0
	v_mad_u64_u32 v[12:13], null, v6, 14, 13
	s_mov_b32 s2, 0
	s_delay_alu instid0(VALU_DEP_2)
	v_dual_mov_b32 v11, v9 :: v_dual_mov_b32 v10, v8
.LBB101_15:                             ; =>This Inner Loop Header: Depth=1
	v_ashrrev_i32_e32 v7, 31, v6
	s_delay_alu instid0(VALU_DEP_3) | instskip(SKIP_1) | instid1(VALU_DEP_3)
	v_add_nc_u32_e32 v13, -13, v12
	v_mov_b32_e32 v23, v14
	v_lshlrev_b64 v[15:16], 2, v[6:7]
	v_add_nc_u32_e32 v6, 4, v6
	s_delay_alu instid0(VALU_DEP_2) | instskip(NEXT) | instid1(VALU_DEP_3)
	v_add_co_u32 v15, vcc_lo, s6, v15
	v_add_co_ci_u32_e32 v16, vcc_lo, s7, v16, vcc_lo
	global_load_b32 v7, v[15:16], off
	v_dual_mov_b32 v16, v14 :: v_dual_add_nc_u32 v15, -6, v12
	v_lshlrev_b64 v[18:19], 3, v[13:14]
	s_delay_alu instid0(VALU_DEP_2) | instskip(NEXT) | instid1(VALU_DEP_2)
	v_lshlrev_b64 v[15:16], 3, v[15:16]
	v_add_co_u32 v18, vcc_lo, s8, v18
	s_delay_alu instid0(VALU_DEP_3) | instskip(NEXT) | instid1(VALU_DEP_3)
	v_add_co_ci_u32_e32 v19, vcc_lo, s9, v19, vcc_lo
	v_add_co_u32 v15, vcc_lo, s8, v15
	s_delay_alu instid0(VALU_DEP_4) | instskip(SKIP_2) | instid1(VALU_DEP_1)
	v_add_co_ci_u32_e32 v16, vcc_lo, s9, v16, vcc_lo
	s_waitcnt vmcnt(0)
	v_subrev_nc_u32_e32 v7, s12, v7
	v_mul_lo_u32 v22, v7, 7
	s_delay_alu instid0(VALU_DEP_1) | instskip(SKIP_1) | instid1(VALU_DEP_1)
	v_lshlrev_b64 v[20:21], 3, v[22:23]
	v_add_nc_u32_e32 v13, 1, v22
	v_lshlrev_b64 v[25:26], 3, v[13:14]
	s_delay_alu instid0(VALU_DEP_3) | instskip(NEXT) | instid1(VALU_DEP_4)
	v_add_co_u32 v23, vcc_lo, s10, v20
	v_add_co_ci_u32_e32 v24, vcc_lo, s11, v21, vcc_lo
	s_clause 0x1
	global_load_b128 v[18:21], v[18:19], off
	global_load_b64 v[15:16], v[15:16], off
	global_load_b64 v[23:24], v[23:24], off
	v_add_nc_u32_e32 v13, -5, v12
	v_add_co_u32 v25, vcc_lo, s10, v25
	v_add_co_ci_u32_e32 v26, vcc_lo, s11, v26, vcc_lo
	s_delay_alu instid0(VALU_DEP_3) | instskip(SKIP_1) | instid1(VALU_DEP_2)
	v_lshlrev_b64 v[27:28], 3, v[13:14]
	v_add_nc_u32_e32 v13, -11, v12
	v_add_co_u32 v27, vcc_lo, s8, v27
	s_delay_alu instid0(VALU_DEP_3) | instskip(SKIP_4) | instid1(VALU_DEP_1)
	v_add_co_ci_u32_e32 v28, vcc_lo, s9, v28, vcc_lo
	global_load_b64 v[25:26], v[25:26], off
	global_load_b64 v[27:28], v[27:28], off
	v_lshlrev_b64 v[29:30], 3, v[13:14]
	v_add_nc_u32_e32 v13, 2, v22
	v_lshlrev_b64 v[31:32], 3, v[13:14]
	v_add_nc_u32_e32 v13, -4, v12
	s_delay_alu instid0(VALU_DEP_4) | instskip(SKIP_1) | instid1(VALU_DEP_3)
	v_add_co_u32 v29, vcc_lo, s8, v29
	v_add_co_ci_u32_e32 v30, vcc_lo, s9, v30, vcc_lo
	v_lshlrev_b64 v[33:34], 3, v[13:14]
	v_add_co_u32 v31, vcc_lo, s10, v31
	v_add_co_ci_u32_e32 v32, vcc_lo, s11, v32, vcc_lo
	v_add_nc_u32_e32 v13, -10, v12
	s_delay_alu instid0(VALU_DEP_4)
	v_add_co_u32 v33, vcc_lo, s8, v33
	v_add_co_ci_u32_e32 v34, vcc_lo, s9, v34, vcc_lo
	global_load_b64 v[29:30], v[29:30], off
	global_load_b64 v[31:32], v[31:32], off
	global_load_b64 v[33:34], v[33:34], off
	v_lshlrev_b64 v[35:36], 3, v[13:14]
	v_add_nc_u32_e32 v13, 3, v22
	s_delay_alu instid0(VALU_DEP_1) | instskip(SKIP_1) | instid1(VALU_DEP_4)
	v_lshlrev_b64 v[37:38], 3, v[13:14]
	v_add_nc_u32_e32 v13, -3, v12
	v_add_co_u32 v35, vcc_lo, s8, v35
	v_add_co_ci_u32_e32 v36, vcc_lo, s9, v36, vcc_lo
	s_delay_alu instid0(VALU_DEP_3) | instskip(SKIP_3) | instid1(VALU_DEP_4)
	v_lshlrev_b64 v[39:40], 3, v[13:14]
	v_add_co_u32 v37, vcc_lo, s10, v37
	v_add_co_ci_u32_e32 v38, vcc_lo, s11, v38, vcc_lo
	v_add_nc_u32_e32 v13, -9, v12
	v_add_co_u32 v39, vcc_lo, s8, v39
	v_add_co_ci_u32_e32 v40, vcc_lo, s9, v40, vcc_lo
	global_load_b64 v[35:36], v[35:36], off
	global_load_b64 v[37:38], v[37:38], off
	;; [unrolled: 1-line block ×3, first 2 shown]
	v_lshlrev_b64 v[41:42], 3, v[13:14]
	v_add_nc_u32_e32 v13, 4, v22
	s_delay_alu instid0(VALU_DEP_1) | instskip(SKIP_1) | instid1(VALU_DEP_4)
	v_lshlrev_b64 v[43:44], 3, v[13:14]
	v_add_nc_u32_e32 v13, -2, v12
	v_add_co_u32 v41, vcc_lo, s8, v41
	v_add_co_ci_u32_e32 v42, vcc_lo, s9, v42, vcc_lo
	s_delay_alu instid0(VALU_DEP_3) | instskip(SKIP_3) | instid1(VALU_DEP_4)
	v_lshlrev_b64 v[45:46], 3, v[13:14]
	v_add_co_u32 v43, vcc_lo, s10, v43
	v_add_co_ci_u32_e32 v44, vcc_lo, s11, v44, vcc_lo
	v_add_nc_u32_e32 v13, -8, v12
	v_add_co_u32 v45, vcc_lo, s8, v45
	v_add_co_ci_u32_e32 v46, vcc_lo, s9, v46, vcc_lo
	global_load_b64 v[41:42], v[41:42], off
	global_load_b64 v[43:44], v[43:44], off
	;; [unrolled: 1-line block ×3, first 2 shown]
	v_lshlrev_b64 v[47:48], 3, v[13:14]
	v_add_nc_u32_e32 v13, 5, v22
	s_delay_alu instid0(VALU_DEP_1) | instskip(SKIP_1) | instid1(VALU_DEP_4)
	v_lshlrev_b64 v[49:50], 3, v[13:14]
	v_add_nc_u32_e32 v13, -1, v12
	v_add_co_u32 v47, vcc_lo, s8, v47
	v_add_co_ci_u32_e32 v48, vcc_lo, s9, v48, vcc_lo
	s_delay_alu instid0(VALU_DEP_3) | instskip(SKIP_3) | instid1(VALU_DEP_4)
	v_lshlrev_b64 v[51:52], 3, v[13:14]
	v_add_co_u32 v49, vcc_lo, s10, v49
	v_add_co_ci_u32_e32 v50, vcc_lo, s11, v50, vcc_lo
	v_mov_b32_e32 v13, v14
	v_add_co_u32 v51, vcc_lo, s8, v51
	v_add_co_ci_u32_e32 v52, vcc_lo, s9, v52, vcc_lo
	global_load_b64 v[47:48], v[47:48], off
	global_load_b64 v[49:50], v[49:50], off
	;; [unrolled: 1-line block ×3, first 2 shown]
	v_lshlrev_b64 v[53:54], 3, v[12:13]
	v_add_nc_u32_e32 v13, -7, v12
	v_add_nc_u32_e32 v12, 56, v12
	s_delay_alu instid0(VALU_DEP_2) | instskip(SKIP_3) | instid1(VALU_DEP_3)
	v_lshlrev_b64 v[55:56], 3, v[13:14]
	v_add_nc_u32_e32 v13, 6, v22
	v_add_co_u32 v53, vcc_lo, s8, v53
	v_add_co_ci_u32_e32 v54, vcc_lo, s9, v54, vcc_lo
	v_lshlrev_b64 v[57:58], 3, v[13:14]
	v_add_co_u32 v55, vcc_lo, s8, v55
	v_add_co_ci_u32_e32 v56, vcc_lo, s9, v56, vcc_lo
	s_delay_alu instid0(VALU_DEP_3) | instskip(NEXT) | instid1(VALU_DEP_4)
	v_add_co_u32 v57, vcc_lo, s10, v57
	v_add_co_ci_u32_e32 v58, vcc_lo, s11, v58, vcc_lo
	s_clause 0x1
	global_load_b64 v[53:54], v[53:54], off
	global_load_b64 v[55:56], v[55:56], off
	;; [unrolled: 1-line block ×3, first 2 shown]
	v_cmp_ge_i32_e32 vcc_lo, v6, v17
	s_or_b32 s2, vcc_lo, s2
	s_waitcnt vmcnt(17)
	v_fma_f64 v[7:8], v[18:19], v[23:24], v[8:9]
	v_fma_f64 v[9:10], v[15:16], v[23:24], v[10:11]
	s_waitcnt vmcnt(16)
	s_delay_alu instid0(VALU_DEP_2) | instskip(SKIP_1) | instid1(VALU_DEP_2)
	v_fma_f64 v[7:8], v[20:21], v[25:26], v[7:8]
	s_waitcnt vmcnt(15)
	v_fma_f64 v[9:10], v[27:28], v[25:26], v[9:10]
	s_waitcnt vmcnt(13)
	s_delay_alu instid0(VALU_DEP_2) | instskip(SKIP_1) | instid1(VALU_DEP_2)
	v_fma_f64 v[7:8], v[29:30], v[31:32], v[7:8]
	s_waitcnt vmcnt(12)
	;; [unrolled: 5-line block ×5, first 2 shown]
	v_fma_f64 v[10:11], v[51:52], v[49:50], v[9:10]
	s_waitcnt vmcnt(0)
	s_delay_alu instid0(VALU_DEP_2) | instskip(NEXT) | instid1(VALU_DEP_2)
	v_fma_f64 v[8:9], v[55:56], v[57:58], v[7:8]
	v_fma_f64 v[10:11], v[53:54], v[57:58], v[10:11]
	s_and_not1_b32 exec_lo, exec_lo, s2
	s_cbranch_execnz .LBB101_15
; %bb.16:
	s_or_b32 exec_lo, exec_lo, s2
.LBB101_17:
	s_delay_alu instid0(SALU_CYCLE_1)
	s_or_b32 exec_lo, exec_lo, s3
.LBB101_18:
	v_mbcnt_lo_u32_b32 v14, -1, 0
	s_delay_alu instid0(VALU_DEP_1) | instskip(NEXT) | instid1(VALU_DEP_1)
	v_xor_b32_e32 v6, 2, v14
	v_cmp_gt_i32_e32 vcc_lo, 32, v6
	v_cndmask_b32_e32 v6, v14, v6, vcc_lo
	s_delay_alu instid0(VALU_DEP_1)
	v_lshlrev_b32_e32 v13, 2, v6
	ds_bpermute_b32 v6, v13, v8
	ds_bpermute_b32 v7, v13, v9
	s_waitcnt lgkmcnt(0)
	v_add_f64 v[6:7], v[8:9], v[6:7]
	v_xor_b32_e32 v8, 1, v14
	s_delay_alu instid0(VALU_DEP_1)
	v_cmp_gt_i32_e32 vcc_lo, 32, v8
	v_cndmask_b32_e32 v8, v14, v8, vcc_lo
	ds_bpermute_b32 v12, v13, v10
	ds_bpermute_b32 v13, v13, v11
	v_cmp_eq_u32_e32 vcc_lo, 3, v0
	s_waitcnt lgkmcnt(0)
	v_add_f64 v[10:11], v[10:11], v[12:13]
	v_lshlrev_b32_e32 v13, 2, v8
	ds_bpermute_b32 v8, v13, v6
	ds_bpermute_b32 v9, v13, v7
	;; [unrolled: 1-line block ×4, first 2 shown]
	s_and_b32 exec_lo, exec_lo, vcc_lo
	s_cbranch_execz .LBB101_23
; %bb.19:
	s_waitcnt lgkmcnt(2)
	v_add_f64 v[8:9], v[6:7], v[8:9]
	s_waitcnt lgkmcnt(0)
	v_add_f64 v[6:7], v[10:11], v[12:13]
	s_load_b64 s[0:1], s[0:1], 0x38
	s_mov_b32 s2, exec_lo
	v_cmpx_eq_f64_e32 0, v[3:4]
	s_xor_b32 s2, exec_lo, s2
	s_cbranch_execz .LBB101_21
; %bb.20:
	s_delay_alu instid0(VALU_DEP_3) | instskip(NEXT) | instid1(VALU_DEP_3)
	v_mul_f64 v[8:9], v[1:2], v[8:9]
	v_mul_f64 v[10:11], v[1:2], v[6:7]
	v_lshlrev_b32_e32 v0, 1, v5
                                        ; implicit-def: $vgpr5
                                        ; implicit-def: $vgpr3_vgpr4
                                        ; implicit-def: $vgpr6_vgpr7
	s_delay_alu instid0(VALU_DEP_1) | instskip(NEXT) | instid1(VALU_DEP_1)
	v_ashrrev_i32_e32 v1, 31, v0
	v_lshlrev_b64 v[0:1], 3, v[0:1]
	s_waitcnt lgkmcnt(0)
	s_delay_alu instid0(VALU_DEP_1) | instskip(NEXT) | instid1(VALU_DEP_2)
	v_add_co_u32 v0, vcc_lo, s0, v0
	v_add_co_ci_u32_e32 v1, vcc_lo, s1, v1, vcc_lo
	global_store_b128 v[0:1], v[8:11], off
                                        ; implicit-def: $vgpr1_vgpr2
                                        ; implicit-def: $vgpr8_vgpr9
.LBB101_21:
	s_and_not1_saveexec_b32 s2, s2
	s_cbranch_execz .LBB101_23
; %bb.22:
	v_lshlrev_b32_e32 v10, 1, v5
	s_delay_alu instid0(VALU_DEP_4) | instskip(NEXT) | instid1(VALU_DEP_4)
	v_mul_f64 v[8:9], v[1:2], v[8:9]
	v_mul_f64 v[5:6], v[1:2], v[6:7]
	s_delay_alu instid0(VALU_DEP_3) | instskip(NEXT) | instid1(VALU_DEP_1)
	v_ashrrev_i32_e32 v11, 31, v10
	v_lshlrev_b64 v[10:11], 3, v[10:11]
	s_waitcnt lgkmcnt(0)
	s_delay_alu instid0(VALU_DEP_1) | instskip(NEXT) | instid1(VALU_DEP_2)
	v_add_co_u32 v14, vcc_lo, s0, v10
	v_add_co_ci_u32_e32 v15, vcc_lo, s1, v11, vcc_lo
	global_load_b128 v[10:13], v[14:15], off
	s_waitcnt vmcnt(0)
	v_fma_f64 v[0:1], v[3:4], v[10:11], v[8:9]
	v_fma_f64 v[2:3], v[3:4], v[12:13], v[5:6]
	global_store_b128 v[14:15], v[0:3], off
.LBB101_23:
	s_nop 0
	s_sendmsg sendmsg(MSG_DEALLOC_VGPRS)
	s_endpgm
	.section	.rodata,"a",@progbits
	.p2align	6, 0x0
	.amdhsa_kernel _ZN9rocsparseL19gebsrmvn_2xn_kernelILj128ELj7ELj4EdEEvi20rocsparse_direction_NS_24const_host_device_scalarIT2_EEPKiS6_PKS3_S8_S4_PS3_21rocsparse_index_base_b
		.amdhsa_group_segment_fixed_size 0
		.amdhsa_private_segment_fixed_size 0
		.amdhsa_kernarg_size 72
		.amdhsa_user_sgpr_count 15
		.amdhsa_user_sgpr_dispatch_ptr 0
		.amdhsa_user_sgpr_queue_ptr 0
		.amdhsa_user_sgpr_kernarg_segment_ptr 1
		.amdhsa_user_sgpr_dispatch_id 0
		.amdhsa_user_sgpr_private_segment_size 0
		.amdhsa_wavefront_size32 1
		.amdhsa_uses_dynamic_stack 0
		.amdhsa_enable_private_segment 0
		.amdhsa_system_sgpr_workgroup_id_x 1
		.amdhsa_system_sgpr_workgroup_id_y 0
		.amdhsa_system_sgpr_workgroup_id_z 0
		.amdhsa_system_sgpr_workgroup_info 0
		.amdhsa_system_vgpr_workitem_id 0
		.amdhsa_next_free_vgpr 60
		.amdhsa_next_free_sgpr 16
		.amdhsa_reserve_vcc 1
		.amdhsa_float_round_mode_32 0
		.amdhsa_float_round_mode_16_64 0
		.amdhsa_float_denorm_mode_32 3
		.amdhsa_float_denorm_mode_16_64 3
		.amdhsa_dx10_clamp 1
		.amdhsa_ieee_mode 1
		.amdhsa_fp16_overflow 0
		.amdhsa_workgroup_processor_mode 1
		.amdhsa_memory_ordered 1
		.amdhsa_forward_progress 0
		.amdhsa_shared_vgpr_count 0
		.amdhsa_exception_fp_ieee_invalid_op 0
		.amdhsa_exception_fp_denorm_src 0
		.amdhsa_exception_fp_ieee_div_zero 0
		.amdhsa_exception_fp_ieee_overflow 0
		.amdhsa_exception_fp_ieee_underflow 0
		.amdhsa_exception_fp_ieee_inexact 0
		.amdhsa_exception_int_div_zero 0
	.end_amdhsa_kernel
	.section	.text._ZN9rocsparseL19gebsrmvn_2xn_kernelILj128ELj7ELj4EdEEvi20rocsparse_direction_NS_24const_host_device_scalarIT2_EEPKiS6_PKS3_S8_S4_PS3_21rocsparse_index_base_b,"axG",@progbits,_ZN9rocsparseL19gebsrmvn_2xn_kernelILj128ELj7ELj4EdEEvi20rocsparse_direction_NS_24const_host_device_scalarIT2_EEPKiS6_PKS3_S8_S4_PS3_21rocsparse_index_base_b,comdat
.Lfunc_end101:
	.size	_ZN9rocsparseL19gebsrmvn_2xn_kernelILj128ELj7ELj4EdEEvi20rocsparse_direction_NS_24const_host_device_scalarIT2_EEPKiS6_PKS3_S8_S4_PS3_21rocsparse_index_base_b, .Lfunc_end101-_ZN9rocsparseL19gebsrmvn_2xn_kernelILj128ELj7ELj4EdEEvi20rocsparse_direction_NS_24const_host_device_scalarIT2_EEPKiS6_PKS3_S8_S4_PS3_21rocsparse_index_base_b
                                        ; -- End function
	.section	.AMDGPU.csdata,"",@progbits
; Kernel info:
; codeLenInByte = 2560
; NumSgprs: 18
; NumVgprs: 60
; ScratchSize: 0
; MemoryBound: 0
; FloatMode: 240
; IeeeMode: 1
; LDSByteSize: 0 bytes/workgroup (compile time only)
; SGPRBlocks: 2
; VGPRBlocks: 7
; NumSGPRsForWavesPerEU: 18
; NumVGPRsForWavesPerEU: 60
; Occupancy: 16
; WaveLimiterHint : 1
; COMPUTE_PGM_RSRC2:SCRATCH_EN: 0
; COMPUTE_PGM_RSRC2:USER_SGPR: 15
; COMPUTE_PGM_RSRC2:TRAP_HANDLER: 0
; COMPUTE_PGM_RSRC2:TGID_X_EN: 1
; COMPUTE_PGM_RSRC2:TGID_Y_EN: 0
; COMPUTE_PGM_RSRC2:TGID_Z_EN: 0
; COMPUTE_PGM_RSRC2:TIDIG_COMP_CNT: 0
	.section	.text._ZN9rocsparseL19gebsrmvn_2xn_kernelILj128ELj7ELj8EdEEvi20rocsparse_direction_NS_24const_host_device_scalarIT2_EEPKiS6_PKS3_S8_S4_PS3_21rocsparse_index_base_b,"axG",@progbits,_ZN9rocsparseL19gebsrmvn_2xn_kernelILj128ELj7ELj8EdEEvi20rocsparse_direction_NS_24const_host_device_scalarIT2_EEPKiS6_PKS3_S8_S4_PS3_21rocsparse_index_base_b,comdat
	.globl	_ZN9rocsparseL19gebsrmvn_2xn_kernelILj128ELj7ELj8EdEEvi20rocsparse_direction_NS_24const_host_device_scalarIT2_EEPKiS6_PKS3_S8_S4_PS3_21rocsparse_index_base_b ; -- Begin function _ZN9rocsparseL19gebsrmvn_2xn_kernelILj128ELj7ELj8EdEEvi20rocsparse_direction_NS_24const_host_device_scalarIT2_EEPKiS6_PKS3_S8_S4_PS3_21rocsparse_index_base_b
	.p2align	8
	.type	_ZN9rocsparseL19gebsrmvn_2xn_kernelILj128ELj7ELj8EdEEvi20rocsparse_direction_NS_24const_host_device_scalarIT2_EEPKiS6_PKS3_S8_S4_PS3_21rocsparse_index_base_b,@function
_ZN9rocsparseL19gebsrmvn_2xn_kernelILj128ELj7ELj8EdEEvi20rocsparse_direction_NS_24const_host_device_scalarIT2_EEPKiS6_PKS3_S8_S4_PS3_21rocsparse_index_base_b: ; @_ZN9rocsparseL19gebsrmvn_2xn_kernelILj128ELj7ELj8EdEEvi20rocsparse_direction_NS_24const_host_device_scalarIT2_EEPKiS6_PKS3_S8_S4_PS3_21rocsparse_index_base_b
; %bb.0:
	s_clause 0x2
	s_load_b64 s[12:13], s[0:1], 0x40
	s_load_b64 s[4:5], s[0:1], 0x8
	;; [unrolled: 1-line block ×3, first 2 shown]
	s_waitcnt lgkmcnt(0)
	s_bitcmp1_b32 s13, 0
	v_dual_mov_b32 v1, s4 :: v_dual_mov_b32 v2, s5
	s_cselect_b32 s6, -1, 0
	s_delay_alu instid0(SALU_CYCLE_1)
	s_and_b32 vcc_lo, exec_lo, s6
	s_xor_b32 s6, s6, -1
	s_cbranch_vccnz .LBB102_2
; %bb.1:
	v_dual_mov_b32 v1, s4 :: v_dual_mov_b32 v2, s5
	flat_load_b64 v[1:2], v[1:2]
.LBB102_2:
	v_dual_mov_b32 v4, s3 :: v_dual_mov_b32 v3, s2
	s_and_not1_b32 vcc_lo, exec_lo, s6
	s_cbranch_vccnz .LBB102_4
; %bb.3:
	v_dual_mov_b32 v4, s3 :: v_dual_mov_b32 v3, s2
	flat_load_b64 v[3:4], v[3:4]
.LBB102_4:
	s_waitcnt vmcnt(0) lgkmcnt(0)
	v_cmp_neq_f64_e32 vcc_lo, 0, v[1:2]
	v_cmp_neq_f64_e64 s2, 1.0, v[3:4]
	s_delay_alu instid0(VALU_DEP_1) | instskip(NEXT) | instid1(SALU_CYCLE_1)
	s_or_b32 s2, vcc_lo, s2
	s_and_saveexec_b32 s3, s2
	s_cbranch_execz .LBB102_23
; %bb.5:
	s_load_b64 s[2:3], s[0:1], 0x0
	v_lshrrev_b32_e32 v5, 3, v0
	s_delay_alu instid0(VALU_DEP_1) | instskip(SKIP_1) | instid1(VALU_DEP_1)
	v_lshl_or_b32 v5, s15, 4, v5
	s_waitcnt lgkmcnt(0)
	v_cmp_gt_i32_e32 vcc_lo, s2, v5
	s_and_b32 exec_lo, exec_lo, vcc_lo
	s_cbranch_execz .LBB102_23
; %bb.6:
	s_load_b256 s[4:11], s[0:1], 0x10
	v_ashrrev_i32_e32 v6, 31, v5
	v_and_b32_e32 v0, 7, v0
	s_cmp_lg_u32 s3, 0
	s_delay_alu instid0(VALU_DEP_2) | instskip(SKIP_1) | instid1(VALU_DEP_1)
	v_lshlrev_b64 v[6:7], 2, v[5:6]
	s_waitcnt lgkmcnt(0)
	v_add_co_u32 v6, vcc_lo, s4, v6
	s_delay_alu instid0(VALU_DEP_2) | instskip(SKIP_4) | instid1(VALU_DEP_2)
	v_add_co_ci_u32_e32 v7, vcc_lo, s5, v7, vcc_lo
	global_load_b64 v[6:7], v[6:7], off
	s_waitcnt vmcnt(0)
	v_subrev_nc_u32_e32 v6, s12, v6
	v_subrev_nc_u32_e32 v17, s12, v7
	v_add_nc_u32_e32 v8, v6, v0
	s_delay_alu instid0(VALU_DEP_1)
	v_cmp_lt_i32_e64 s2, v8, v17
	s_cbranch_scc0 .LBB102_12
; %bb.7:
	v_mov_b32_e32 v6, 0
	v_mov_b32_e32 v7, 0
	s_delay_alu instid0(VALU_DEP_1)
	v_dual_mov_b32 v11, v7 :: v_dual_mov_b32 v10, v6
	s_and_saveexec_b32 s3, s2
	s_cbranch_execz .LBB102_11
; %bb.8:
	v_dual_mov_b32 v6, 0 :: v_dual_mov_b32 v15, v8
	v_dual_mov_b32 v7, 0 :: v_dual_mov_b32 v14, 0
	v_mad_u64_u32 v[12:13], null, v8, 14, 12
	s_mov_b32 s4, 0
	s_delay_alu instid0(VALU_DEP_2)
	v_dual_mov_b32 v11, v7 :: v_dual_mov_b32 v10, v6
.LBB102_9:                              ; =>This Inner Loop Header: Depth=1
	v_ashrrev_i32_e32 v16, 31, v15
	s_delay_alu instid0(VALU_DEP_3) | instskip(SKIP_1) | instid1(VALU_DEP_3)
	v_add_nc_u32_e32 v13, -12, v12
	v_mov_b32_e32 v43, v14
	v_lshlrev_b64 v[18:19], 2, v[15:16]
	v_add_nc_u32_e32 v15, 8, v15
	s_delay_alu instid0(VALU_DEP_2) | instskip(NEXT) | instid1(VALU_DEP_3)
	v_add_co_u32 v18, vcc_lo, s6, v18
	v_add_co_ci_u32_e32 v19, vcc_lo, s7, v19, vcc_lo
	global_load_b32 v9, v[18:19], off
	v_lshlrev_b64 v[18:19], 3, v[13:14]
	v_add_nc_u32_e32 v13, -10, v12
	s_delay_alu instid0(VALU_DEP_2) | instskip(NEXT) | instid1(VALU_DEP_3)
	v_add_co_u32 v18, vcc_lo, s8, v18
	v_add_co_ci_u32_e32 v19, vcc_lo, s9, v19, vcc_lo
	s_waitcnt vmcnt(0)
	v_subrev_nc_u32_e32 v9, s12, v9
	s_delay_alu instid0(VALU_DEP_1) | instskip(NEXT) | instid1(VALU_DEP_1)
	v_mul_lo_u32 v42, v9, 7
	v_lshlrev_b64 v[20:21], 3, v[42:43]
	s_delay_alu instid0(VALU_DEP_1) | instskip(NEXT) | instid1(VALU_DEP_2)
	v_add_co_u32 v22, vcc_lo, s10, v20
	v_add_co_ci_u32_e32 v23, vcc_lo, s11, v21, vcc_lo
	global_load_b128 v[18:21], v[18:19], off
	global_load_b64 v[46:47], v[22:23], off
	v_lshlrev_b64 v[22:23], 3, v[13:14]
	v_add_nc_u32_e32 v13, 1, v42
	s_delay_alu instid0(VALU_DEP_1) | instskip(NEXT) | instid1(VALU_DEP_3)
	v_lshlrev_b64 v[24:25], 3, v[13:14]
	v_add_co_u32 v22, vcc_lo, s8, v22
	s_delay_alu instid0(VALU_DEP_4) | instskip(SKIP_1) | instid1(VALU_DEP_4)
	v_add_co_ci_u32_e32 v23, vcc_lo, s9, v23, vcc_lo
	v_add_nc_u32_e32 v13, -8, v12
	v_add_co_u32 v26, vcc_lo, s10, v24
	v_add_co_ci_u32_e32 v27, vcc_lo, s11, v25, vcc_lo
	global_load_b128 v[22:25], v[22:23], off
	global_load_b64 v[48:49], v[26:27], off
	v_lshlrev_b64 v[26:27], 3, v[13:14]
	v_add_nc_u32_e32 v13, 2, v42
	s_delay_alu instid0(VALU_DEP_1) | instskip(NEXT) | instid1(VALU_DEP_3)
	v_lshlrev_b64 v[28:29], 3, v[13:14]
	v_add_co_u32 v26, vcc_lo, s8, v26
	s_delay_alu instid0(VALU_DEP_4) | instskip(SKIP_1) | instid1(VALU_DEP_4)
	v_add_co_ci_u32_e32 v27, vcc_lo, s9, v27, vcc_lo
	v_add_nc_u32_e32 v13, -6, v12
	;; [unrolled: 12-line block ×4, first 2 shown]
	v_add_co_u32 v38, vcc_lo, s10, v36
	v_add_co_ci_u32_e32 v39, vcc_lo, s11, v37, vcc_lo
	global_load_b128 v[34:37], v[34:35], off
	global_load_b64 v[54:55], v[38:39], off
	v_lshlrev_b64 v[38:39], 3, v[13:14]
	v_add_nc_u32_e32 v13, 5, v42
	s_delay_alu instid0(VALU_DEP_1) | instskip(NEXT) | instid1(VALU_DEP_3)
	v_lshlrev_b64 v[40:41], 3, v[13:14]
	v_add_co_u32 v38, vcc_lo, s8, v38
	s_delay_alu instid0(VALU_DEP_4) | instskip(SKIP_1) | instid1(VALU_DEP_4)
	v_add_co_ci_u32_e32 v39, vcc_lo, s9, v39, vcc_lo
	v_mov_b32_e32 v13, v14
	v_add_co_u32 v43, vcc_lo, s10, v40
	v_add_co_ci_u32_e32 v44, vcc_lo, s11, v41, vcc_lo
	global_load_b128 v[38:41], v[38:39], off
	global_load_b64 v[56:57], v[43:44], off
	v_lshlrev_b64 v[43:44], 3, v[12:13]
	v_add_nc_u32_e32 v12, 0x70, v12
	v_add_nc_u32_e32 v13, 6, v42
	s_delay_alu instid0(VALU_DEP_3) | instskip(NEXT) | instid1(VALU_DEP_2)
	v_add_co_u32 v42, vcc_lo, s8, v43
	v_lshlrev_b64 v[58:59], 3, v[13:14]
	v_add_co_ci_u32_e32 v43, vcc_lo, s9, v44, vcc_lo
	s_delay_alu instid0(VALU_DEP_2) | instskip(NEXT) | instid1(VALU_DEP_3)
	v_add_co_u32 v58, vcc_lo, s10, v58
	v_add_co_ci_u32_e32 v59, vcc_lo, s11, v59, vcc_lo
	global_load_b128 v[42:45], v[42:43], off
	global_load_b64 v[58:59], v[58:59], off
	v_cmp_ge_i32_e32 vcc_lo, v15, v17
	s_or_b32 s4, vcc_lo, s4
	s_waitcnt vmcnt(12)
	v_fma_f64 v[6:7], v[18:19], v[46:47], v[6:7]
	v_fma_f64 v[9:10], v[20:21], v[46:47], v[10:11]
	s_waitcnt vmcnt(10)
	s_delay_alu instid0(VALU_DEP_2) | instskip(NEXT) | instid1(VALU_DEP_2)
	v_fma_f64 v[6:7], v[22:23], v[48:49], v[6:7]
	v_fma_f64 v[9:10], v[24:25], v[48:49], v[9:10]
	s_waitcnt vmcnt(8)
	s_delay_alu instid0(VALU_DEP_2) | instskip(NEXT) | instid1(VALU_DEP_2)
	;; [unrolled: 4-line block ×6, first 2 shown]
	v_fma_f64 v[6:7], v[42:43], v[58:59], v[6:7]
	v_fma_f64 v[10:11], v[44:45], v[58:59], v[9:10]
	s_and_not1_b32 exec_lo, exec_lo, s4
	s_cbranch_execnz .LBB102_9
; %bb.10:
	s_or_b32 exec_lo, exec_lo, s4
.LBB102_11:
	s_delay_alu instid0(SALU_CYCLE_1)
	s_or_b32 exec_lo, exec_lo, s3
	s_cbranch_execz .LBB102_13
	s_branch .LBB102_18
.LBB102_12:
                                        ; implicit-def: $vgpr6_vgpr7
                                        ; implicit-def: $vgpr10_vgpr11
.LBB102_13:
	v_mov_b32_e32 v6, 0
	v_mov_b32_e32 v7, 0
	s_delay_alu instid0(VALU_DEP_1)
	v_dual_mov_b32 v11, v7 :: v_dual_mov_b32 v10, v6
	s_and_saveexec_b32 s3, s2
	s_cbranch_execz .LBB102_17
; %bb.14:
	v_mov_b32_e32 v6, 0
	v_dual_mov_b32 v7, 0 :: v_dual_mov_b32 v14, 0
	v_mad_u64_u32 v[12:13], null, v8, 14, 13
	s_mov_b32 s2, 0
	s_delay_alu instid0(VALU_DEP_2)
	v_dual_mov_b32 v11, v7 :: v_dual_mov_b32 v10, v6
.LBB102_15:                             ; =>This Inner Loop Header: Depth=1
	v_ashrrev_i32_e32 v9, 31, v8
	s_delay_alu instid0(VALU_DEP_3) | instskip(SKIP_1) | instid1(VALU_DEP_3)
	v_add_nc_u32_e32 v13, -13, v12
	v_mov_b32_e32 v23, v14
	v_lshlrev_b64 v[15:16], 2, v[8:9]
	v_add_nc_u32_e32 v8, 8, v8
	s_delay_alu instid0(VALU_DEP_2) | instskip(NEXT) | instid1(VALU_DEP_3)
	v_add_co_u32 v15, vcc_lo, s6, v15
	v_add_co_ci_u32_e32 v16, vcc_lo, s7, v16, vcc_lo
	global_load_b32 v9, v[15:16], off
	v_dual_mov_b32 v16, v14 :: v_dual_add_nc_u32 v15, -6, v12
	v_lshlrev_b64 v[18:19], 3, v[13:14]
	s_delay_alu instid0(VALU_DEP_2) | instskip(NEXT) | instid1(VALU_DEP_2)
	v_lshlrev_b64 v[15:16], 3, v[15:16]
	v_add_co_u32 v18, vcc_lo, s8, v18
	s_delay_alu instid0(VALU_DEP_3) | instskip(NEXT) | instid1(VALU_DEP_3)
	v_add_co_ci_u32_e32 v19, vcc_lo, s9, v19, vcc_lo
	v_add_co_u32 v15, vcc_lo, s8, v15
	s_delay_alu instid0(VALU_DEP_4) | instskip(SKIP_2) | instid1(VALU_DEP_1)
	v_add_co_ci_u32_e32 v16, vcc_lo, s9, v16, vcc_lo
	s_waitcnt vmcnt(0)
	v_subrev_nc_u32_e32 v9, s12, v9
	v_mul_lo_u32 v22, v9, 7
	s_delay_alu instid0(VALU_DEP_1) | instskip(SKIP_1) | instid1(VALU_DEP_1)
	v_lshlrev_b64 v[20:21], 3, v[22:23]
	v_add_nc_u32_e32 v13, 1, v22
	v_lshlrev_b64 v[25:26], 3, v[13:14]
	s_delay_alu instid0(VALU_DEP_3) | instskip(NEXT) | instid1(VALU_DEP_4)
	v_add_co_u32 v23, vcc_lo, s10, v20
	v_add_co_ci_u32_e32 v24, vcc_lo, s11, v21, vcc_lo
	s_clause 0x1
	global_load_b128 v[18:21], v[18:19], off
	global_load_b64 v[15:16], v[15:16], off
	global_load_b64 v[23:24], v[23:24], off
	v_add_nc_u32_e32 v13, -5, v12
	v_add_co_u32 v25, vcc_lo, s10, v25
	v_add_co_ci_u32_e32 v26, vcc_lo, s11, v26, vcc_lo
	s_delay_alu instid0(VALU_DEP_3) | instskip(SKIP_1) | instid1(VALU_DEP_2)
	v_lshlrev_b64 v[27:28], 3, v[13:14]
	v_add_nc_u32_e32 v13, -11, v12
	v_add_co_u32 v27, vcc_lo, s8, v27
	s_delay_alu instid0(VALU_DEP_3) | instskip(SKIP_4) | instid1(VALU_DEP_1)
	v_add_co_ci_u32_e32 v28, vcc_lo, s9, v28, vcc_lo
	global_load_b64 v[25:26], v[25:26], off
	global_load_b64 v[27:28], v[27:28], off
	v_lshlrev_b64 v[29:30], 3, v[13:14]
	v_add_nc_u32_e32 v13, 2, v22
	v_lshlrev_b64 v[31:32], 3, v[13:14]
	v_add_nc_u32_e32 v13, -4, v12
	s_delay_alu instid0(VALU_DEP_4) | instskip(SKIP_1) | instid1(VALU_DEP_3)
	v_add_co_u32 v29, vcc_lo, s8, v29
	v_add_co_ci_u32_e32 v30, vcc_lo, s9, v30, vcc_lo
	v_lshlrev_b64 v[33:34], 3, v[13:14]
	v_add_co_u32 v31, vcc_lo, s10, v31
	v_add_co_ci_u32_e32 v32, vcc_lo, s11, v32, vcc_lo
	v_add_nc_u32_e32 v13, -10, v12
	s_delay_alu instid0(VALU_DEP_4)
	v_add_co_u32 v33, vcc_lo, s8, v33
	v_add_co_ci_u32_e32 v34, vcc_lo, s9, v34, vcc_lo
	global_load_b64 v[29:30], v[29:30], off
	global_load_b64 v[31:32], v[31:32], off
	;; [unrolled: 1-line block ×3, first 2 shown]
	v_lshlrev_b64 v[35:36], 3, v[13:14]
	v_add_nc_u32_e32 v13, 3, v22
	s_delay_alu instid0(VALU_DEP_1) | instskip(SKIP_1) | instid1(VALU_DEP_4)
	v_lshlrev_b64 v[37:38], 3, v[13:14]
	v_add_nc_u32_e32 v13, -3, v12
	v_add_co_u32 v35, vcc_lo, s8, v35
	v_add_co_ci_u32_e32 v36, vcc_lo, s9, v36, vcc_lo
	s_delay_alu instid0(VALU_DEP_3) | instskip(SKIP_3) | instid1(VALU_DEP_4)
	v_lshlrev_b64 v[39:40], 3, v[13:14]
	v_add_co_u32 v37, vcc_lo, s10, v37
	v_add_co_ci_u32_e32 v38, vcc_lo, s11, v38, vcc_lo
	v_add_nc_u32_e32 v13, -9, v12
	v_add_co_u32 v39, vcc_lo, s8, v39
	v_add_co_ci_u32_e32 v40, vcc_lo, s9, v40, vcc_lo
	global_load_b64 v[35:36], v[35:36], off
	global_load_b64 v[37:38], v[37:38], off
	global_load_b64 v[39:40], v[39:40], off
	v_lshlrev_b64 v[41:42], 3, v[13:14]
	v_add_nc_u32_e32 v13, 4, v22
	s_delay_alu instid0(VALU_DEP_1) | instskip(SKIP_1) | instid1(VALU_DEP_4)
	v_lshlrev_b64 v[43:44], 3, v[13:14]
	v_add_nc_u32_e32 v13, -2, v12
	v_add_co_u32 v41, vcc_lo, s8, v41
	v_add_co_ci_u32_e32 v42, vcc_lo, s9, v42, vcc_lo
	s_delay_alu instid0(VALU_DEP_3) | instskip(SKIP_3) | instid1(VALU_DEP_4)
	v_lshlrev_b64 v[45:46], 3, v[13:14]
	v_add_co_u32 v43, vcc_lo, s10, v43
	v_add_co_ci_u32_e32 v44, vcc_lo, s11, v44, vcc_lo
	v_add_nc_u32_e32 v13, -8, v12
	v_add_co_u32 v45, vcc_lo, s8, v45
	v_add_co_ci_u32_e32 v46, vcc_lo, s9, v46, vcc_lo
	global_load_b64 v[41:42], v[41:42], off
	global_load_b64 v[43:44], v[43:44], off
	;; [unrolled: 1-line block ×3, first 2 shown]
	v_lshlrev_b64 v[47:48], 3, v[13:14]
	v_add_nc_u32_e32 v13, 5, v22
	s_delay_alu instid0(VALU_DEP_1) | instskip(SKIP_1) | instid1(VALU_DEP_4)
	v_lshlrev_b64 v[49:50], 3, v[13:14]
	v_add_nc_u32_e32 v13, -1, v12
	v_add_co_u32 v47, vcc_lo, s8, v47
	v_add_co_ci_u32_e32 v48, vcc_lo, s9, v48, vcc_lo
	s_delay_alu instid0(VALU_DEP_3) | instskip(SKIP_3) | instid1(VALU_DEP_4)
	v_lshlrev_b64 v[51:52], 3, v[13:14]
	v_add_co_u32 v49, vcc_lo, s10, v49
	v_add_co_ci_u32_e32 v50, vcc_lo, s11, v50, vcc_lo
	v_mov_b32_e32 v13, v14
	v_add_co_u32 v51, vcc_lo, s8, v51
	v_add_co_ci_u32_e32 v52, vcc_lo, s9, v52, vcc_lo
	global_load_b64 v[47:48], v[47:48], off
	global_load_b64 v[49:50], v[49:50], off
	;; [unrolled: 1-line block ×3, first 2 shown]
	v_lshlrev_b64 v[53:54], 3, v[12:13]
	v_add_nc_u32_e32 v13, -7, v12
	v_add_nc_u32_e32 v12, 0x70, v12
	s_delay_alu instid0(VALU_DEP_2) | instskip(SKIP_3) | instid1(VALU_DEP_3)
	v_lshlrev_b64 v[55:56], 3, v[13:14]
	v_add_nc_u32_e32 v13, 6, v22
	v_add_co_u32 v53, vcc_lo, s8, v53
	v_add_co_ci_u32_e32 v54, vcc_lo, s9, v54, vcc_lo
	v_lshlrev_b64 v[57:58], 3, v[13:14]
	v_add_co_u32 v55, vcc_lo, s8, v55
	v_add_co_ci_u32_e32 v56, vcc_lo, s9, v56, vcc_lo
	s_delay_alu instid0(VALU_DEP_3) | instskip(NEXT) | instid1(VALU_DEP_4)
	v_add_co_u32 v57, vcc_lo, s10, v57
	v_add_co_ci_u32_e32 v58, vcc_lo, s11, v58, vcc_lo
	s_clause 0x1
	global_load_b64 v[53:54], v[53:54], off
	global_load_b64 v[55:56], v[55:56], off
	;; [unrolled: 1-line block ×3, first 2 shown]
	v_cmp_ge_i32_e32 vcc_lo, v8, v17
	s_or_b32 s2, vcc_lo, s2
	s_waitcnt vmcnt(17)
	v_fma_f64 v[6:7], v[18:19], v[23:24], v[6:7]
	v_fma_f64 v[9:10], v[15:16], v[23:24], v[10:11]
	s_waitcnt vmcnt(16)
	s_delay_alu instid0(VALU_DEP_2) | instskip(SKIP_1) | instid1(VALU_DEP_2)
	v_fma_f64 v[6:7], v[20:21], v[25:26], v[6:7]
	s_waitcnt vmcnt(15)
	v_fma_f64 v[9:10], v[27:28], v[25:26], v[9:10]
	s_waitcnt vmcnt(13)
	s_delay_alu instid0(VALU_DEP_2) | instskip(SKIP_1) | instid1(VALU_DEP_2)
	v_fma_f64 v[6:7], v[29:30], v[31:32], v[6:7]
	s_waitcnt vmcnt(12)
	;; [unrolled: 5-line block ×5, first 2 shown]
	v_fma_f64 v[9:10], v[51:52], v[49:50], v[9:10]
	s_waitcnt vmcnt(0)
	s_delay_alu instid0(VALU_DEP_2) | instskip(NEXT) | instid1(VALU_DEP_2)
	v_fma_f64 v[6:7], v[55:56], v[57:58], v[6:7]
	v_fma_f64 v[10:11], v[53:54], v[57:58], v[9:10]
	s_and_not1_b32 exec_lo, exec_lo, s2
	s_cbranch_execnz .LBB102_15
; %bb.16:
	s_or_b32 exec_lo, exec_lo, s2
.LBB102_17:
	s_delay_alu instid0(SALU_CYCLE_1)
	s_or_b32 exec_lo, exec_lo, s3
.LBB102_18:
	v_mbcnt_lo_u32_b32 v14, -1, 0
	s_delay_alu instid0(VALU_DEP_1) | instskip(NEXT) | instid1(VALU_DEP_1)
	v_xor_b32_e32 v8, 4, v14
	v_cmp_gt_i32_e32 vcc_lo, 32, v8
	v_cndmask_b32_e32 v8, v14, v8, vcc_lo
	s_delay_alu instid0(VALU_DEP_1)
	v_lshlrev_b32_e32 v13, 2, v8
	ds_bpermute_b32 v8, v13, v6
	ds_bpermute_b32 v9, v13, v7
	;; [unrolled: 1-line block ×4, first 2 shown]
	s_waitcnt lgkmcnt(2)
	v_add_f64 v[6:7], v[6:7], v[8:9]
	s_waitcnt lgkmcnt(0)
	v_add_f64 v[8:9], v[10:11], v[12:13]
	v_xor_b32_e32 v10, 2, v14
	s_delay_alu instid0(VALU_DEP_1) | instskip(SKIP_1) | instid1(VALU_DEP_1)
	v_cmp_gt_i32_e32 vcc_lo, 32, v10
	v_cndmask_b32_e32 v10, v14, v10, vcc_lo
	v_lshlrev_b32_e32 v13, 2, v10
	ds_bpermute_b32 v10, v13, v6
	ds_bpermute_b32 v11, v13, v7
	ds_bpermute_b32 v12, v13, v8
	ds_bpermute_b32 v13, v13, v9
	s_waitcnt lgkmcnt(2)
	v_add_f64 v[6:7], v[6:7], v[10:11]
	s_waitcnt lgkmcnt(0)
	v_add_f64 v[10:11], v[8:9], v[12:13]
	v_xor_b32_e32 v8, 1, v14
	s_delay_alu instid0(VALU_DEP_1) | instskip(SKIP_2) | instid1(VALU_DEP_2)
	v_cmp_gt_i32_e32 vcc_lo, 32, v8
	v_cndmask_b32_e32 v8, v14, v8, vcc_lo
	v_cmp_eq_u32_e32 vcc_lo, 7, v0
	v_lshlrev_b32_e32 v13, 2, v8
	ds_bpermute_b32 v8, v13, v6
	ds_bpermute_b32 v9, v13, v7
	;; [unrolled: 1-line block ×4, first 2 shown]
	s_and_b32 exec_lo, exec_lo, vcc_lo
	s_cbranch_execz .LBB102_23
; %bb.19:
	s_waitcnt lgkmcnt(2)
	v_add_f64 v[8:9], v[6:7], v[8:9]
	s_waitcnt lgkmcnt(0)
	v_add_f64 v[6:7], v[10:11], v[12:13]
	s_load_b64 s[0:1], s[0:1], 0x38
	s_mov_b32 s2, exec_lo
	v_cmpx_eq_f64_e32 0, v[3:4]
	s_xor_b32 s2, exec_lo, s2
	s_cbranch_execz .LBB102_21
; %bb.20:
	s_delay_alu instid0(VALU_DEP_3) | instskip(NEXT) | instid1(VALU_DEP_3)
	v_mul_f64 v[8:9], v[1:2], v[8:9]
	v_mul_f64 v[10:11], v[1:2], v[6:7]
	v_lshlrev_b32_e32 v0, 1, v5
                                        ; implicit-def: $vgpr5
                                        ; implicit-def: $vgpr3_vgpr4
                                        ; implicit-def: $vgpr6_vgpr7
	s_delay_alu instid0(VALU_DEP_1) | instskip(NEXT) | instid1(VALU_DEP_1)
	v_ashrrev_i32_e32 v1, 31, v0
	v_lshlrev_b64 v[0:1], 3, v[0:1]
	s_waitcnt lgkmcnt(0)
	s_delay_alu instid0(VALU_DEP_1) | instskip(NEXT) | instid1(VALU_DEP_2)
	v_add_co_u32 v0, vcc_lo, s0, v0
	v_add_co_ci_u32_e32 v1, vcc_lo, s1, v1, vcc_lo
	global_store_b128 v[0:1], v[8:11], off
                                        ; implicit-def: $vgpr1_vgpr2
                                        ; implicit-def: $vgpr8_vgpr9
.LBB102_21:
	s_and_not1_saveexec_b32 s2, s2
	s_cbranch_execz .LBB102_23
; %bb.22:
	v_lshlrev_b32_e32 v10, 1, v5
	s_delay_alu instid0(VALU_DEP_4) | instskip(NEXT) | instid1(VALU_DEP_4)
	v_mul_f64 v[8:9], v[1:2], v[8:9]
	v_mul_f64 v[5:6], v[1:2], v[6:7]
	s_delay_alu instid0(VALU_DEP_3) | instskip(NEXT) | instid1(VALU_DEP_1)
	v_ashrrev_i32_e32 v11, 31, v10
	v_lshlrev_b64 v[10:11], 3, v[10:11]
	s_waitcnt lgkmcnt(0)
	s_delay_alu instid0(VALU_DEP_1) | instskip(NEXT) | instid1(VALU_DEP_2)
	v_add_co_u32 v14, vcc_lo, s0, v10
	v_add_co_ci_u32_e32 v15, vcc_lo, s1, v11, vcc_lo
	global_load_b128 v[10:13], v[14:15], off
	s_waitcnt vmcnt(0)
	v_fma_f64 v[0:1], v[3:4], v[10:11], v[8:9]
	v_fma_f64 v[2:3], v[3:4], v[12:13], v[5:6]
	global_store_b128 v[14:15], v[0:3], off
.LBB102_23:
	s_nop 0
	s_sendmsg sendmsg(MSG_DEALLOC_VGPRS)
	s_endpgm
	.section	.rodata,"a",@progbits
	.p2align	6, 0x0
	.amdhsa_kernel _ZN9rocsparseL19gebsrmvn_2xn_kernelILj128ELj7ELj8EdEEvi20rocsparse_direction_NS_24const_host_device_scalarIT2_EEPKiS6_PKS3_S8_S4_PS3_21rocsparse_index_base_b
		.amdhsa_group_segment_fixed_size 0
		.amdhsa_private_segment_fixed_size 0
		.amdhsa_kernarg_size 72
		.amdhsa_user_sgpr_count 15
		.amdhsa_user_sgpr_dispatch_ptr 0
		.amdhsa_user_sgpr_queue_ptr 0
		.amdhsa_user_sgpr_kernarg_segment_ptr 1
		.amdhsa_user_sgpr_dispatch_id 0
		.amdhsa_user_sgpr_private_segment_size 0
		.amdhsa_wavefront_size32 1
		.amdhsa_uses_dynamic_stack 0
		.amdhsa_enable_private_segment 0
		.amdhsa_system_sgpr_workgroup_id_x 1
		.amdhsa_system_sgpr_workgroup_id_y 0
		.amdhsa_system_sgpr_workgroup_id_z 0
		.amdhsa_system_sgpr_workgroup_info 0
		.amdhsa_system_vgpr_workitem_id 0
		.amdhsa_next_free_vgpr 60
		.amdhsa_next_free_sgpr 16
		.amdhsa_reserve_vcc 1
		.amdhsa_float_round_mode_32 0
		.amdhsa_float_round_mode_16_64 0
		.amdhsa_float_denorm_mode_32 3
		.amdhsa_float_denorm_mode_16_64 3
		.amdhsa_dx10_clamp 1
		.amdhsa_ieee_mode 1
		.amdhsa_fp16_overflow 0
		.amdhsa_workgroup_processor_mode 1
		.amdhsa_memory_ordered 1
		.amdhsa_forward_progress 0
		.amdhsa_shared_vgpr_count 0
		.amdhsa_exception_fp_ieee_invalid_op 0
		.amdhsa_exception_fp_denorm_src 0
		.amdhsa_exception_fp_ieee_div_zero 0
		.amdhsa_exception_fp_ieee_overflow 0
		.amdhsa_exception_fp_ieee_underflow 0
		.amdhsa_exception_fp_ieee_inexact 0
		.amdhsa_exception_int_div_zero 0
	.end_amdhsa_kernel
	.section	.text._ZN9rocsparseL19gebsrmvn_2xn_kernelILj128ELj7ELj8EdEEvi20rocsparse_direction_NS_24const_host_device_scalarIT2_EEPKiS6_PKS3_S8_S4_PS3_21rocsparse_index_base_b,"axG",@progbits,_ZN9rocsparseL19gebsrmvn_2xn_kernelILj128ELj7ELj8EdEEvi20rocsparse_direction_NS_24const_host_device_scalarIT2_EEPKiS6_PKS3_S8_S4_PS3_21rocsparse_index_base_b,comdat
.Lfunc_end102:
	.size	_ZN9rocsparseL19gebsrmvn_2xn_kernelILj128ELj7ELj8EdEEvi20rocsparse_direction_NS_24const_host_device_scalarIT2_EEPKiS6_PKS3_S8_S4_PS3_21rocsparse_index_base_b, .Lfunc_end102-_ZN9rocsparseL19gebsrmvn_2xn_kernelILj128ELj7ELj8EdEEvi20rocsparse_direction_NS_24const_host_device_scalarIT2_EEPKiS6_PKS3_S8_S4_PS3_21rocsparse_index_base_b
                                        ; -- End function
	.section	.AMDGPU.csdata,"",@progbits
; Kernel info:
; codeLenInByte = 2644
; NumSgprs: 18
; NumVgprs: 60
; ScratchSize: 0
; MemoryBound: 0
; FloatMode: 240
; IeeeMode: 1
; LDSByteSize: 0 bytes/workgroup (compile time only)
; SGPRBlocks: 2
; VGPRBlocks: 7
; NumSGPRsForWavesPerEU: 18
; NumVGPRsForWavesPerEU: 60
; Occupancy: 16
; WaveLimiterHint : 1
; COMPUTE_PGM_RSRC2:SCRATCH_EN: 0
; COMPUTE_PGM_RSRC2:USER_SGPR: 15
; COMPUTE_PGM_RSRC2:TRAP_HANDLER: 0
; COMPUTE_PGM_RSRC2:TGID_X_EN: 1
; COMPUTE_PGM_RSRC2:TGID_Y_EN: 0
; COMPUTE_PGM_RSRC2:TGID_Z_EN: 0
; COMPUTE_PGM_RSRC2:TIDIG_COMP_CNT: 0
	.section	.text._ZN9rocsparseL19gebsrmvn_2xn_kernelILj128ELj7ELj16EdEEvi20rocsparse_direction_NS_24const_host_device_scalarIT2_EEPKiS6_PKS3_S8_S4_PS3_21rocsparse_index_base_b,"axG",@progbits,_ZN9rocsparseL19gebsrmvn_2xn_kernelILj128ELj7ELj16EdEEvi20rocsparse_direction_NS_24const_host_device_scalarIT2_EEPKiS6_PKS3_S8_S4_PS3_21rocsparse_index_base_b,comdat
	.globl	_ZN9rocsparseL19gebsrmvn_2xn_kernelILj128ELj7ELj16EdEEvi20rocsparse_direction_NS_24const_host_device_scalarIT2_EEPKiS6_PKS3_S8_S4_PS3_21rocsparse_index_base_b ; -- Begin function _ZN9rocsparseL19gebsrmvn_2xn_kernelILj128ELj7ELj16EdEEvi20rocsparse_direction_NS_24const_host_device_scalarIT2_EEPKiS6_PKS3_S8_S4_PS3_21rocsparse_index_base_b
	.p2align	8
	.type	_ZN9rocsparseL19gebsrmvn_2xn_kernelILj128ELj7ELj16EdEEvi20rocsparse_direction_NS_24const_host_device_scalarIT2_EEPKiS6_PKS3_S8_S4_PS3_21rocsparse_index_base_b,@function
_ZN9rocsparseL19gebsrmvn_2xn_kernelILj128ELj7ELj16EdEEvi20rocsparse_direction_NS_24const_host_device_scalarIT2_EEPKiS6_PKS3_S8_S4_PS3_21rocsparse_index_base_b: ; @_ZN9rocsparseL19gebsrmvn_2xn_kernelILj128ELj7ELj16EdEEvi20rocsparse_direction_NS_24const_host_device_scalarIT2_EEPKiS6_PKS3_S8_S4_PS3_21rocsparse_index_base_b
; %bb.0:
	s_clause 0x2
	s_load_b64 s[12:13], s[0:1], 0x40
	s_load_b64 s[4:5], s[0:1], 0x8
	s_load_b64 s[2:3], s[0:1], 0x30
	s_waitcnt lgkmcnt(0)
	s_bitcmp1_b32 s13, 0
	v_dual_mov_b32 v1, s4 :: v_dual_mov_b32 v2, s5
	s_cselect_b32 s6, -1, 0
	s_delay_alu instid0(SALU_CYCLE_1)
	s_and_b32 vcc_lo, exec_lo, s6
	s_xor_b32 s6, s6, -1
	s_cbranch_vccnz .LBB103_2
; %bb.1:
	v_dual_mov_b32 v1, s4 :: v_dual_mov_b32 v2, s5
	flat_load_b64 v[1:2], v[1:2]
.LBB103_2:
	v_dual_mov_b32 v4, s3 :: v_dual_mov_b32 v3, s2
	s_and_not1_b32 vcc_lo, exec_lo, s6
	s_cbranch_vccnz .LBB103_4
; %bb.3:
	v_dual_mov_b32 v4, s3 :: v_dual_mov_b32 v3, s2
	flat_load_b64 v[3:4], v[3:4]
.LBB103_4:
	s_waitcnt vmcnt(0) lgkmcnt(0)
	v_cmp_neq_f64_e32 vcc_lo, 0, v[1:2]
	v_cmp_neq_f64_e64 s2, 1.0, v[3:4]
	s_delay_alu instid0(VALU_DEP_1) | instskip(NEXT) | instid1(SALU_CYCLE_1)
	s_or_b32 s2, vcc_lo, s2
	s_and_saveexec_b32 s3, s2
	s_cbranch_execz .LBB103_23
; %bb.5:
	s_load_b64 s[2:3], s[0:1], 0x0
	v_lshrrev_b32_e32 v5, 4, v0
	s_delay_alu instid0(VALU_DEP_1) | instskip(SKIP_1) | instid1(VALU_DEP_1)
	v_lshl_or_b32 v5, s15, 3, v5
	s_waitcnt lgkmcnt(0)
	v_cmp_gt_i32_e32 vcc_lo, s2, v5
	s_and_b32 exec_lo, exec_lo, vcc_lo
	s_cbranch_execz .LBB103_23
; %bb.6:
	s_load_b256 s[4:11], s[0:1], 0x10
	v_ashrrev_i32_e32 v6, 31, v5
	v_and_b32_e32 v0, 15, v0
	s_cmp_lg_u32 s3, 0
	s_delay_alu instid0(VALU_DEP_2) | instskip(SKIP_1) | instid1(VALU_DEP_1)
	v_lshlrev_b64 v[6:7], 2, v[5:6]
	s_waitcnt lgkmcnt(0)
	v_add_co_u32 v6, vcc_lo, s4, v6
	s_delay_alu instid0(VALU_DEP_2) | instskip(SKIP_4) | instid1(VALU_DEP_2)
	v_add_co_ci_u32_e32 v7, vcc_lo, s5, v7, vcc_lo
	global_load_b64 v[6:7], v[6:7], off
	s_waitcnt vmcnt(0)
	v_subrev_nc_u32_e32 v6, s12, v6
	v_subrev_nc_u32_e32 v17, s12, v7
	v_add_nc_u32_e32 v8, v6, v0
	s_delay_alu instid0(VALU_DEP_1)
	v_cmp_lt_i32_e64 s2, v8, v17
	s_cbranch_scc0 .LBB103_12
; %bb.7:
	v_mov_b32_e32 v6, 0
	v_mov_b32_e32 v7, 0
	s_delay_alu instid0(VALU_DEP_1)
	v_dual_mov_b32 v11, v7 :: v_dual_mov_b32 v10, v6
	s_and_saveexec_b32 s3, s2
	s_cbranch_execz .LBB103_11
; %bb.8:
	v_dual_mov_b32 v6, 0 :: v_dual_mov_b32 v15, v8
	v_dual_mov_b32 v7, 0 :: v_dual_mov_b32 v14, 0
	v_mad_u64_u32 v[12:13], null, v8, 14, 12
	s_mov_b32 s4, 0
	s_delay_alu instid0(VALU_DEP_2)
	v_dual_mov_b32 v11, v7 :: v_dual_mov_b32 v10, v6
.LBB103_9:                              ; =>This Inner Loop Header: Depth=1
	v_ashrrev_i32_e32 v16, 31, v15
	s_delay_alu instid0(VALU_DEP_3) | instskip(SKIP_1) | instid1(VALU_DEP_3)
	v_add_nc_u32_e32 v13, -12, v12
	v_mov_b32_e32 v43, v14
	v_lshlrev_b64 v[18:19], 2, v[15:16]
	v_add_nc_u32_e32 v15, 16, v15
	s_delay_alu instid0(VALU_DEP_2) | instskip(NEXT) | instid1(VALU_DEP_3)
	v_add_co_u32 v18, vcc_lo, s6, v18
	v_add_co_ci_u32_e32 v19, vcc_lo, s7, v19, vcc_lo
	global_load_b32 v9, v[18:19], off
	v_lshlrev_b64 v[18:19], 3, v[13:14]
	v_add_nc_u32_e32 v13, -10, v12
	s_delay_alu instid0(VALU_DEP_2) | instskip(NEXT) | instid1(VALU_DEP_3)
	v_add_co_u32 v18, vcc_lo, s8, v18
	v_add_co_ci_u32_e32 v19, vcc_lo, s9, v19, vcc_lo
	s_waitcnt vmcnt(0)
	v_subrev_nc_u32_e32 v9, s12, v9
	s_delay_alu instid0(VALU_DEP_1) | instskip(NEXT) | instid1(VALU_DEP_1)
	v_mul_lo_u32 v42, v9, 7
	v_lshlrev_b64 v[20:21], 3, v[42:43]
	s_delay_alu instid0(VALU_DEP_1) | instskip(NEXT) | instid1(VALU_DEP_2)
	v_add_co_u32 v22, vcc_lo, s10, v20
	v_add_co_ci_u32_e32 v23, vcc_lo, s11, v21, vcc_lo
	global_load_b128 v[18:21], v[18:19], off
	global_load_b64 v[46:47], v[22:23], off
	v_lshlrev_b64 v[22:23], 3, v[13:14]
	v_add_nc_u32_e32 v13, 1, v42
	s_delay_alu instid0(VALU_DEP_1) | instskip(NEXT) | instid1(VALU_DEP_3)
	v_lshlrev_b64 v[24:25], 3, v[13:14]
	v_add_co_u32 v22, vcc_lo, s8, v22
	s_delay_alu instid0(VALU_DEP_4) | instskip(SKIP_1) | instid1(VALU_DEP_4)
	v_add_co_ci_u32_e32 v23, vcc_lo, s9, v23, vcc_lo
	v_add_nc_u32_e32 v13, -8, v12
	v_add_co_u32 v26, vcc_lo, s10, v24
	v_add_co_ci_u32_e32 v27, vcc_lo, s11, v25, vcc_lo
	global_load_b128 v[22:25], v[22:23], off
	global_load_b64 v[48:49], v[26:27], off
	v_lshlrev_b64 v[26:27], 3, v[13:14]
	v_add_nc_u32_e32 v13, 2, v42
	s_delay_alu instid0(VALU_DEP_1) | instskip(NEXT) | instid1(VALU_DEP_3)
	v_lshlrev_b64 v[28:29], 3, v[13:14]
	v_add_co_u32 v26, vcc_lo, s8, v26
	s_delay_alu instid0(VALU_DEP_4) | instskip(SKIP_1) | instid1(VALU_DEP_4)
	v_add_co_ci_u32_e32 v27, vcc_lo, s9, v27, vcc_lo
	v_add_nc_u32_e32 v13, -6, v12
	;; [unrolled: 12-line block ×4, first 2 shown]
	v_add_co_u32 v38, vcc_lo, s10, v36
	v_add_co_ci_u32_e32 v39, vcc_lo, s11, v37, vcc_lo
	global_load_b128 v[34:37], v[34:35], off
	global_load_b64 v[54:55], v[38:39], off
	v_lshlrev_b64 v[38:39], 3, v[13:14]
	v_add_nc_u32_e32 v13, 5, v42
	s_delay_alu instid0(VALU_DEP_1) | instskip(NEXT) | instid1(VALU_DEP_3)
	v_lshlrev_b64 v[40:41], 3, v[13:14]
	v_add_co_u32 v38, vcc_lo, s8, v38
	s_delay_alu instid0(VALU_DEP_4) | instskip(SKIP_1) | instid1(VALU_DEP_4)
	v_add_co_ci_u32_e32 v39, vcc_lo, s9, v39, vcc_lo
	v_mov_b32_e32 v13, v14
	v_add_co_u32 v43, vcc_lo, s10, v40
	v_add_co_ci_u32_e32 v44, vcc_lo, s11, v41, vcc_lo
	global_load_b128 v[38:41], v[38:39], off
	global_load_b64 v[56:57], v[43:44], off
	v_lshlrev_b64 v[43:44], 3, v[12:13]
	v_add_nc_u32_e32 v12, 0xe0, v12
	v_add_nc_u32_e32 v13, 6, v42
	s_delay_alu instid0(VALU_DEP_3) | instskip(NEXT) | instid1(VALU_DEP_2)
	v_add_co_u32 v42, vcc_lo, s8, v43
	v_lshlrev_b64 v[58:59], 3, v[13:14]
	v_add_co_ci_u32_e32 v43, vcc_lo, s9, v44, vcc_lo
	s_delay_alu instid0(VALU_DEP_2) | instskip(NEXT) | instid1(VALU_DEP_3)
	v_add_co_u32 v58, vcc_lo, s10, v58
	v_add_co_ci_u32_e32 v59, vcc_lo, s11, v59, vcc_lo
	global_load_b128 v[42:45], v[42:43], off
	global_load_b64 v[58:59], v[58:59], off
	v_cmp_ge_i32_e32 vcc_lo, v15, v17
	s_or_b32 s4, vcc_lo, s4
	s_waitcnt vmcnt(12)
	v_fma_f64 v[6:7], v[18:19], v[46:47], v[6:7]
	v_fma_f64 v[9:10], v[20:21], v[46:47], v[10:11]
	s_waitcnt vmcnt(10)
	s_delay_alu instid0(VALU_DEP_2) | instskip(NEXT) | instid1(VALU_DEP_2)
	v_fma_f64 v[6:7], v[22:23], v[48:49], v[6:7]
	v_fma_f64 v[9:10], v[24:25], v[48:49], v[9:10]
	s_waitcnt vmcnt(8)
	s_delay_alu instid0(VALU_DEP_2) | instskip(NEXT) | instid1(VALU_DEP_2)
	;; [unrolled: 4-line block ×6, first 2 shown]
	v_fma_f64 v[6:7], v[42:43], v[58:59], v[6:7]
	v_fma_f64 v[10:11], v[44:45], v[58:59], v[9:10]
	s_and_not1_b32 exec_lo, exec_lo, s4
	s_cbranch_execnz .LBB103_9
; %bb.10:
	s_or_b32 exec_lo, exec_lo, s4
.LBB103_11:
	s_delay_alu instid0(SALU_CYCLE_1)
	s_or_b32 exec_lo, exec_lo, s3
	s_cbranch_execz .LBB103_13
	s_branch .LBB103_18
.LBB103_12:
                                        ; implicit-def: $vgpr6_vgpr7
                                        ; implicit-def: $vgpr10_vgpr11
.LBB103_13:
	v_mov_b32_e32 v6, 0
	v_mov_b32_e32 v7, 0
	s_delay_alu instid0(VALU_DEP_1)
	v_dual_mov_b32 v11, v7 :: v_dual_mov_b32 v10, v6
	s_and_saveexec_b32 s3, s2
	s_cbranch_execz .LBB103_17
; %bb.14:
	v_mov_b32_e32 v6, 0
	v_dual_mov_b32 v7, 0 :: v_dual_mov_b32 v14, 0
	v_mad_u64_u32 v[12:13], null, v8, 14, 13
	s_mov_b32 s2, 0
	s_delay_alu instid0(VALU_DEP_2)
	v_dual_mov_b32 v11, v7 :: v_dual_mov_b32 v10, v6
.LBB103_15:                             ; =>This Inner Loop Header: Depth=1
	v_ashrrev_i32_e32 v9, 31, v8
	s_delay_alu instid0(VALU_DEP_3) | instskip(SKIP_1) | instid1(VALU_DEP_3)
	v_add_nc_u32_e32 v13, -13, v12
	v_mov_b32_e32 v23, v14
	v_lshlrev_b64 v[15:16], 2, v[8:9]
	v_add_nc_u32_e32 v8, 16, v8
	s_delay_alu instid0(VALU_DEP_2) | instskip(NEXT) | instid1(VALU_DEP_3)
	v_add_co_u32 v15, vcc_lo, s6, v15
	v_add_co_ci_u32_e32 v16, vcc_lo, s7, v16, vcc_lo
	global_load_b32 v9, v[15:16], off
	v_dual_mov_b32 v16, v14 :: v_dual_add_nc_u32 v15, -6, v12
	v_lshlrev_b64 v[18:19], 3, v[13:14]
	s_delay_alu instid0(VALU_DEP_2) | instskip(NEXT) | instid1(VALU_DEP_2)
	v_lshlrev_b64 v[15:16], 3, v[15:16]
	v_add_co_u32 v18, vcc_lo, s8, v18
	s_delay_alu instid0(VALU_DEP_3) | instskip(NEXT) | instid1(VALU_DEP_3)
	v_add_co_ci_u32_e32 v19, vcc_lo, s9, v19, vcc_lo
	v_add_co_u32 v15, vcc_lo, s8, v15
	s_delay_alu instid0(VALU_DEP_4) | instskip(SKIP_2) | instid1(VALU_DEP_1)
	v_add_co_ci_u32_e32 v16, vcc_lo, s9, v16, vcc_lo
	s_waitcnt vmcnt(0)
	v_subrev_nc_u32_e32 v9, s12, v9
	v_mul_lo_u32 v22, v9, 7
	s_delay_alu instid0(VALU_DEP_1) | instskip(SKIP_1) | instid1(VALU_DEP_1)
	v_lshlrev_b64 v[20:21], 3, v[22:23]
	v_add_nc_u32_e32 v13, 1, v22
	v_lshlrev_b64 v[25:26], 3, v[13:14]
	s_delay_alu instid0(VALU_DEP_3) | instskip(NEXT) | instid1(VALU_DEP_4)
	v_add_co_u32 v23, vcc_lo, s10, v20
	v_add_co_ci_u32_e32 v24, vcc_lo, s11, v21, vcc_lo
	s_clause 0x1
	global_load_b128 v[18:21], v[18:19], off
	global_load_b64 v[15:16], v[15:16], off
	global_load_b64 v[23:24], v[23:24], off
	v_add_nc_u32_e32 v13, -5, v12
	v_add_co_u32 v25, vcc_lo, s10, v25
	v_add_co_ci_u32_e32 v26, vcc_lo, s11, v26, vcc_lo
	s_delay_alu instid0(VALU_DEP_3) | instskip(SKIP_1) | instid1(VALU_DEP_2)
	v_lshlrev_b64 v[27:28], 3, v[13:14]
	v_add_nc_u32_e32 v13, -11, v12
	v_add_co_u32 v27, vcc_lo, s8, v27
	s_delay_alu instid0(VALU_DEP_3) | instskip(SKIP_4) | instid1(VALU_DEP_1)
	v_add_co_ci_u32_e32 v28, vcc_lo, s9, v28, vcc_lo
	global_load_b64 v[25:26], v[25:26], off
	global_load_b64 v[27:28], v[27:28], off
	v_lshlrev_b64 v[29:30], 3, v[13:14]
	v_add_nc_u32_e32 v13, 2, v22
	v_lshlrev_b64 v[31:32], 3, v[13:14]
	v_add_nc_u32_e32 v13, -4, v12
	s_delay_alu instid0(VALU_DEP_4) | instskip(SKIP_1) | instid1(VALU_DEP_3)
	v_add_co_u32 v29, vcc_lo, s8, v29
	v_add_co_ci_u32_e32 v30, vcc_lo, s9, v30, vcc_lo
	v_lshlrev_b64 v[33:34], 3, v[13:14]
	v_add_co_u32 v31, vcc_lo, s10, v31
	v_add_co_ci_u32_e32 v32, vcc_lo, s11, v32, vcc_lo
	v_add_nc_u32_e32 v13, -10, v12
	s_delay_alu instid0(VALU_DEP_4)
	v_add_co_u32 v33, vcc_lo, s8, v33
	v_add_co_ci_u32_e32 v34, vcc_lo, s9, v34, vcc_lo
	global_load_b64 v[29:30], v[29:30], off
	global_load_b64 v[31:32], v[31:32], off
	;; [unrolled: 1-line block ×3, first 2 shown]
	v_lshlrev_b64 v[35:36], 3, v[13:14]
	v_add_nc_u32_e32 v13, 3, v22
	s_delay_alu instid0(VALU_DEP_1) | instskip(SKIP_1) | instid1(VALU_DEP_4)
	v_lshlrev_b64 v[37:38], 3, v[13:14]
	v_add_nc_u32_e32 v13, -3, v12
	v_add_co_u32 v35, vcc_lo, s8, v35
	v_add_co_ci_u32_e32 v36, vcc_lo, s9, v36, vcc_lo
	s_delay_alu instid0(VALU_DEP_3) | instskip(SKIP_3) | instid1(VALU_DEP_4)
	v_lshlrev_b64 v[39:40], 3, v[13:14]
	v_add_co_u32 v37, vcc_lo, s10, v37
	v_add_co_ci_u32_e32 v38, vcc_lo, s11, v38, vcc_lo
	v_add_nc_u32_e32 v13, -9, v12
	v_add_co_u32 v39, vcc_lo, s8, v39
	v_add_co_ci_u32_e32 v40, vcc_lo, s9, v40, vcc_lo
	global_load_b64 v[35:36], v[35:36], off
	global_load_b64 v[37:38], v[37:38], off
	;; [unrolled: 1-line block ×3, first 2 shown]
	v_lshlrev_b64 v[41:42], 3, v[13:14]
	v_add_nc_u32_e32 v13, 4, v22
	s_delay_alu instid0(VALU_DEP_1) | instskip(SKIP_1) | instid1(VALU_DEP_4)
	v_lshlrev_b64 v[43:44], 3, v[13:14]
	v_add_nc_u32_e32 v13, -2, v12
	v_add_co_u32 v41, vcc_lo, s8, v41
	v_add_co_ci_u32_e32 v42, vcc_lo, s9, v42, vcc_lo
	s_delay_alu instid0(VALU_DEP_3) | instskip(SKIP_3) | instid1(VALU_DEP_4)
	v_lshlrev_b64 v[45:46], 3, v[13:14]
	v_add_co_u32 v43, vcc_lo, s10, v43
	v_add_co_ci_u32_e32 v44, vcc_lo, s11, v44, vcc_lo
	v_add_nc_u32_e32 v13, -8, v12
	v_add_co_u32 v45, vcc_lo, s8, v45
	v_add_co_ci_u32_e32 v46, vcc_lo, s9, v46, vcc_lo
	global_load_b64 v[41:42], v[41:42], off
	global_load_b64 v[43:44], v[43:44], off
	;; [unrolled: 1-line block ×3, first 2 shown]
	v_lshlrev_b64 v[47:48], 3, v[13:14]
	v_add_nc_u32_e32 v13, 5, v22
	s_delay_alu instid0(VALU_DEP_1) | instskip(SKIP_1) | instid1(VALU_DEP_4)
	v_lshlrev_b64 v[49:50], 3, v[13:14]
	v_add_nc_u32_e32 v13, -1, v12
	v_add_co_u32 v47, vcc_lo, s8, v47
	v_add_co_ci_u32_e32 v48, vcc_lo, s9, v48, vcc_lo
	s_delay_alu instid0(VALU_DEP_3) | instskip(SKIP_3) | instid1(VALU_DEP_4)
	v_lshlrev_b64 v[51:52], 3, v[13:14]
	v_add_co_u32 v49, vcc_lo, s10, v49
	v_add_co_ci_u32_e32 v50, vcc_lo, s11, v50, vcc_lo
	v_mov_b32_e32 v13, v14
	v_add_co_u32 v51, vcc_lo, s8, v51
	v_add_co_ci_u32_e32 v52, vcc_lo, s9, v52, vcc_lo
	global_load_b64 v[47:48], v[47:48], off
	global_load_b64 v[49:50], v[49:50], off
	;; [unrolled: 1-line block ×3, first 2 shown]
	v_lshlrev_b64 v[53:54], 3, v[12:13]
	v_add_nc_u32_e32 v13, -7, v12
	v_add_nc_u32_e32 v12, 0xe0, v12
	s_delay_alu instid0(VALU_DEP_2) | instskip(SKIP_3) | instid1(VALU_DEP_3)
	v_lshlrev_b64 v[55:56], 3, v[13:14]
	v_add_nc_u32_e32 v13, 6, v22
	v_add_co_u32 v53, vcc_lo, s8, v53
	v_add_co_ci_u32_e32 v54, vcc_lo, s9, v54, vcc_lo
	v_lshlrev_b64 v[57:58], 3, v[13:14]
	v_add_co_u32 v55, vcc_lo, s8, v55
	v_add_co_ci_u32_e32 v56, vcc_lo, s9, v56, vcc_lo
	s_delay_alu instid0(VALU_DEP_3) | instskip(NEXT) | instid1(VALU_DEP_4)
	v_add_co_u32 v57, vcc_lo, s10, v57
	v_add_co_ci_u32_e32 v58, vcc_lo, s11, v58, vcc_lo
	s_clause 0x1
	global_load_b64 v[53:54], v[53:54], off
	global_load_b64 v[55:56], v[55:56], off
	;; [unrolled: 1-line block ×3, first 2 shown]
	v_cmp_ge_i32_e32 vcc_lo, v8, v17
	s_or_b32 s2, vcc_lo, s2
	s_waitcnt vmcnt(17)
	v_fma_f64 v[6:7], v[18:19], v[23:24], v[6:7]
	v_fma_f64 v[9:10], v[15:16], v[23:24], v[10:11]
	s_waitcnt vmcnt(16)
	s_delay_alu instid0(VALU_DEP_2) | instskip(SKIP_1) | instid1(VALU_DEP_2)
	v_fma_f64 v[6:7], v[20:21], v[25:26], v[6:7]
	s_waitcnt vmcnt(15)
	v_fma_f64 v[9:10], v[27:28], v[25:26], v[9:10]
	s_waitcnt vmcnt(13)
	s_delay_alu instid0(VALU_DEP_2) | instskip(SKIP_1) | instid1(VALU_DEP_2)
	v_fma_f64 v[6:7], v[29:30], v[31:32], v[6:7]
	s_waitcnt vmcnt(12)
	;; [unrolled: 5-line block ×5, first 2 shown]
	v_fma_f64 v[9:10], v[51:52], v[49:50], v[9:10]
	s_waitcnt vmcnt(0)
	s_delay_alu instid0(VALU_DEP_2) | instskip(NEXT) | instid1(VALU_DEP_2)
	v_fma_f64 v[6:7], v[55:56], v[57:58], v[6:7]
	v_fma_f64 v[10:11], v[53:54], v[57:58], v[9:10]
	s_and_not1_b32 exec_lo, exec_lo, s2
	s_cbranch_execnz .LBB103_15
; %bb.16:
	s_or_b32 exec_lo, exec_lo, s2
.LBB103_17:
	s_delay_alu instid0(SALU_CYCLE_1)
	s_or_b32 exec_lo, exec_lo, s3
.LBB103_18:
	v_mbcnt_lo_u32_b32 v14, -1, 0
	s_delay_alu instid0(VALU_DEP_1) | instskip(NEXT) | instid1(VALU_DEP_1)
	v_xor_b32_e32 v8, 8, v14
	v_cmp_gt_i32_e32 vcc_lo, 32, v8
	v_cndmask_b32_e32 v8, v14, v8, vcc_lo
	s_delay_alu instid0(VALU_DEP_1)
	v_lshlrev_b32_e32 v13, 2, v8
	ds_bpermute_b32 v8, v13, v6
	ds_bpermute_b32 v9, v13, v7
	;; [unrolled: 1-line block ×4, first 2 shown]
	s_waitcnt lgkmcnt(2)
	v_add_f64 v[6:7], v[6:7], v[8:9]
	s_waitcnt lgkmcnt(0)
	v_add_f64 v[8:9], v[10:11], v[12:13]
	v_xor_b32_e32 v10, 4, v14
	s_delay_alu instid0(VALU_DEP_1) | instskip(SKIP_1) | instid1(VALU_DEP_1)
	v_cmp_gt_i32_e32 vcc_lo, 32, v10
	v_cndmask_b32_e32 v10, v14, v10, vcc_lo
	v_lshlrev_b32_e32 v13, 2, v10
	ds_bpermute_b32 v10, v13, v6
	ds_bpermute_b32 v11, v13, v7
	;; [unrolled: 1-line block ×4, first 2 shown]
	s_waitcnt lgkmcnt(2)
	v_add_f64 v[6:7], v[6:7], v[10:11]
	v_xor_b32_e32 v10, 2, v14
	s_waitcnt lgkmcnt(0)
	v_add_f64 v[8:9], v[8:9], v[12:13]
	s_delay_alu instid0(VALU_DEP_2) | instskip(SKIP_1) | instid1(VALU_DEP_1)
	v_cmp_gt_i32_e32 vcc_lo, 32, v10
	v_cndmask_b32_e32 v10, v14, v10, vcc_lo
	v_lshlrev_b32_e32 v13, 2, v10
	ds_bpermute_b32 v10, v13, v6
	ds_bpermute_b32 v11, v13, v7
	;; [unrolled: 1-line block ×4, first 2 shown]
	s_waitcnt lgkmcnt(2)
	v_add_f64 v[6:7], v[6:7], v[10:11]
	s_waitcnt lgkmcnt(0)
	v_add_f64 v[10:11], v[8:9], v[12:13]
	v_xor_b32_e32 v8, 1, v14
	s_delay_alu instid0(VALU_DEP_1) | instskip(SKIP_2) | instid1(VALU_DEP_2)
	v_cmp_gt_i32_e32 vcc_lo, 32, v8
	v_cndmask_b32_e32 v8, v14, v8, vcc_lo
	v_cmp_eq_u32_e32 vcc_lo, 15, v0
	v_lshlrev_b32_e32 v13, 2, v8
	ds_bpermute_b32 v8, v13, v6
	ds_bpermute_b32 v9, v13, v7
	;; [unrolled: 1-line block ×4, first 2 shown]
	s_and_b32 exec_lo, exec_lo, vcc_lo
	s_cbranch_execz .LBB103_23
; %bb.19:
	s_waitcnt lgkmcnt(2)
	v_add_f64 v[8:9], v[6:7], v[8:9]
	s_waitcnt lgkmcnt(0)
	v_add_f64 v[6:7], v[10:11], v[12:13]
	s_load_b64 s[0:1], s[0:1], 0x38
	s_mov_b32 s2, exec_lo
	v_cmpx_eq_f64_e32 0, v[3:4]
	s_xor_b32 s2, exec_lo, s2
	s_cbranch_execz .LBB103_21
; %bb.20:
	s_delay_alu instid0(VALU_DEP_3) | instskip(NEXT) | instid1(VALU_DEP_3)
	v_mul_f64 v[8:9], v[1:2], v[8:9]
	v_mul_f64 v[10:11], v[1:2], v[6:7]
	v_lshlrev_b32_e32 v0, 1, v5
                                        ; implicit-def: $vgpr5
                                        ; implicit-def: $vgpr3_vgpr4
                                        ; implicit-def: $vgpr6_vgpr7
	s_delay_alu instid0(VALU_DEP_1) | instskip(NEXT) | instid1(VALU_DEP_1)
	v_ashrrev_i32_e32 v1, 31, v0
	v_lshlrev_b64 v[0:1], 3, v[0:1]
	s_waitcnt lgkmcnt(0)
	s_delay_alu instid0(VALU_DEP_1) | instskip(NEXT) | instid1(VALU_DEP_2)
	v_add_co_u32 v0, vcc_lo, s0, v0
	v_add_co_ci_u32_e32 v1, vcc_lo, s1, v1, vcc_lo
	global_store_b128 v[0:1], v[8:11], off
                                        ; implicit-def: $vgpr1_vgpr2
                                        ; implicit-def: $vgpr8_vgpr9
.LBB103_21:
	s_and_not1_saveexec_b32 s2, s2
	s_cbranch_execz .LBB103_23
; %bb.22:
	v_lshlrev_b32_e32 v10, 1, v5
	s_delay_alu instid0(VALU_DEP_4) | instskip(NEXT) | instid1(VALU_DEP_4)
	v_mul_f64 v[8:9], v[1:2], v[8:9]
	v_mul_f64 v[5:6], v[1:2], v[6:7]
	s_delay_alu instid0(VALU_DEP_3) | instskip(NEXT) | instid1(VALU_DEP_1)
	v_ashrrev_i32_e32 v11, 31, v10
	v_lshlrev_b64 v[10:11], 3, v[10:11]
	s_waitcnt lgkmcnt(0)
	s_delay_alu instid0(VALU_DEP_1) | instskip(NEXT) | instid1(VALU_DEP_2)
	v_add_co_u32 v14, vcc_lo, s0, v10
	v_add_co_ci_u32_e32 v15, vcc_lo, s1, v11, vcc_lo
	global_load_b128 v[10:13], v[14:15], off
	s_waitcnt vmcnt(0)
	v_fma_f64 v[0:1], v[3:4], v[10:11], v[8:9]
	v_fma_f64 v[2:3], v[3:4], v[12:13], v[5:6]
	global_store_b128 v[14:15], v[0:3], off
.LBB103_23:
	s_nop 0
	s_sendmsg sendmsg(MSG_DEALLOC_VGPRS)
	s_endpgm
	.section	.rodata,"a",@progbits
	.p2align	6, 0x0
	.amdhsa_kernel _ZN9rocsparseL19gebsrmvn_2xn_kernelILj128ELj7ELj16EdEEvi20rocsparse_direction_NS_24const_host_device_scalarIT2_EEPKiS6_PKS3_S8_S4_PS3_21rocsparse_index_base_b
		.amdhsa_group_segment_fixed_size 0
		.amdhsa_private_segment_fixed_size 0
		.amdhsa_kernarg_size 72
		.amdhsa_user_sgpr_count 15
		.amdhsa_user_sgpr_dispatch_ptr 0
		.amdhsa_user_sgpr_queue_ptr 0
		.amdhsa_user_sgpr_kernarg_segment_ptr 1
		.amdhsa_user_sgpr_dispatch_id 0
		.amdhsa_user_sgpr_private_segment_size 0
		.amdhsa_wavefront_size32 1
		.amdhsa_uses_dynamic_stack 0
		.amdhsa_enable_private_segment 0
		.amdhsa_system_sgpr_workgroup_id_x 1
		.amdhsa_system_sgpr_workgroup_id_y 0
		.amdhsa_system_sgpr_workgroup_id_z 0
		.amdhsa_system_sgpr_workgroup_info 0
		.amdhsa_system_vgpr_workitem_id 0
		.amdhsa_next_free_vgpr 60
		.amdhsa_next_free_sgpr 16
		.amdhsa_reserve_vcc 1
		.amdhsa_float_round_mode_32 0
		.amdhsa_float_round_mode_16_64 0
		.amdhsa_float_denorm_mode_32 3
		.amdhsa_float_denorm_mode_16_64 3
		.amdhsa_dx10_clamp 1
		.amdhsa_ieee_mode 1
		.amdhsa_fp16_overflow 0
		.amdhsa_workgroup_processor_mode 1
		.amdhsa_memory_ordered 1
		.amdhsa_forward_progress 0
		.amdhsa_shared_vgpr_count 0
		.amdhsa_exception_fp_ieee_invalid_op 0
		.amdhsa_exception_fp_denorm_src 0
		.amdhsa_exception_fp_ieee_div_zero 0
		.amdhsa_exception_fp_ieee_overflow 0
		.amdhsa_exception_fp_ieee_underflow 0
		.amdhsa_exception_fp_ieee_inexact 0
		.amdhsa_exception_int_div_zero 0
	.end_amdhsa_kernel
	.section	.text._ZN9rocsparseL19gebsrmvn_2xn_kernelILj128ELj7ELj16EdEEvi20rocsparse_direction_NS_24const_host_device_scalarIT2_EEPKiS6_PKS3_S8_S4_PS3_21rocsparse_index_base_b,"axG",@progbits,_ZN9rocsparseL19gebsrmvn_2xn_kernelILj128ELj7ELj16EdEEvi20rocsparse_direction_NS_24const_host_device_scalarIT2_EEPKiS6_PKS3_S8_S4_PS3_21rocsparse_index_base_b,comdat
.Lfunc_end103:
	.size	_ZN9rocsparseL19gebsrmvn_2xn_kernelILj128ELj7ELj16EdEEvi20rocsparse_direction_NS_24const_host_device_scalarIT2_EEPKiS6_PKS3_S8_S4_PS3_21rocsparse_index_base_b, .Lfunc_end103-_ZN9rocsparseL19gebsrmvn_2xn_kernelILj128ELj7ELj16EdEEvi20rocsparse_direction_NS_24const_host_device_scalarIT2_EEPKiS6_PKS3_S8_S4_PS3_21rocsparse_index_base_b
                                        ; -- End function
	.section	.AMDGPU.csdata,"",@progbits
; Kernel info:
; codeLenInByte = 2720
; NumSgprs: 18
; NumVgprs: 60
; ScratchSize: 0
; MemoryBound: 0
; FloatMode: 240
; IeeeMode: 1
; LDSByteSize: 0 bytes/workgroup (compile time only)
; SGPRBlocks: 2
; VGPRBlocks: 7
; NumSGPRsForWavesPerEU: 18
; NumVGPRsForWavesPerEU: 60
; Occupancy: 16
; WaveLimiterHint : 1
; COMPUTE_PGM_RSRC2:SCRATCH_EN: 0
; COMPUTE_PGM_RSRC2:USER_SGPR: 15
; COMPUTE_PGM_RSRC2:TRAP_HANDLER: 0
; COMPUTE_PGM_RSRC2:TGID_X_EN: 1
; COMPUTE_PGM_RSRC2:TGID_Y_EN: 0
; COMPUTE_PGM_RSRC2:TGID_Z_EN: 0
; COMPUTE_PGM_RSRC2:TIDIG_COMP_CNT: 0
	.section	.text._ZN9rocsparseL19gebsrmvn_2xn_kernelILj128ELj7ELj32EdEEvi20rocsparse_direction_NS_24const_host_device_scalarIT2_EEPKiS6_PKS3_S8_S4_PS3_21rocsparse_index_base_b,"axG",@progbits,_ZN9rocsparseL19gebsrmvn_2xn_kernelILj128ELj7ELj32EdEEvi20rocsparse_direction_NS_24const_host_device_scalarIT2_EEPKiS6_PKS3_S8_S4_PS3_21rocsparse_index_base_b,comdat
	.globl	_ZN9rocsparseL19gebsrmvn_2xn_kernelILj128ELj7ELj32EdEEvi20rocsparse_direction_NS_24const_host_device_scalarIT2_EEPKiS6_PKS3_S8_S4_PS3_21rocsparse_index_base_b ; -- Begin function _ZN9rocsparseL19gebsrmvn_2xn_kernelILj128ELj7ELj32EdEEvi20rocsparse_direction_NS_24const_host_device_scalarIT2_EEPKiS6_PKS3_S8_S4_PS3_21rocsparse_index_base_b
	.p2align	8
	.type	_ZN9rocsparseL19gebsrmvn_2xn_kernelILj128ELj7ELj32EdEEvi20rocsparse_direction_NS_24const_host_device_scalarIT2_EEPKiS6_PKS3_S8_S4_PS3_21rocsparse_index_base_b,@function
_ZN9rocsparseL19gebsrmvn_2xn_kernelILj128ELj7ELj32EdEEvi20rocsparse_direction_NS_24const_host_device_scalarIT2_EEPKiS6_PKS3_S8_S4_PS3_21rocsparse_index_base_b: ; @_ZN9rocsparseL19gebsrmvn_2xn_kernelILj128ELj7ELj32EdEEvi20rocsparse_direction_NS_24const_host_device_scalarIT2_EEPKiS6_PKS3_S8_S4_PS3_21rocsparse_index_base_b
; %bb.0:
	s_clause 0x2
	s_load_b64 s[12:13], s[0:1], 0x40
	s_load_b64 s[4:5], s[0:1], 0x8
	;; [unrolled: 1-line block ×3, first 2 shown]
	s_waitcnt lgkmcnt(0)
	s_bitcmp1_b32 s13, 0
	v_dual_mov_b32 v1, s4 :: v_dual_mov_b32 v2, s5
	s_cselect_b32 s6, -1, 0
	s_delay_alu instid0(SALU_CYCLE_1)
	s_and_b32 vcc_lo, exec_lo, s6
	s_xor_b32 s6, s6, -1
	s_cbranch_vccnz .LBB104_2
; %bb.1:
	v_dual_mov_b32 v1, s4 :: v_dual_mov_b32 v2, s5
	flat_load_b64 v[1:2], v[1:2]
.LBB104_2:
	v_dual_mov_b32 v4, s3 :: v_dual_mov_b32 v3, s2
	s_and_not1_b32 vcc_lo, exec_lo, s6
	s_cbranch_vccnz .LBB104_4
; %bb.3:
	v_dual_mov_b32 v4, s3 :: v_dual_mov_b32 v3, s2
	flat_load_b64 v[3:4], v[3:4]
.LBB104_4:
	s_waitcnt vmcnt(0) lgkmcnt(0)
	v_cmp_neq_f64_e32 vcc_lo, 0, v[1:2]
	v_cmp_neq_f64_e64 s2, 1.0, v[3:4]
	s_delay_alu instid0(VALU_DEP_1) | instskip(NEXT) | instid1(SALU_CYCLE_1)
	s_or_b32 s2, vcc_lo, s2
	s_and_saveexec_b32 s3, s2
	s_cbranch_execz .LBB104_23
; %bb.5:
	s_load_b64 s[2:3], s[0:1], 0x0
	v_lshrrev_b32_e32 v5, 5, v0
	s_delay_alu instid0(VALU_DEP_1) | instskip(SKIP_1) | instid1(VALU_DEP_1)
	v_lshl_or_b32 v5, s15, 2, v5
	s_waitcnt lgkmcnt(0)
	v_cmp_gt_i32_e32 vcc_lo, s2, v5
	s_and_b32 exec_lo, exec_lo, vcc_lo
	s_cbranch_execz .LBB104_23
; %bb.6:
	s_load_b256 s[4:11], s[0:1], 0x10
	v_ashrrev_i32_e32 v6, 31, v5
	v_and_b32_e32 v0, 31, v0
	s_cmp_lg_u32 s3, 0
	s_delay_alu instid0(VALU_DEP_2) | instskip(SKIP_1) | instid1(VALU_DEP_1)
	v_lshlrev_b64 v[6:7], 2, v[5:6]
	s_waitcnt lgkmcnt(0)
	v_add_co_u32 v6, vcc_lo, s4, v6
	s_delay_alu instid0(VALU_DEP_2) | instskip(SKIP_4) | instid1(VALU_DEP_2)
	v_add_co_ci_u32_e32 v7, vcc_lo, s5, v7, vcc_lo
	global_load_b64 v[6:7], v[6:7], off
	s_waitcnt vmcnt(0)
	v_subrev_nc_u32_e32 v6, s12, v6
	v_subrev_nc_u32_e32 v16, s12, v7
	v_add_nc_u32_e32 v10, v6, v0
	s_delay_alu instid0(VALU_DEP_1)
	v_cmp_lt_i32_e64 s2, v10, v16
	s_cbranch_scc0 .LBB104_12
; %bb.7:
	v_mov_b32_e32 v6, 0
	v_mov_b32_e32 v7, 0
	s_delay_alu instid0(VALU_DEP_1)
	v_dual_mov_b32 v9, v7 :: v_dual_mov_b32 v8, v6
	s_and_saveexec_b32 s3, s2
	s_cbranch_execz .LBB104_11
; %bb.8:
	v_dual_mov_b32 v6, 0 :: v_dual_mov_b32 v13, 0
	v_dual_mov_b32 v7, 0 :: v_dual_mov_b32 v14, v10
	v_mad_u64_u32 v[11:12], null, v10, 14, 12
	s_mov_b32 s4, 0
	s_delay_alu instid0(VALU_DEP_2)
	v_dual_mov_b32 v9, v7 :: v_dual_mov_b32 v8, v6
.LBB104_9:                              ; =>This Inner Loop Header: Depth=1
	s_delay_alu instid0(VALU_DEP_3) | instskip(NEXT) | instid1(VALU_DEP_3)
	v_ashrrev_i32_e32 v15, 31, v14
	v_add_nc_u32_e32 v12, -12, v11
	v_mov_b32_e32 v42, v13
	s_delay_alu instid0(VALU_DEP_3) | instskip(SKIP_1) | instid1(VALU_DEP_2)
	v_lshlrev_b64 v[17:18], 2, v[14:15]
	v_add_nc_u32_e32 v14, 32, v14
	v_add_co_u32 v17, vcc_lo, s6, v17
	s_delay_alu instid0(VALU_DEP_3) | instskip(SKIP_3) | instid1(VALU_DEP_2)
	v_add_co_ci_u32_e32 v18, vcc_lo, s7, v18, vcc_lo
	global_load_b32 v15, v[17:18], off
	v_lshlrev_b64 v[17:18], 3, v[12:13]
	v_add_nc_u32_e32 v12, -10, v11
	v_add_co_u32 v17, vcc_lo, s8, v17
	s_delay_alu instid0(VALU_DEP_3) | instskip(SKIP_2) | instid1(VALU_DEP_1)
	v_add_co_ci_u32_e32 v18, vcc_lo, s9, v18, vcc_lo
	s_waitcnt vmcnt(0)
	v_subrev_nc_u32_e32 v15, s12, v15
	v_mul_lo_u32 v41, v15, 7
	s_delay_alu instid0(VALU_DEP_1) | instskip(NEXT) | instid1(VALU_DEP_1)
	v_lshlrev_b64 v[19:20], 3, v[41:42]
	v_add_co_u32 v21, vcc_lo, s10, v19
	s_delay_alu instid0(VALU_DEP_2) | instskip(SKIP_4) | instid1(VALU_DEP_1)
	v_add_co_ci_u32_e32 v22, vcc_lo, s11, v20, vcc_lo
	global_load_b128 v[17:20], v[17:18], off
	global_load_b64 v[45:46], v[21:22], off
	v_lshlrev_b64 v[21:22], 3, v[12:13]
	v_add_nc_u32_e32 v12, 1, v41
	v_lshlrev_b64 v[23:24], 3, v[12:13]
	s_delay_alu instid0(VALU_DEP_3) | instskip(NEXT) | instid1(VALU_DEP_4)
	v_add_co_u32 v21, vcc_lo, s8, v21
	v_add_co_ci_u32_e32 v22, vcc_lo, s9, v22, vcc_lo
	v_add_nc_u32_e32 v12, -8, v11
	s_delay_alu instid0(VALU_DEP_4)
	v_add_co_u32 v25, vcc_lo, s10, v23
	v_add_co_ci_u32_e32 v26, vcc_lo, s11, v24, vcc_lo
	global_load_b128 v[21:24], v[21:22], off
	global_load_b64 v[47:48], v[25:26], off
	v_lshlrev_b64 v[25:26], 3, v[12:13]
	v_add_nc_u32_e32 v12, 2, v41
	s_delay_alu instid0(VALU_DEP_1) | instskip(NEXT) | instid1(VALU_DEP_3)
	v_lshlrev_b64 v[27:28], 3, v[12:13]
	v_add_co_u32 v25, vcc_lo, s8, v25
	s_delay_alu instid0(VALU_DEP_4) | instskip(SKIP_1) | instid1(VALU_DEP_4)
	v_add_co_ci_u32_e32 v26, vcc_lo, s9, v26, vcc_lo
	v_add_nc_u32_e32 v12, -6, v11
	v_add_co_u32 v29, vcc_lo, s10, v27
	v_add_co_ci_u32_e32 v30, vcc_lo, s11, v28, vcc_lo
	global_load_b128 v[25:28], v[25:26], off
	global_load_b64 v[49:50], v[29:30], off
	v_lshlrev_b64 v[29:30], 3, v[12:13]
	v_add_nc_u32_e32 v12, 3, v41
	s_delay_alu instid0(VALU_DEP_1) | instskip(NEXT) | instid1(VALU_DEP_3)
	v_lshlrev_b64 v[31:32], 3, v[12:13]
	v_add_co_u32 v29, vcc_lo, s8, v29
	s_delay_alu instid0(VALU_DEP_4) | instskip(SKIP_1) | instid1(VALU_DEP_4)
	v_add_co_ci_u32_e32 v30, vcc_lo, s9, v30, vcc_lo
	v_add_nc_u32_e32 v12, -4, v11
	;; [unrolled: 12-line block ×3, first 2 shown]
	v_add_co_u32 v37, vcc_lo, s10, v35
	v_add_co_ci_u32_e32 v38, vcc_lo, s11, v36, vcc_lo
	global_load_b128 v[33:36], v[33:34], off
	global_load_b64 v[53:54], v[37:38], off
	v_lshlrev_b64 v[37:38], 3, v[12:13]
	v_add_nc_u32_e32 v12, 5, v41
	s_delay_alu instid0(VALU_DEP_1) | instskip(NEXT) | instid1(VALU_DEP_3)
	v_lshlrev_b64 v[39:40], 3, v[12:13]
	v_add_co_u32 v37, vcc_lo, s8, v37
	s_delay_alu instid0(VALU_DEP_4) | instskip(SKIP_1) | instid1(VALU_DEP_4)
	v_add_co_ci_u32_e32 v38, vcc_lo, s9, v38, vcc_lo
	v_mov_b32_e32 v12, v13
	v_add_co_u32 v42, vcc_lo, s10, v39
	v_add_co_ci_u32_e32 v43, vcc_lo, s11, v40, vcc_lo
	global_load_b128 v[37:40], v[37:38], off
	global_load_b64 v[55:56], v[42:43], off
	v_lshlrev_b64 v[42:43], 3, v[11:12]
	v_add_nc_u32_e32 v11, 0x1c0, v11
	v_add_nc_u32_e32 v12, 6, v41
	s_delay_alu instid0(VALU_DEP_3) | instskip(NEXT) | instid1(VALU_DEP_2)
	v_add_co_u32 v41, vcc_lo, s8, v42
	v_lshlrev_b64 v[57:58], 3, v[12:13]
	v_add_co_ci_u32_e32 v42, vcc_lo, s9, v43, vcc_lo
	s_delay_alu instid0(VALU_DEP_2) | instskip(NEXT) | instid1(VALU_DEP_3)
	v_add_co_u32 v57, vcc_lo, s10, v57
	v_add_co_ci_u32_e32 v58, vcc_lo, s11, v58, vcc_lo
	global_load_b128 v[41:44], v[41:42], off
	global_load_b64 v[57:58], v[57:58], off
	v_cmp_ge_i32_e32 vcc_lo, v14, v16
	s_or_b32 s4, vcc_lo, s4
	s_waitcnt vmcnt(12)
	v_fma_f64 v[6:7], v[17:18], v[45:46], v[6:7]
	v_fma_f64 v[8:9], v[19:20], v[45:46], v[8:9]
	s_waitcnt vmcnt(10)
	s_delay_alu instid0(VALU_DEP_2) | instskip(NEXT) | instid1(VALU_DEP_2)
	v_fma_f64 v[6:7], v[21:22], v[47:48], v[6:7]
	v_fma_f64 v[8:9], v[23:24], v[47:48], v[8:9]
	s_waitcnt vmcnt(8)
	s_delay_alu instid0(VALU_DEP_2) | instskip(NEXT) | instid1(VALU_DEP_2)
	;; [unrolled: 4-line block ×6, first 2 shown]
	v_fma_f64 v[6:7], v[41:42], v[57:58], v[6:7]
	v_fma_f64 v[8:9], v[43:44], v[57:58], v[8:9]
	s_and_not1_b32 exec_lo, exec_lo, s4
	s_cbranch_execnz .LBB104_9
; %bb.10:
	s_or_b32 exec_lo, exec_lo, s4
.LBB104_11:
	s_delay_alu instid0(SALU_CYCLE_1)
	s_or_b32 exec_lo, exec_lo, s3
	s_cbranch_execz .LBB104_13
	s_branch .LBB104_18
.LBB104_12:
                                        ; implicit-def: $vgpr6_vgpr7
                                        ; implicit-def: $vgpr8_vgpr9
.LBB104_13:
	v_mov_b32_e32 v6, 0
	v_mov_b32_e32 v7, 0
	s_delay_alu instid0(VALU_DEP_1)
	v_dual_mov_b32 v9, v7 :: v_dual_mov_b32 v8, v6
	s_and_saveexec_b32 s3, s2
	s_cbranch_execz .LBB104_17
; %bb.14:
	v_mov_b32_e32 v6, 0
	v_dual_mov_b32 v7, 0 :: v_dual_mov_b32 v14, 0
	v_mad_u64_u32 v[12:13], null, v10, 14, 13
	s_mov_b32 s2, 0
	s_delay_alu instid0(VALU_DEP_2)
	v_dual_mov_b32 v9, v7 :: v_dual_mov_b32 v8, v6
.LBB104_15:                             ; =>This Inner Loop Header: Depth=1
	v_ashrrev_i32_e32 v11, 31, v10
	s_delay_alu instid0(VALU_DEP_3) | instskip(NEXT) | instid1(VALU_DEP_2)
	v_dual_mov_b32 v22, v14 :: v_dual_add_nc_u32 v13, -13, v12
	v_lshlrev_b64 v[17:18], 2, v[10:11]
	v_add_nc_u32_e32 v10, 32, v10
	s_delay_alu instid0(VALU_DEP_2) | instskip(NEXT) | instid1(VALU_DEP_3)
	v_add_co_u32 v17, vcc_lo, s6, v17
	v_add_co_ci_u32_e32 v18, vcc_lo, s7, v18, vcc_lo
	global_load_b32 v11, v[17:18], off
	v_dual_mov_b32 v18, v14 :: v_dual_add_nc_u32 v17, -6, v12
	v_lshlrev_b64 v[19:20], 3, v[13:14]
	s_delay_alu instid0(VALU_DEP_2) | instskip(NEXT) | instid1(VALU_DEP_2)
	v_lshlrev_b64 v[17:18], 3, v[17:18]
	v_add_co_u32 v19, vcc_lo, s8, v19
	s_delay_alu instid0(VALU_DEP_3) | instskip(NEXT) | instid1(VALU_DEP_3)
	v_add_co_ci_u32_e32 v20, vcc_lo, s9, v20, vcc_lo
	v_add_co_u32 v23, vcc_lo, s8, v17
	s_delay_alu instid0(VALU_DEP_4) | instskip(SKIP_2) | instid1(VALU_DEP_1)
	v_add_co_ci_u32_e32 v24, vcc_lo, s9, v18, vcc_lo
	s_waitcnt vmcnt(0)
	v_subrev_nc_u32_e32 v11, s12, v11
	v_mul_lo_u32 v21, v11, 7
	s_delay_alu instid0(VALU_DEP_1) | instskip(SKIP_1) | instid1(VALU_DEP_2)
	v_lshlrev_b64 v[25:26], 3, v[21:22]
	v_add_nc_u32_e32 v13, 1, v21
	v_add_co_u32 v25, vcc_lo, s10, v25
	s_delay_alu instid0(VALU_DEP_3)
	v_add_co_ci_u32_e32 v26, vcc_lo, s11, v26, vcc_lo
	s_clause 0x1
	global_load_b128 v[17:20], v[19:20], off
	global_load_b64 v[22:23], v[23:24], off
	global_load_b64 v[24:25], v[25:26], off
	v_lshlrev_b64 v[26:27], 3, v[13:14]
	v_add_nc_u32_e32 v13, -5, v12
	s_delay_alu instid0(VALU_DEP_1) | instskip(NEXT) | instid1(VALU_DEP_3)
	v_lshlrev_b64 v[28:29], 3, v[13:14]
	v_add_co_u32 v26, vcc_lo, s10, v26
	s_delay_alu instid0(VALU_DEP_4) | instskip(SKIP_1) | instid1(VALU_DEP_4)
	v_add_co_ci_u32_e32 v27, vcc_lo, s11, v27, vcc_lo
	v_add_nc_u32_e32 v13, -11, v12
	v_add_co_u32 v28, vcc_lo, s8, v28
	v_add_co_ci_u32_e32 v29, vcc_lo, s9, v29, vcc_lo
	global_load_b64 v[26:27], v[26:27], off
	global_load_b64 v[28:29], v[28:29], off
	v_lshlrev_b64 v[30:31], 3, v[13:14]
	v_add_nc_u32_e32 v13, 2, v21
	s_delay_alu instid0(VALU_DEP_1) | instskip(SKIP_1) | instid1(VALU_DEP_4)
	v_lshlrev_b64 v[32:33], 3, v[13:14]
	v_add_nc_u32_e32 v13, -4, v12
	v_add_co_u32 v30, vcc_lo, s8, v30
	v_add_co_ci_u32_e32 v31, vcc_lo, s9, v31, vcc_lo
	s_delay_alu instid0(VALU_DEP_3) | instskip(SKIP_3) | instid1(VALU_DEP_4)
	v_lshlrev_b64 v[34:35], 3, v[13:14]
	v_add_co_u32 v32, vcc_lo, s10, v32
	v_add_co_ci_u32_e32 v33, vcc_lo, s11, v33, vcc_lo
	v_add_nc_u32_e32 v13, -10, v12
	v_add_co_u32 v34, vcc_lo, s8, v34
	v_add_co_ci_u32_e32 v35, vcc_lo, s9, v35, vcc_lo
	global_load_b64 v[30:31], v[30:31], off
	global_load_b64 v[32:33], v[32:33], off
	global_load_b64 v[34:35], v[34:35], off
	v_lshlrev_b64 v[36:37], 3, v[13:14]
	v_add_nc_u32_e32 v13, 3, v21
	s_delay_alu instid0(VALU_DEP_1) | instskip(SKIP_1) | instid1(VALU_DEP_4)
	v_lshlrev_b64 v[38:39], 3, v[13:14]
	v_add_nc_u32_e32 v13, -3, v12
	v_add_co_u32 v36, vcc_lo, s8, v36
	v_add_co_ci_u32_e32 v37, vcc_lo, s9, v37, vcc_lo
	s_delay_alu instid0(VALU_DEP_3) | instskip(SKIP_3) | instid1(VALU_DEP_4)
	v_lshlrev_b64 v[40:41], 3, v[13:14]
	v_add_co_u32 v38, vcc_lo, s10, v38
	v_add_co_ci_u32_e32 v39, vcc_lo, s11, v39, vcc_lo
	v_add_nc_u32_e32 v13, -9, v12
	v_add_co_u32 v40, vcc_lo, s8, v40
	v_add_co_ci_u32_e32 v41, vcc_lo, s9, v41, vcc_lo
	global_load_b64 v[36:37], v[36:37], off
	;; [unrolled: 17-line block ×3, first 2 shown]
	global_load_b64 v[44:45], v[44:45], off
	global_load_b64 v[46:47], v[46:47], off
	v_lshlrev_b64 v[48:49], 3, v[13:14]
	v_add_nc_u32_e32 v13, 5, v21
	s_delay_alu instid0(VALU_DEP_1) | instskip(SKIP_1) | instid1(VALU_DEP_4)
	v_lshlrev_b64 v[50:51], 3, v[13:14]
	v_add_nc_u32_e32 v13, -1, v12
	v_add_co_u32 v48, vcc_lo, s8, v48
	v_add_co_ci_u32_e32 v49, vcc_lo, s9, v49, vcc_lo
	s_delay_alu instid0(VALU_DEP_3) | instskip(SKIP_3) | instid1(VALU_DEP_4)
	v_lshlrev_b64 v[52:53], 3, v[13:14]
	v_add_co_u32 v50, vcc_lo, s10, v50
	v_add_co_ci_u32_e32 v51, vcc_lo, s11, v51, vcc_lo
	v_mov_b32_e32 v13, v14
	v_add_co_u32 v52, vcc_lo, s8, v52
	v_add_co_ci_u32_e32 v53, vcc_lo, s9, v53, vcc_lo
	global_load_b64 v[48:49], v[48:49], off
	global_load_b64 v[50:51], v[50:51], off
	;; [unrolled: 1-line block ×3, first 2 shown]
	v_lshlrev_b64 v[54:55], 3, v[12:13]
	v_add_nc_u32_e32 v13, -7, v12
	v_add_nc_u32_e32 v12, 0x1c0, v12
	s_delay_alu instid0(VALU_DEP_2) | instskip(SKIP_3) | instid1(VALU_DEP_3)
	v_lshlrev_b64 v[56:57], 3, v[13:14]
	v_add_nc_u32_e32 v13, 6, v21
	v_add_co_u32 v54, vcc_lo, s8, v54
	v_add_co_ci_u32_e32 v55, vcc_lo, s9, v55, vcc_lo
	v_lshlrev_b64 v[58:59], 3, v[13:14]
	v_add_co_u32 v56, vcc_lo, s8, v56
	v_add_co_ci_u32_e32 v57, vcc_lo, s9, v57, vcc_lo
	s_delay_alu instid0(VALU_DEP_3) | instskip(NEXT) | instid1(VALU_DEP_4)
	v_add_co_u32 v58, vcc_lo, s10, v58
	v_add_co_ci_u32_e32 v59, vcc_lo, s11, v59, vcc_lo
	s_clause 0x1
	global_load_b64 v[54:55], v[54:55], off
	global_load_b64 v[56:57], v[56:57], off
	;; [unrolled: 1-line block ×3, first 2 shown]
	v_cmp_ge_i32_e32 vcc_lo, v10, v16
	s_or_b32 s2, vcc_lo, s2
	s_waitcnt vmcnt(17)
	v_fma_f64 v[6:7], v[17:18], v[24:25], v[6:7]
	v_fma_f64 v[8:9], v[22:23], v[24:25], v[8:9]
	s_waitcnt vmcnt(16)
	s_delay_alu instid0(VALU_DEP_2) | instskip(SKIP_1) | instid1(VALU_DEP_2)
	v_fma_f64 v[6:7], v[19:20], v[26:27], v[6:7]
	s_waitcnt vmcnt(15)
	v_fma_f64 v[8:9], v[28:29], v[26:27], v[8:9]
	s_waitcnt vmcnt(13)
	s_delay_alu instid0(VALU_DEP_2) | instskip(SKIP_1) | instid1(VALU_DEP_2)
	v_fma_f64 v[6:7], v[30:31], v[32:33], v[6:7]
	s_waitcnt vmcnt(12)
	v_fma_f64 v[8:9], v[34:35], v[32:33], v[8:9]
	s_waitcnt vmcnt(10)
	s_delay_alu instid0(VALU_DEP_2) | instskip(SKIP_1) | instid1(VALU_DEP_2)
	v_fma_f64 v[6:7], v[36:37], v[38:39], v[6:7]
	s_waitcnt vmcnt(9)
	v_fma_f64 v[8:9], v[40:41], v[38:39], v[8:9]
	s_waitcnt vmcnt(7)
	s_delay_alu instid0(VALU_DEP_2) | instskip(SKIP_1) | instid1(VALU_DEP_2)
	v_fma_f64 v[6:7], v[42:43], v[44:45], v[6:7]
	s_waitcnt vmcnt(6)
	v_fma_f64 v[8:9], v[46:47], v[44:45], v[8:9]
	s_waitcnt vmcnt(4)
	s_delay_alu instid0(VALU_DEP_2) | instskip(SKIP_1) | instid1(VALU_DEP_2)
	v_fma_f64 v[6:7], v[48:49], v[50:51], v[6:7]
	s_waitcnt vmcnt(3)
	v_fma_f64 v[8:9], v[52:53], v[50:51], v[8:9]
	s_waitcnt vmcnt(0)
	s_delay_alu instid0(VALU_DEP_2) | instskip(NEXT) | instid1(VALU_DEP_2)
	v_fma_f64 v[6:7], v[56:57], v[58:59], v[6:7]
	v_fma_f64 v[8:9], v[54:55], v[58:59], v[8:9]
	s_and_not1_b32 exec_lo, exec_lo, s2
	s_cbranch_execnz .LBB104_15
; %bb.16:
	s_or_b32 exec_lo, exec_lo, s2
.LBB104_17:
	s_delay_alu instid0(SALU_CYCLE_1)
	s_or_b32 exec_lo, exec_lo, s3
.LBB104_18:
	v_mbcnt_lo_u32_b32 v14, -1, 0
	s_delay_alu instid0(VALU_DEP_1) | instskip(NEXT) | instid1(VALU_DEP_1)
	v_xor_b32_e32 v10, 16, v14
	v_cmp_gt_i32_e32 vcc_lo, 32, v10
	v_cndmask_b32_e32 v10, v14, v10, vcc_lo
	s_delay_alu instid0(VALU_DEP_1)
	v_lshlrev_b32_e32 v13, 2, v10
	ds_bpermute_b32 v10, v13, v6
	ds_bpermute_b32 v11, v13, v7
	ds_bpermute_b32 v12, v13, v8
	ds_bpermute_b32 v13, v13, v9
	s_waitcnt lgkmcnt(2)
	v_add_f64 v[6:7], v[6:7], v[10:11]
	v_xor_b32_e32 v10, 8, v14
	s_waitcnt lgkmcnt(0)
	v_add_f64 v[8:9], v[8:9], v[12:13]
	s_delay_alu instid0(VALU_DEP_2) | instskip(SKIP_1) | instid1(VALU_DEP_1)
	v_cmp_gt_i32_e32 vcc_lo, 32, v10
	v_cndmask_b32_e32 v10, v14, v10, vcc_lo
	v_lshlrev_b32_e32 v13, 2, v10
	ds_bpermute_b32 v10, v13, v6
	ds_bpermute_b32 v11, v13, v7
	ds_bpermute_b32 v12, v13, v8
	ds_bpermute_b32 v13, v13, v9
	s_waitcnt lgkmcnt(2)
	v_add_f64 v[6:7], v[6:7], v[10:11]
	v_xor_b32_e32 v10, 4, v14
	s_waitcnt lgkmcnt(0)
	v_add_f64 v[8:9], v[8:9], v[12:13]
	s_delay_alu instid0(VALU_DEP_2) | instskip(SKIP_1) | instid1(VALU_DEP_1)
	v_cmp_gt_i32_e32 vcc_lo, 32, v10
	v_cndmask_b32_e32 v10, v14, v10, vcc_lo
	;; [unrolled: 13-line block ×3, first 2 shown]
	v_lshlrev_b32_e32 v13, 2, v10
	ds_bpermute_b32 v10, v13, v6
	ds_bpermute_b32 v11, v13, v7
	;; [unrolled: 1-line block ×4, first 2 shown]
	s_waitcnt lgkmcnt(2)
	v_add_f64 v[6:7], v[6:7], v[10:11]
	s_waitcnt lgkmcnt(0)
	v_add_f64 v[10:11], v[8:9], v[12:13]
	v_xor_b32_e32 v8, 1, v14
	s_delay_alu instid0(VALU_DEP_1) | instskip(SKIP_2) | instid1(VALU_DEP_2)
	v_cmp_gt_i32_e32 vcc_lo, 32, v8
	v_cndmask_b32_e32 v8, v14, v8, vcc_lo
	v_cmp_eq_u32_e32 vcc_lo, 31, v0
	v_lshlrev_b32_e32 v13, 2, v8
	ds_bpermute_b32 v8, v13, v6
	ds_bpermute_b32 v9, v13, v7
	;; [unrolled: 1-line block ×4, first 2 shown]
	s_and_b32 exec_lo, exec_lo, vcc_lo
	s_cbranch_execz .LBB104_23
; %bb.19:
	s_waitcnt lgkmcnt(2)
	v_add_f64 v[8:9], v[6:7], v[8:9]
	s_waitcnt lgkmcnt(0)
	v_add_f64 v[6:7], v[10:11], v[12:13]
	s_load_b64 s[0:1], s[0:1], 0x38
	s_mov_b32 s2, exec_lo
	v_cmpx_eq_f64_e32 0, v[3:4]
	s_xor_b32 s2, exec_lo, s2
	s_cbranch_execz .LBB104_21
; %bb.20:
	s_delay_alu instid0(VALU_DEP_3) | instskip(NEXT) | instid1(VALU_DEP_3)
	v_mul_f64 v[8:9], v[1:2], v[8:9]
	v_mul_f64 v[10:11], v[1:2], v[6:7]
	v_lshlrev_b32_e32 v0, 1, v5
                                        ; implicit-def: $vgpr5
                                        ; implicit-def: $vgpr3_vgpr4
                                        ; implicit-def: $vgpr6_vgpr7
	s_delay_alu instid0(VALU_DEP_1) | instskip(NEXT) | instid1(VALU_DEP_1)
	v_ashrrev_i32_e32 v1, 31, v0
	v_lshlrev_b64 v[0:1], 3, v[0:1]
	s_waitcnt lgkmcnt(0)
	s_delay_alu instid0(VALU_DEP_1) | instskip(NEXT) | instid1(VALU_DEP_2)
	v_add_co_u32 v0, vcc_lo, s0, v0
	v_add_co_ci_u32_e32 v1, vcc_lo, s1, v1, vcc_lo
	global_store_b128 v[0:1], v[8:11], off
                                        ; implicit-def: $vgpr1_vgpr2
                                        ; implicit-def: $vgpr8_vgpr9
.LBB104_21:
	s_and_not1_saveexec_b32 s2, s2
	s_cbranch_execz .LBB104_23
; %bb.22:
	v_lshlrev_b32_e32 v10, 1, v5
	s_delay_alu instid0(VALU_DEP_4) | instskip(NEXT) | instid1(VALU_DEP_4)
	v_mul_f64 v[8:9], v[1:2], v[8:9]
	v_mul_f64 v[5:6], v[1:2], v[6:7]
	s_delay_alu instid0(VALU_DEP_3) | instskip(NEXT) | instid1(VALU_DEP_1)
	v_ashrrev_i32_e32 v11, 31, v10
	v_lshlrev_b64 v[10:11], 3, v[10:11]
	s_waitcnt lgkmcnt(0)
	s_delay_alu instid0(VALU_DEP_1) | instskip(NEXT) | instid1(VALU_DEP_2)
	v_add_co_u32 v14, vcc_lo, s0, v10
	v_add_co_ci_u32_e32 v15, vcc_lo, s1, v11, vcc_lo
	global_load_b128 v[10:13], v[14:15], off
	s_waitcnt vmcnt(0)
	v_fma_f64 v[0:1], v[3:4], v[10:11], v[8:9]
	v_fma_f64 v[2:3], v[3:4], v[12:13], v[5:6]
	global_store_b128 v[14:15], v[0:3], off
.LBB104_23:
	s_nop 0
	s_sendmsg sendmsg(MSG_DEALLOC_VGPRS)
	s_endpgm
	.section	.rodata,"a",@progbits
	.p2align	6, 0x0
	.amdhsa_kernel _ZN9rocsparseL19gebsrmvn_2xn_kernelILj128ELj7ELj32EdEEvi20rocsparse_direction_NS_24const_host_device_scalarIT2_EEPKiS6_PKS3_S8_S4_PS3_21rocsparse_index_base_b
		.amdhsa_group_segment_fixed_size 0
		.amdhsa_private_segment_fixed_size 0
		.amdhsa_kernarg_size 72
		.amdhsa_user_sgpr_count 15
		.amdhsa_user_sgpr_dispatch_ptr 0
		.amdhsa_user_sgpr_queue_ptr 0
		.amdhsa_user_sgpr_kernarg_segment_ptr 1
		.amdhsa_user_sgpr_dispatch_id 0
		.amdhsa_user_sgpr_private_segment_size 0
		.amdhsa_wavefront_size32 1
		.amdhsa_uses_dynamic_stack 0
		.amdhsa_enable_private_segment 0
		.amdhsa_system_sgpr_workgroup_id_x 1
		.amdhsa_system_sgpr_workgroup_id_y 0
		.amdhsa_system_sgpr_workgroup_id_z 0
		.amdhsa_system_sgpr_workgroup_info 0
		.amdhsa_system_vgpr_workitem_id 0
		.amdhsa_next_free_vgpr 60
		.amdhsa_next_free_sgpr 16
		.amdhsa_reserve_vcc 1
		.amdhsa_float_round_mode_32 0
		.amdhsa_float_round_mode_16_64 0
		.amdhsa_float_denorm_mode_32 3
		.amdhsa_float_denorm_mode_16_64 3
		.amdhsa_dx10_clamp 1
		.amdhsa_ieee_mode 1
		.amdhsa_fp16_overflow 0
		.amdhsa_workgroup_processor_mode 1
		.amdhsa_memory_ordered 1
		.amdhsa_forward_progress 0
		.amdhsa_shared_vgpr_count 0
		.amdhsa_exception_fp_ieee_invalid_op 0
		.amdhsa_exception_fp_denorm_src 0
		.amdhsa_exception_fp_ieee_div_zero 0
		.amdhsa_exception_fp_ieee_overflow 0
		.amdhsa_exception_fp_ieee_underflow 0
		.amdhsa_exception_fp_ieee_inexact 0
		.amdhsa_exception_int_div_zero 0
	.end_amdhsa_kernel
	.section	.text._ZN9rocsparseL19gebsrmvn_2xn_kernelILj128ELj7ELj32EdEEvi20rocsparse_direction_NS_24const_host_device_scalarIT2_EEPKiS6_PKS3_S8_S4_PS3_21rocsparse_index_base_b,"axG",@progbits,_ZN9rocsparseL19gebsrmvn_2xn_kernelILj128ELj7ELj32EdEEvi20rocsparse_direction_NS_24const_host_device_scalarIT2_EEPKiS6_PKS3_S8_S4_PS3_21rocsparse_index_base_b,comdat
.Lfunc_end104:
	.size	_ZN9rocsparseL19gebsrmvn_2xn_kernelILj128ELj7ELj32EdEEvi20rocsparse_direction_NS_24const_host_device_scalarIT2_EEPKiS6_PKS3_S8_S4_PS3_21rocsparse_index_base_b, .Lfunc_end104-_ZN9rocsparseL19gebsrmvn_2xn_kernelILj128ELj7ELj32EdEEvi20rocsparse_direction_NS_24const_host_device_scalarIT2_EEPKiS6_PKS3_S8_S4_PS3_21rocsparse_index_base_b
                                        ; -- End function
	.section	.AMDGPU.csdata,"",@progbits
; Kernel info:
; codeLenInByte = 2800
; NumSgprs: 18
; NumVgprs: 60
; ScratchSize: 0
; MemoryBound: 0
; FloatMode: 240
; IeeeMode: 1
; LDSByteSize: 0 bytes/workgroup (compile time only)
; SGPRBlocks: 2
; VGPRBlocks: 7
; NumSGPRsForWavesPerEU: 18
; NumVGPRsForWavesPerEU: 60
; Occupancy: 16
; WaveLimiterHint : 1
; COMPUTE_PGM_RSRC2:SCRATCH_EN: 0
; COMPUTE_PGM_RSRC2:USER_SGPR: 15
; COMPUTE_PGM_RSRC2:TRAP_HANDLER: 0
; COMPUTE_PGM_RSRC2:TGID_X_EN: 1
; COMPUTE_PGM_RSRC2:TGID_Y_EN: 0
; COMPUTE_PGM_RSRC2:TGID_Z_EN: 0
; COMPUTE_PGM_RSRC2:TIDIG_COMP_CNT: 0
	.section	.text._ZN9rocsparseL19gebsrmvn_2xn_kernelILj128ELj7ELj64EdEEvi20rocsparse_direction_NS_24const_host_device_scalarIT2_EEPKiS6_PKS3_S8_S4_PS3_21rocsparse_index_base_b,"axG",@progbits,_ZN9rocsparseL19gebsrmvn_2xn_kernelILj128ELj7ELj64EdEEvi20rocsparse_direction_NS_24const_host_device_scalarIT2_EEPKiS6_PKS3_S8_S4_PS3_21rocsparse_index_base_b,comdat
	.globl	_ZN9rocsparseL19gebsrmvn_2xn_kernelILj128ELj7ELj64EdEEvi20rocsparse_direction_NS_24const_host_device_scalarIT2_EEPKiS6_PKS3_S8_S4_PS3_21rocsparse_index_base_b ; -- Begin function _ZN9rocsparseL19gebsrmvn_2xn_kernelILj128ELj7ELj64EdEEvi20rocsparse_direction_NS_24const_host_device_scalarIT2_EEPKiS6_PKS3_S8_S4_PS3_21rocsparse_index_base_b
	.p2align	8
	.type	_ZN9rocsparseL19gebsrmvn_2xn_kernelILj128ELj7ELj64EdEEvi20rocsparse_direction_NS_24const_host_device_scalarIT2_EEPKiS6_PKS3_S8_S4_PS3_21rocsparse_index_base_b,@function
_ZN9rocsparseL19gebsrmvn_2xn_kernelILj128ELj7ELj64EdEEvi20rocsparse_direction_NS_24const_host_device_scalarIT2_EEPKiS6_PKS3_S8_S4_PS3_21rocsparse_index_base_b: ; @_ZN9rocsparseL19gebsrmvn_2xn_kernelILj128ELj7ELj64EdEEvi20rocsparse_direction_NS_24const_host_device_scalarIT2_EEPKiS6_PKS3_S8_S4_PS3_21rocsparse_index_base_b
; %bb.0:
	s_clause 0x2
	s_load_b64 s[12:13], s[0:1], 0x40
	s_load_b64 s[4:5], s[0:1], 0x8
	;; [unrolled: 1-line block ×3, first 2 shown]
	s_waitcnt lgkmcnt(0)
	s_bitcmp1_b32 s13, 0
	v_dual_mov_b32 v1, s4 :: v_dual_mov_b32 v2, s5
	s_cselect_b32 s6, -1, 0
	s_delay_alu instid0(SALU_CYCLE_1)
	s_and_b32 vcc_lo, exec_lo, s6
	s_xor_b32 s6, s6, -1
	s_cbranch_vccnz .LBB105_2
; %bb.1:
	v_dual_mov_b32 v1, s4 :: v_dual_mov_b32 v2, s5
	flat_load_b64 v[1:2], v[1:2]
.LBB105_2:
	v_dual_mov_b32 v4, s3 :: v_dual_mov_b32 v3, s2
	s_and_not1_b32 vcc_lo, exec_lo, s6
	s_cbranch_vccnz .LBB105_4
; %bb.3:
	v_dual_mov_b32 v4, s3 :: v_dual_mov_b32 v3, s2
	flat_load_b64 v[3:4], v[3:4]
.LBB105_4:
	s_waitcnt vmcnt(0) lgkmcnt(0)
	v_cmp_neq_f64_e32 vcc_lo, 0, v[1:2]
	v_cmp_neq_f64_e64 s2, 1.0, v[3:4]
	s_delay_alu instid0(VALU_DEP_1) | instskip(NEXT) | instid1(SALU_CYCLE_1)
	s_or_b32 s2, vcc_lo, s2
	s_and_saveexec_b32 s3, s2
	s_cbranch_execz .LBB105_23
; %bb.5:
	s_load_b64 s[2:3], s[0:1], 0x0
	v_lshrrev_b32_e32 v5, 6, v0
	s_delay_alu instid0(VALU_DEP_1) | instskip(SKIP_1) | instid1(VALU_DEP_1)
	v_lshl_or_b32 v5, s15, 1, v5
	s_waitcnt lgkmcnt(0)
	v_cmp_gt_i32_e32 vcc_lo, s2, v5
	s_and_b32 exec_lo, exec_lo, vcc_lo
	s_cbranch_execz .LBB105_23
; %bb.6:
	s_load_b256 s[4:11], s[0:1], 0x10
	v_ashrrev_i32_e32 v6, 31, v5
	v_and_b32_e32 v0, 63, v0
	s_cmp_lg_u32 s3, 0
	s_delay_alu instid0(VALU_DEP_2) | instskip(SKIP_1) | instid1(VALU_DEP_1)
	v_lshlrev_b64 v[6:7], 2, v[5:6]
	s_waitcnt lgkmcnt(0)
	v_add_co_u32 v6, vcc_lo, s4, v6
	s_delay_alu instid0(VALU_DEP_2) | instskip(SKIP_4) | instid1(VALU_DEP_2)
	v_add_co_ci_u32_e32 v7, vcc_lo, s5, v7, vcc_lo
	global_load_b64 v[6:7], v[6:7], off
	s_waitcnt vmcnt(0)
	v_subrev_nc_u32_e32 v6, s12, v6
	v_subrev_nc_u32_e32 v16, s12, v7
	v_add_nc_u32_e32 v10, v6, v0
	s_delay_alu instid0(VALU_DEP_1)
	v_cmp_lt_i32_e64 s2, v10, v16
	s_cbranch_scc0 .LBB105_12
; %bb.7:
	v_mov_b32_e32 v6, 0
	v_mov_b32_e32 v7, 0
	s_delay_alu instid0(VALU_DEP_1)
	v_dual_mov_b32 v9, v7 :: v_dual_mov_b32 v8, v6
	s_and_saveexec_b32 s3, s2
	s_cbranch_execz .LBB105_11
; %bb.8:
	v_dual_mov_b32 v6, 0 :: v_dual_mov_b32 v13, 0
	v_dual_mov_b32 v7, 0 :: v_dual_mov_b32 v14, v10
	v_mad_u64_u32 v[11:12], null, v10, 14, 12
	s_mov_b32 s4, 0
	s_delay_alu instid0(VALU_DEP_2)
	v_dual_mov_b32 v9, v7 :: v_dual_mov_b32 v8, v6
.LBB105_9:                              ; =>This Inner Loop Header: Depth=1
	s_delay_alu instid0(VALU_DEP_3) | instskip(NEXT) | instid1(VALU_DEP_3)
	v_ashrrev_i32_e32 v15, 31, v14
	v_add_nc_u32_e32 v12, -12, v11
	v_mov_b32_e32 v42, v13
	s_delay_alu instid0(VALU_DEP_3) | instskip(SKIP_1) | instid1(VALU_DEP_2)
	v_lshlrev_b64 v[17:18], 2, v[14:15]
	v_add_nc_u32_e32 v14, 64, v14
	v_add_co_u32 v17, vcc_lo, s6, v17
	s_delay_alu instid0(VALU_DEP_3) | instskip(SKIP_3) | instid1(VALU_DEP_2)
	v_add_co_ci_u32_e32 v18, vcc_lo, s7, v18, vcc_lo
	global_load_b32 v15, v[17:18], off
	v_lshlrev_b64 v[17:18], 3, v[12:13]
	v_add_nc_u32_e32 v12, -10, v11
	v_add_co_u32 v17, vcc_lo, s8, v17
	s_delay_alu instid0(VALU_DEP_3) | instskip(SKIP_2) | instid1(VALU_DEP_1)
	v_add_co_ci_u32_e32 v18, vcc_lo, s9, v18, vcc_lo
	s_waitcnt vmcnt(0)
	v_subrev_nc_u32_e32 v15, s12, v15
	v_mul_lo_u32 v41, v15, 7
	s_delay_alu instid0(VALU_DEP_1) | instskip(NEXT) | instid1(VALU_DEP_1)
	v_lshlrev_b64 v[19:20], 3, v[41:42]
	v_add_co_u32 v21, vcc_lo, s10, v19
	s_delay_alu instid0(VALU_DEP_2) | instskip(SKIP_4) | instid1(VALU_DEP_1)
	v_add_co_ci_u32_e32 v22, vcc_lo, s11, v20, vcc_lo
	global_load_b128 v[17:20], v[17:18], off
	global_load_b64 v[45:46], v[21:22], off
	v_lshlrev_b64 v[21:22], 3, v[12:13]
	v_add_nc_u32_e32 v12, 1, v41
	v_lshlrev_b64 v[23:24], 3, v[12:13]
	s_delay_alu instid0(VALU_DEP_3) | instskip(NEXT) | instid1(VALU_DEP_4)
	v_add_co_u32 v21, vcc_lo, s8, v21
	v_add_co_ci_u32_e32 v22, vcc_lo, s9, v22, vcc_lo
	v_add_nc_u32_e32 v12, -8, v11
	s_delay_alu instid0(VALU_DEP_4)
	v_add_co_u32 v25, vcc_lo, s10, v23
	v_add_co_ci_u32_e32 v26, vcc_lo, s11, v24, vcc_lo
	global_load_b128 v[21:24], v[21:22], off
	global_load_b64 v[47:48], v[25:26], off
	v_lshlrev_b64 v[25:26], 3, v[12:13]
	v_add_nc_u32_e32 v12, 2, v41
	s_delay_alu instid0(VALU_DEP_1) | instskip(NEXT) | instid1(VALU_DEP_3)
	v_lshlrev_b64 v[27:28], 3, v[12:13]
	v_add_co_u32 v25, vcc_lo, s8, v25
	s_delay_alu instid0(VALU_DEP_4) | instskip(SKIP_1) | instid1(VALU_DEP_4)
	v_add_co_ci_u32_e32 v26, vcc_lo, s9, v26, vcc_lo
	v_add_nc_u32_e32 v12, -6, v11
	v_add_co_u32 v29, vcc_lo, s10, v27
	v_add_co_ci_u32_e32 v30, vcc_lo, s11, v28, vcc_lo
	global_load_b128 v[25:28], v[25:26], off
	global_load_b64 v[49:50], v[29:30], off
	v_lshlrev_b64 v[29:30], 3, v[12:13]
	v_add_nc_u32_e32 v12, 3, v41
	s_delay_alu instid0(VALU_DEP_1) | instskip(NEXT) | instid1(VALU_DEP_3)
	v_lshlrev_b64 v[31:32], 3, v[12:13]
	v_add_co_u32 v29, vcc_lo, s8, v29
	s_delay_alu instid0(VALU_DEP_4) | instskip(SKIP_1) | instid1(VALU_DEP_4)
	v_add_co_ci_u32_e32 v30, vcc_lo, s9, v30, vcc_lo
	v_add_nc_u32_e32 v12, -4, v11
	;; [unrolled: 12-line block ×3, first 2 shown]
	v_add_co_u32 v37, vcc_lo, s10, v35
	v_add_co_ci_u32_e32 v38, vcc_lo, s11, v36, vcc_lo
	global_load_b128 v[33:36], v[33:34], off
	global_load_b64 v[53:54], v[37:38], off
	v_lshlrev_b64 v[37:38], 3, v[12:13]
	v_add_nc_u32_e32 v12, 5, v41
	s_delay_alu instid0(VALU_DEP_1) | instskip(NEXT) | instid1(VALU_DEP_3)
	v_lshlrev_b64 v[39:40], 3, v[12:13]
	v_add_co_u32 v37, vcc_lo, s8, v37
	s_delay_alu instid0(VALU_DEP_4) | instskip(SKIP_1) | instid1(VALU_DEP_4)
	v_add_co_ci_u32_e32 v38, vcc_lo, s9, v38, vcc_lo
	v_mov_b32_e32 v12, v13
	v_add_co_u32 v42, vcc_lo, s10, v39
	v_add_co_ci_u32_e32 v43, vcc_lo, s11, v40, vcc_lo
	global_load_b128 v[37:40], v[37:38], off
	global_load_b64 v[55:56], v[42:43], off
	v_lshlrev_b64 v[42:43], 3, v[11:12]
	v_add_nc_u32_e32 v11, 0x380, v11
	v_add_nc_u32_e32 v12, 6, v41
	s_delay_alu instid0(VALU_DEP_3) | instskip(NEXT) | instid1(VALU_DEP_2)
	v_add_co_u32 v41, vcc_lo, s8, v42
	v_lshlrev_b64 v[57:58], 3, v[12:13]
	v_add_co_ci_u32_e32 v42, vcc_lo, s9, v43, vcc_lo
	s_delay_alu instid0(VALU_DEP_2) | instskip(NEXT) | instid1(VALU_DEP_3)
	v_add_co_u32 v57, vcc_lo, s10, v57
	v_add_co_ci_u32_e32 v58, vcc_lo, s11, v58, vcc_lo
	global_load_b128 v[41:44], v[41:42], off
	global_load_b64 v[57:58], v[57:58], off
	v_cmp_ge_i32_e32 vcc_lo, v14, v16
	s_or_b32 s4, vcc_lo, s4
	s_waitcnt vmcnt(12)
	v_fma_f64 v[6:7], v[17:18], v[45:46], v[6:7]
	v_fma_f64 v[8:9], v[19:20], v[45:46], v[8:9]
	s_waitcnt vmcnt(10)
	s_delay_alu instid0(VALU_DEP_2) | instskip(NEXT) | instid1(VALU_DEP_2)
	v_fma_f64 v[6:7], v[21:22], v[47:48], v[6:7]
	v_fma_f64 v[8:9], v[23:24], v[47:48], v[8:9]
	s_waitcnt vmcnt(8)
	s_delay_alu instid0(VALU_DEP_2) | instskip(NEXT) | instid1(VALU_DEP_2)
	;; [unrolled: 4-line block ×6, first 2 shown]
	v_fma_f64 v[6:7], v[41:42], v[57:58], v[6:7]
	v_fma_f64 v[8:9], v[43:44], v[57:58], v[8:9]
	s_and_not1_b32 exec_lo, exec_lo, s4
	s_cbranch_execnz .LBB105_9
; %bb.10:
	s_or_b32 exec_lo, exec_lo, s4
.LBB105_11:
	s_delay_alu instid0(SALU_CYCLE_1)
	s_or_b32 exec_lo, exec_lo, s3
	s_cbranch_execz .LBB105_13
	s_branch .LBB105_18
.LBB105_12:
                                        ; implicit-def: $vgpr6_vgpr7
                                        ; implicit-def: $vgpr8_vgpr9
.LBB105_13:
	v_mov_b32_e32 v6, 0
	v_mov_b32_e32 v7, 0
	s_delay_alu instid0(VALU_DEP_1)
	v_dual_mov_b32 v9, v7 :: v_dual_mov_b32 v8, v6
	s_and_saveexec_b32 s3, s2
	s_cbranch_execz .LBB105_17
; %bb.14:
	v_mov_b32_e32 v6, 0
	v_dual_mov_b32 v7, 0 :: v_dual_mov_b32 v14, 0
	v_mad_u64_u32 v[12:13], null, v10, 14, 13
	s_mov_b32 s2, 0
	s_delay_alu instid0(VALU_DEP_2)
	v_dual_mov_b32 v9, v7 :: v_dual_mov_b32 v8, v6
.LBB105_15:                             ; =>This Inner Loop Header: Depth=1
	v_ashrrev_i32_e32 v11, 31, v10
	s_delay_alu instid0(VALU_DEP_3) | instskip(NEXT) | instid1(VALU_DEP_2)
	v_dual_mov_b32 v22, v14 :: v_dual_add_nc_u32 v13, -13, v12
	v_lshlrev_b64 v[17:18], 2, v[10:11]
	v_add_nc_u32_e32 v10, 64, v10
	s_delay_alu instid0(VALU_DEP_2) | instskip(NEXT) | instid1(VALU_DEP_3)
	v_add_co_u32 v17, vcc_lo, s6, v17
	v_add_co_ci_u32_e32 v18, vcc_lo, s7, v18, vcc_lo
	global_load_b32 v11, v[17:18], off
	v_dual_mov_b32 v18, v14 :: v_dual_add_nc_u32 v17, -6, v12
	v_lshlrev_b64 v[19:20], 3, v[13:14]
	s_delay_alu instid0(VALU_DEP_2) | instskip(NEXT) | instid1(VALU_DEP_2)
	v_lshlrev_b64 v[17:18], 3, v[17:18]
	v_add_co_u32 v19, vcc_lo, s8, v19
	s_delay_alu instid0(VALU_DEP_3) | instskip(NEXT) | instid1(VALU_DEP_3)
	v_add_co_ci_u32_e32 v20, vcc_lo, s9, v20, vcc_lo
	v_add_co_u32 v23, vcc_lo, s8, v17
	s_delay_alu instid0(VALU_DEP_4) | instskip(SKIP_2) | instid1(VALU_DEP_1)
	v_add_co_ci_u32_e32 v24, vcc_lo, s9, v18, vcc_lo
	s_waitcnt vmcnt(0)
	v_subrev_nc_u32_e32 v11, s12, v11
	v_mul_lo_u32 v21, v11, 7
	s_delay_alu instid0(VALU_DEP_1) | instskip(SKIP_1) | instid1(VALU_DEP_2)
	v_lshlrev_b64 v[25:26], 3, v[21:22]
	v_add_nc_u32_e32 v13, 1, v21
	v_add_co_u32 v25, vcc_lo, s10, v25
	s_delay_alu instid0(VALU_DEP_3)
	v_add_co_ci_u32_e32 v26, vcc_lo, s11, v26, vcc_lo
	s_clause 0x1
	global_load_b128 v[17:20], v[19:20], off
	global_load_b64 v[22:23], v[23:24], off
	global_load_b64 v[24:25], v[25:26], off
	v_lshlrev_b64 v[26:27], 3, v[13:14]
	v_add_nc_u32_e32 v13, -5, v12
	s_delay_alu instid0(VALU_DEP_1) | instskip(NEXT) | instid1(VALU_DEP_3)
	v_lshlrev_b64 v[28:29], 3, v[13:14]
	v_add_co_u32 v26, vcc_lo, s10, v26
	s_delay_alu instid0(VALU_DEP_4) | instskip(SKIP_1) | instid1(VALU_DEP_4)
	v_add_co_ci_u32_e32 v27, vcc_lo, s11, v27, vcc_lo
	v_add_nc_u32_e32 v13, -11, v12
	v_add_co_u32 v28, vcc_lo, s8, v28
	v_add_co_ci_u32_e32 v29, vcc_lo, s9, v29, vcc_lo
	global_load_b64 v[26:27], v[26:27], off
	global_load_b64 v[28:29], v[28:29], off
	v_lshlrev_b64 v[30:31], 3, v[13:14]
	v_add_nc_u32_e32 v13, 2, v21
	s_delay_alu instid0(VALU_DEP_1) | instskip(SKIP_1) | instid1(VALU_DEP_4)
	v_lshlrev_b64 v[32:33], 3, v[13:14]
	v_add_nc_u32_e32 v13, -4, v12
	v_add_co_u32 v30, vcc_lo, s8, v30
	v_add_co_ci_u32_e32 v31, vcc_lo, s9, v31, vcc_lo
	s_delay_alu instid0(VALU_DEP_3) | instskip(SKIP_3) | instid1(VALU_DEP_4)
	v_lshlrev_b64 v[34:35], 3, v[13:14]
	v_add_co_u32 v32, vcc_lo, s10, v32
	v_add_co_ci_u32_e32 v33, vcc_lo, s11, v33, vcc_lo
	v_add_nc_u32_e32 v13, -10, v12
	v_add_co_u32 v34, vcc_lo, s8, v34
	v_add_co_ci_u32_e32 v35, vcc_lo, s9, v35, vcc_lo
	global_load_b64 v[30:31], v[30:31], off
	global_load_b64 v[32:33], v[32:33], off
	global_load_b64 v[34:35], v[34:35], off
	v_lshlrev_b64 v[36:37], 3, v[13:14]
	v_add_nc_u32_e32 v13, 3, v21
	s_delay_alu instid0(VALU_DEP_1) | instskip(SKIP_1) | instid1(VALU_DEP_4)
	v_lshlrev_b64 v[38:39], 3, v[13:14]
	v_add_nc_u32_e32 v13, -3, v12
	v_add_co_u32 v36, vcc_lo, s8, v36
	v_add_co_ci_u32_e32 v37, vcc_lo, s9, v37, vcc_lo
	s_delay_alu instid0(VALU_DEP_3) | instskip(SKIP_3) | instid1(VALU_DEP_4)
	v_lshlrev_b64 v[40:41], 3, v[13:14]
	v_add_co_u32 v38, vcc_lo, s10, v38
	v_add_co_ci_u32_e32 v39, vcc_lo, s11, v39, vcc_lo
	v_add_nc_u32_e32 v13, -9, v12
	v_add_co_u32 v40, vcc_lo, s8, v40
	v_add_co_ci_u32_e32 v41, vcc_lo, s9, v41, vcc_lo
	global_load_b64 v[36:37], v[36:37], off
	;; [unrolled: 17-line block ×3, first 2 shown]
	global_load_b64 v[44:45], v[44:45], off
	global_load_b64 v[46:47], v[46:47], off
	v_lshlrev_b64 v[48:49], 3, v[13:14]
	v_add_nc_u32_e32 v13, 5, v21
	s_delay_alu instid0(VALU_DEP_1) | instskip(SKIP_1) | instid1(VALU_DEP_4)
	v_lshlrev_b64 v[50:51], 3, v[13:14]
	v_add_nc_u32_e32 v13, -1, v12
	v_add_co_u32 v48, vcc_lo, s8, v48
	v_add_co_ci_u32_e32 v49, vcc_lo, s9, v49, vcc_lo
	s_delay_alu instid0(VALU_DEP_3) | instskip(SKIP_3) | instid1(VALU_DEP_4)
	v_lshlrev_b64 v[52:53], 3, v[13:14]
	v_add_co_u32 v50, vcc_lo, s10, v50
	v_add_co_ci_u32_e32 v51, vcc_lo, s11, v51, vcc_lo
	v_mov_b32_e32 v13, v14
	v_add_co_u32 v52, vcc_lo, s8, v52
	v_add_co_ci_u32_e32 v53, vcc_lo, s9, v53, vcc_lo
	global_load_b64 v[48:49], v[48:49], off
	global_load_b64 v[50:51], v[50:51], off
	;; [unrolled: 1-line block ×3, first 2 shown]
	v_lshlrev_b64 v[54:55], 3, v[12:13]
	v_add_nc_u32_e32 v13, -7, v12
	v_add_nc_u32_e32 v12, 0x380, v12
	s_delay_alu instid0(VALU_DEP_2) | instskip(SKIP_3) | instid1(VALU_DEP_3)
	v_lshlrev_b64 v[56:57], 3, v[13:14]
	v_add_nc_u32_e32 v13, 6, v21
	v_add_co_u32 v54, vcc_lo, s8, v54
	v_add_co_ci_u32_e32 v55, vcc_lo, s9, v55, vcc_lo
	v_lshlrev_b64 v[58:59], 3, v[13:14]
	v_add_co_u32 v56, vcc_lo, s8, v56
	v_add_co_ci_u32_e32 v57, vcc_lo, s9, v57, vcc_lo
	s_delay_alu instid0(VALU_DEP_3) | instskip(NEXT) | instid1(VALU_DEP_4)
	v_add_co_u32 v58, vcc_lo, s10, v58
	v_add_co_ci_u32_e32 v59, vcc_lo, s11, v59, vcc_lo
	s_clause 0x1
	global_load_b64 v[54:55], v[54:55], off
	global_load_b64 v[56:57], v[56:57], off
	;; [unrolled: 1-line block ×3, first 2 shown]
	v_cmp_ge_i32_e32 vcc_lo, v10, v16
	s_or_b32 s2, vcc_lo, s2
	s_waitcnt vmcnt(17)
	v_fma_f64 v[6:7], v[17:18], v[24:25], v[6:7]
	v_fma_f64 v[8:9], v[22:23], v[24:25], v[8:9]
	s_waitcnt vmcnt(16)
	s_delay_alu instid0(VALU_DEP_2) | instskip(SKIP_1) | instid1(VALU_DEP_2)
	v_fma_f64 v[6:7], v[19:20], v[26:27], v[6:7]
	s_waitcnt vmcnt(15)
	v_fma_f64 v[8:9], v[28:29], v[26:27], v[8:9]
	s_waitcnt vmcnt(13)
	s_delay_alu instid0(VALU_DEP_2) | instskip(SKIP_1) | instid1(VALU_DEP_2)
	v_fma_f64 v[6:7], v[30:31], v[32:33], v[6:7]
	s_waitcnt vmcnt(12)
	;; [unrolled: 5-line block ×5, first 2 shown]
	v_fma_f64 v[8:9], v[52:53], v[50:51], v[8:9]
	s_waitcnt vmcnt(0)
	s_delay_alu instid0(VALU_DEP_2) | instskip(NEXT) | instid1(VALU_DEP_2)
	v_fma_f64 v[6:7], v[56:57], v[58:59], v[6:7]
	v_fma_f64 v[8:9], v[54:55], v[58:59], v[8:9]
	s_and_not1_b32 exec_lo, exec_lo, s2
	s_cbranch_execnz .LBB105_15
; %bb.16:
	s_or_b32 exec_lo, exec_lo, s2
.LBB105_17:
	s_delay_alu instid0(SALU_CYCLE_1)
	s_or_b32 exec_lo, exec_lo, s3
.LBB105_18:
	v_mbcnt_lo_u32_b32 v14, -1, 0
	s_delay_alu instid0(VALU_DEP_1) | instskip(NEXT) | instid1(VALU_DEP_1)
	v_or_b32_e32 v10, 32, v14
	v_cmp_gt_i32_e32 vcc_lo, 32, v10
	v_cndmask_b32_e32 v10, v14, v10, vcc_lo
	s_delay_alu instid0(VALU_DEP_1)
	v_lshlrev_b32_e32 v13, 2, v10
	ds_bpermute_b32 v10, v13, v6
	ds_bpermute_b32 v11, v13, v7
	ds_bpermute_b32 v12, v13, v8
	ds_bpermute_b32 v13, v13, v9
	s_waitcnt lgkmcnt(2)
	v_add_f64 v[6:7], v[6:7], v[10:11]
	v_xor_b32_e32 v10, 16, v14
	s_waitcnt lgkmcnt(0)
	v_add_f64 v[8:9], v[8:9], v[12:13]
	s_delay_alu instid0(VALU_DEP_2) | instskip(SKIP_1) | instid1(VALU_DEP_1)
	v_cmp_gt_i32_e32 vcc_lo, 32, v10
	v_cndmask_b32_e32 v10, v14, v10, vcc_lo
	v_lshlrev_b32_e32 v13, 2, v10
	ds_bpermute_b32 v10, v13, v6
	ds_bpermute_b32 v11, v13, v7
	ds_bpermute_b32 v12, v13, v8
	ds_bpermute_b32 v13, v13, v9
	s_waitcnt lgkmcnt(2)
	v_add_f64 v[6:7], v[6:7], v[10:11]
	v_xor_b32_e32 v10, 8, v14
	s_waitcnt lgkmcnt(0)
	v_add_f64 v[8:9], v[8:9], v[12:13]
	s_delay_alu instid0(VALU_DEP_2) | instskip(SKIP_1) | instid1(VALU_DEP_1)
	v_cmp_gt_i32_e32 vcc_lo, 32, v10
	v_cndmask_b32_e32 v10, v14, v10, vcc_lo
	;; [unrolled: 13-line block ×4, first 2 shown]
	v_lshlrev_b32_e32 v13, 2, v10
	ds_bpermute_b32 v10, v13, v6
	ds_bpermute_b32 v11, v13, v7
	;; [unrolled: 1-line block ×4, first 2 shown]
	s_waitcnt lgkmcnt(2)
	v_add_f64 v[6:7], v[6:7], v[10:11]
	s_waitcnt lgkmcnt(0)
	v_add_f64 v[10:11], v[8:9], v[12:13]
	v_xor_b32_e32 v8, 1, v14
	s_delay_alu instid0(VALU_DEP_1) | instskip(SKIP_2) | instid1(VALU_DEP_2)
	v_cmp_gt_i32_e32 vcc_lo, 32, v8
	v_cndmask_b32_e32 v8, v14, v8, vcc_lo
	v_cmp_eq_u32_e32 vcc_lo, 63, v0
	v_lshlrev_b32_e32 v13, 2, v8
	ds_bpermute_b32 v8, v13, v6
	ds_bpermute_b32 v9, v13, v7
	;; [unrolled: 1-line block ×4, first 2 shown]
	s_and_b32 exec_lo, exec_lo, vcc_lo
	s_cbranch_execz .LBB105_23
; %bb.19:
	s_waitcnt lgkmcnt(2)
	v_add_f64 v[8:9], v[6:7], v[8:9]
	s_waitcnt lgkmcnt(0)
	v_add_f64 v[6:7], v[10:11], v[12:13]
	s_load_b64 s[0:1], s[0:1], 0x38
	s_mov_b32 s2, exec_lo
	v_cmpx_eq_f64_e32 0, v[3:4]
	s_xor_b32 s2, exec_lo, s2
	s_cbranch_execz .LBB105_21
; %bb.20:
	s_delay_alu instid0(VALU_DEP_3) | instskip(NEXT) | instid1(VALU_DEP_3)
	v_mul_f64 v[8:9], v[1:2], v[8:9]
	v_mul_f64 v[10:11], v[1:2], v[6:7]
	v_lshlrev_b32_e32 v0, 1, v5
                                        ; implicit-def: $vgpr5
                                        ; implicit-def: $vgpr3_vgpr4
                                        ; implicit-def: $vgpr6_vgpr7
	s_delay_alu instid0(VALU_DEP_1) | instskip(NEXT) | instid1(VALU_DEP_1)
	v_ashrrev_i32_e32 v1, 31, v0
	v_lshlrev_b64 v[0:1], 3, v[0:1]
	s_waitcnt lgkmcnt(0)
	s_delay_alu instid0(VALU_DEP_1) | instskip(NEXT) | instid1(VALU_DEP_2)
	v_add_co_u32 v0, vcc_lo, s0, v0
	v_add_co_ci_u32_e32 v1, vcc_lo, s1, v1, vcc_lo
	global_store_b128 v[0:1], v[8:11], off
                                        ; implicit-def: $vgpr1_vgpr2
                                        ; implicit-def: $vgpr8_vgpr9
.LBB105_21:
	s_and_not1_saveexec_b32 s2, s2
	s_cbranch_execz .LBB105_23
; %bb.22:
	v_lshlrev_b32_e32 v10, 1, v5
	s_delay_alu instid0(VALU_DEP_4) | instskip(NEXT) | instid1(VALU_DEP_4)
	v_mul_f64 v[8:9], v[1:2], v[8:9]
	v_mul_f64 v[5:6], v[1:2], v[6:7]
	s_delay_alu instid0(VALU_DEP_3) | instskip(NEXT) | instid1(VALU_DEP_1)
	v_ashrrev_i32_e32 v11, 31, v10
	v_lshlrev_b64 v[10:11], 3, v[10:11]
	s_waitcnt lgkmcnt(0)
	s_delay_alu instid0(VALU_DEP_1) | instskip(NEXT) | instid1(VALU_DEP_2)
	v_add_co_u32 v14, vcc_lo, s0, v10
	v_add_co_ci_u32_e32 v15, vcc_lo, s1, v11, vcc_lo
	global_load_b128 v[10:13], v[14:15], off
	s_waitcnt vmcnt(0)
	v_fma_f64 v[0:1], v[3:4], v[10:11], v[8:9]
	v_fma_f64 v[2:3], v[3:4], v[12:13], v[5:6]
	global_store_b128 v[14:15], v[0:3], off
.LBB105_23:
	s_nop 0
	s_sendmsg sendmsg(MSG_DEALLOC_VGPRS)
	s_endpgm
	.section	.rodata,"a",@progbits
	.p2align	6, 0x0
	.amdhsa_kernel _ZN9rocsparseL19gebsrmvn_2xn_kernelILj128ELj7ELj64EdEEvi20rocsparse_direction_NS_24const_host_device_scalarIT2_EEPKiS6_PKS3_S8_S4_PS3_21rocsparse_index_base_b
		.amdhsa_group_segment_fixed_size 0
		.amdhsa_private_segment_fixed_size 0
		.amdhsa_kernarg_size 72
		.amdhsa_user_sgpr_count 15
		.amdhsa_user_sgpr_dispatch_ptr 0
		.amdhsa_user_sgpr_queue_ptr 0
		.amdhsa_user_sgpr_kernarg_segment_ptr 1
		.amdhsa_user_sgpr_dispatch_id 0
		.amdhsa_user_sgpr_private_segment_size 0
		.amdhsa_wavefront_size32 1
		.amdhsa_uses_dynamic_stack 0
		.amdhsa_enable_private_segment 0
		.amdhsa_system_sgpr_workgroup_id_x 1
		.amdhsa_system_sgpr_workgroup_id_y 0
		.amdhsa_system_sgpr_workgroup_id_z 0
		.amdhsa_system_sgpr_workgroup_info 0
		.amdhsa_system_vgpr_workitem_id 0
		.amdhsa_next_free_vgpr 60
		.amdhsa_next_free_sgpr 16
		.amdhsa_reserve_vcc 1
		.amdhsa_float_round_mode_32 0
		.amdhsa_float_round_mode_16_64 0
		.amdhsa_float_denorm_mode_32 3
		.amdhsa_float_denorm_mode_16_64 3
		.amdhsa_dx10_clamp 1
		.amdhsa_ieee_mode 1
		.amdhsa_fp16_overflow 0
		.amdhsa_workgroup_processor_mode 1
		.amdhsa_memory_ordered 1
		.amdhsa_forward_progress 0
		.amdhsa_shared_vgpr_count 0
		.amdhsa_exception_fp_ieee_invalid_op 0
		.amdhsa_exception_fp_denorm_src 0
		.amdhsa_exception_fp_ieee_div_zero 0
		.amdhsa_exception_fp_ieee_overflow 0
		.amdhsa_exception_fp_ieee_underflow 0
		.amdhsa_exception_fp_ieee_inexact 0
		.amdhsa_exception_int_div_zero 0
	.end_amdhsa_kernel
	.section	.text._ZN9rocsparseL19gebsrmvn_2xn_kernelILj128ELj7ELj64EdEEvi20rocsparse_direction_NS_24const_host_device_scalarIT2_EEPKiS6_PKS3_S8_S4_PS3_21rocsparse_index_base_b,"axG",@progbits,_ZN9rocsparseL19gebsrmvn_2xn_kernelILj128ELj7ELj64EdEEvi20rocsparse_direction_NS_24const_host_device_scalarIT2_EEPKiS6_PKS3_S8_S4_PS3_21rocsparse_index_base_b,comdat
.Lfunc_end105:
	.size	_ZN9rocsparseL19gebsrmvn_2xn_kernelILj128ELj7ELj64EdEEvi20rocsparse_direction_NS_24const_host_device_scalarIT2_EEPKiS6_PKS3_S8_S4_PS3_21rocsparse_index_base_b, .Lfunc_end105-_ZN9rocsparseL19gebsrmvn_2xn_kernelILj128ELj7ELj64EdEEvi20rocsparse_direction_NS_24const_host_device_scalarIT2_EEPKiS6_PKS3_S8_S4_PS3_21rocsparse_index_base_b
                                        ; -- End function
	.section	.AMDGPU.csdata,"",@progbits
; Kernel info:
; codeLenInByte = 2876
; NumSgprs: 18
; NumVgprs: 60
; ScratchSize: 0
; MemoryBound: 0
; FloatMode: 240
; IeeeMode: 1
; LDSByteSize: 0 bytes/workgroup (compile time only)
; SGPRBlocks: 2
; VGPRBlocks: 7
; NumSGPRsForWavesPerEU: 18
; NumVGPRsForWavesPerEU: 60
; Occupancy: 16
; WaveLimiterHint : 1
; COMPUTE_PGM_RSRC2:SCRATCH_EN: 0
; COMPUTE_PGM_RSRC2:USER_SGPR: 15
; COMPUTE_PGM_RSRC2:TRAP_HANDLER: 0
; COMPUTE_PGM_RSRC2:TGID_X_EN: 1
; COMPUTE_PGM_RSRC2:TGID_Y_EN: 0
; COMPUTE_PGM_RSRC2:TGID_Z_EN: 0
; COMPUTE_PGM_RSRC2:TIDIG_COMP_CNT: 0
	.section	.text._ZN9rocsparseL19gebsrmvn_2xn_kernelILj128ELj8ELj4EdEEvi20rocsparse_direction_NS_24const_host_device_scalarIT2_EEPKiS6_PKS3_S8_S4_PS3_21rocsparse_index_base_b,"axG",@progbits,_ZN9rocsparseL19gebsrmvn_2xn_kernelILj128ELj8ELj4EdEEvi20rocsparse_direction_NS_24const_host_device_scalarIT2_EEPKiS6_PKS3_S8_S4_PS3_21rocsparse_index_base_b,comdat
	.globl	_ZN9rocsparseL19gebsrmvn_2xn_kernelILj128ELj8ELj4EdEEvi20rocsparse_direction_NS_24const_host_device_scalarIT2_EEPKiS6_PKS3_S8_S4_PS3_21rocsparse_index_base_b ; -- Begin function _ZN9rocsparseL19gebsrmvn_2xn_kernelILj128ELj8ELj4EdEEvi20rocsparse_direction_NS_24const_host_device_scalarIT2_EEPKiS6_PKS3_S8_S4_PS3_21rocsparse_index_base_b
	.p2align	8
	.type	_ZN9rocsparseL19gebsrmvn_2xn_kernelILj128ELj8ELj4EdEEvi20rocsparse_direction_NS_24const_host_device_scalarIT2_EEPKiS6_PKS3_S8_S4_PS3_21rocsparse_index_base_b,@function
_ZN9rocsparseL19gebsrmvn_2xn_kernelILj128ELj8ELj4EdEEvi20rocsparse_direction_NS_24const_host_device_scalarIT2_EEPKiS6_PKS3_S8_S4_PS3_21rocsparse_index_base_b: ; @_ZN9rocsparseL19gebsrmvn_2xn_kernelILj128ELj8ELj4EdEEvi20rocsparse_direction_NS_24const_host_device_scalarIT2_EEPKiS6_PKS3_S8_S4_PS3_21rocsparse_index_base_b
; %bb.0:
	s_clause 0x2
	s_load_b64 s[12:13], s[0:1], 0x40
	s_load_b64 s[4:5], s[0:1], 0x8
	s_load_b64 s[2:3], s[0:1], 0x30
	s_waitcnt lgkmcnt(0)
	s_bitcmp1_b32 s13, 0
	v_dual_mov_b32 v1, s4 :: v_dual_mov_b32 v2, s5
	s_cselect_b32 s6, -1, 0
	s_delay_alu instid0(SALU_CYCLE_1)
	s_and_b32 vcc_lo, exec_lo, s6
	s_xor_b32 s6, s6, -1
	s_cbranch_vccnz .LBB106_2
; %bb.1:
	v_dual_mov_b32 v1, s4 :: v_dual_mov_b32 v2, s5
	flat_load_b64 v[1:2], v[1:2]
.LBB106_2:
	v_dual_mov_b32 v4, s3 :: v_dual_mov_b32 v3, s2
	s_and_not1_b32 vcc_lo, exec_lo, s6
	s_cbranch_vccnz .LBB106_4
; %bb.3:
	v_dual_mov_b32 v4, s3 :: v_dual_mov_b32 v3, s2
	flat_load_b64 v[3:4], v[3:4]
.LBB106_4:
	s_waitcnt vmcnt(0) lgkmcnt(0)
	v_cmp_neq_f64_e32 vcc_lo, 0, v[1:2]
	v_cmp_neq_f64_e64 s2, 1.0, v[3:4]
	s_delay_alu instid0(VALU_DEP_1) | instskip(NEXT) | instid1(SALU_CYCLE_1)
	s_or_b32 s2, vcc_lo, s2
	s_and_saveexec_b32 s3, s2
	s_cbranch_execz .LBB106_23
; %bb.5:
	s_load_b64 s[2:3], s[0:1], 0x0
	v_lshrrev_b32_e32 v5, 2, v0
	s_delay_alu instid0(VALU_DEP_1) | instskip(SKIP_1) | instid1(VALU_DEP_1)
	v_lshl_or_b32 v5, s15, 5, v5
	s_waitcnt lgkmcnt(0)
	v_cmp_gt_i32_e32 vcc_lo, s2, v5
	s_and_b32 exec_lo, exec_lo, vcc_lo
	s_cbranch_execz .LBB106_23
; %bb.6:
	s_load_b256 s[4:11], s[0:1], 0x10
	v_ashrrev_i32_e32 v6, 31, v5
	v_and_b32_e32 v0, 3, v0
	s_cmp_lg_u32 s3, 0
	s_delay_alu instid0(VALU_DEP_2) | instskip(SKIP_1) | instid1(VALU_DEP_1)
	v_lshlrev_b64 v[6:7], 2, v[5:6]
	s_waitcnt lgkmcnt(0)
	v_add_co_u32 v6, vcc_lo, s4, v6
	s_delay_alu instid0(VALU_DEP_2) | instskip(SKIP_4) | instid1(VALU_DEP_2)
	v_add_co_ci_u32_e32 v7, vcc_lo, s5, v7, vcc_lo
	global_load_b64 v[6:7], v[6:7], off
	s_waitcnt vmcnt(0)
	v_subrev_nc_u32_e32 v6, s12, v6
	v_subrev_nc_u32_e32 v16, s12, v7
	v_add_nc_u32_e32 v6, v6, v0
	s_delay_alu instid0(VALU_DEP_1)
	v_cmp_lt_i32_e64 s2, v6, v16
	s_cbranch_scc0 .LBB106_12
; %bb.7:
	v_mov_b32_e32 v10, 0
	v_mov_b32_e32 v11, 0
	s_delay_alu instid0(VALU_DEP_1)
	v_dual_mov_b32 v8, v10 :: v_dual_mov_b32 v9, v11
	s_and_saveexec_b32 s3, s2
	s_cbranch_execz .LBB106_11
; %bb.8:
	v_dual_mov_b32 v10, 0 :: v_dual_mov_b32 v13, 0
	v_dual_mov_b32 v11, 0 :: v_dual_lshlrev_b32 v12, 4, v6
	s_delay_alu instid0(VALU_DEP_2) | instskip(SKIP_2) | instid1(VALU_DEP_3)
	v_mov_b32_e32 v8, v10
	v_mov_b32_e32 v14, v6
	s_mov_b32 s4, 0
	v_mov_b32_e32 v9, v11
.LBB106_9:                              ; =>This Inner Loop Header: Depth=1
	s_delay_alu instid0(VALU_DEP_2) | instskip(NEXT) | instid1(VALU_DEP_1)
	v_ashrrev_i32_e32 v15, 31, v14
	v_lshlrev_b64 v[17:18], 2, v[14:15]
	v_add_nc_u32_e32 v14, 4, v14
	s_delay_alu instid0(VALU_DEP_2) | instskip(NEXT) | instid1(VALU_DEP_3)
	v_add_co_u32 v17, vcc_lo, s6, v17
	v_add_co_ci_u32_e32 v18, vcc_lo, s7, v18, vcc_lo
	global_load_b32 v7, v[17:18], off
	v_lshlrev_b64 v[17:18], 3, v[12:13]
	v_add_nc_u32_e32 v12, 64, v12
	s_delay_alu instid0(VALU_DEP_2) | instskip(NEXT) | instid1(VALU_DEP_3)
	v_add_co_u32 v61, vcc_lo, s8, v17
	v_add_co_ci_u32_e32 v62, vcc_lo, s9, v18, vcc_lo
	s_waitcnt vmcnt(0)
	v_subrev_nc_u32_e32 v7, s12, v7
	s_delay_alu instid0(VALU_DEP_1) | instskip(NEXT) | instid1(VALU_DEP_1)
	v_dual_mov_b32 v20, v13 :: v_dual_lshlrev_b32 v19, 3, v7
	v_lshlrev_b64 v[19:20], 3, v[19:20]
	s_delay_alu instid0(VALU_DEP_1) | instskip(NEXT) | instid1(VALU_DEP_2)
	v_add_co_u32 v53, vcc_lo, s10, v19
	v_add_co_ci_u32_e32 v54, vcc_lo, s11, v20, vcc_lo
	v_cmp_ge_i32_e32 vcc_lo, v14, v16
	s_clause 0x1
	global_load_b128 v[17:20], v[61:62], off offset:16
	global_load_b128 v[21:24], v[61:62], off
	s_clause 0x1
	global_load_b128 v[25:28], v[53:54], off
	global_load_b128 v[29:32], v[53:54], off offset:16
	s_clause 0x3
	global_load_b128 v[33:36], v[61:62], off offset:32
	global_load_b128 v[37:40], v[61:62], off offset:48
	;; [unrolled: 1-line block ×4, first 2 shown]
	s_clause 0x1
	global_load_b128 v[49:52], v[53:54], off offset:32
	global_load_b128 v[53:56], v[53:54], off offset:48
	s_clause 0x1
	global_load_b128 v[57:60], v[61:62], off offset:96
	global_load_b128 v[61:64], v[61:62], off offset:112
	s_or_b32 s4, vcc_lo, s4
	s_waitcnt vmcnt(9)
	v_fma_f64 v[10:11], v[21:22], v[25:26], v[10:11]
	v_fma_f64 v[7:8], v[23:24], v[25:26], v[8:9]
	s_delay_alu instid0(VALU_DEP_2) | instskip(NEXT) | instid1(VALU_DEP_2)
	v_fma_f64 v[9:10], v[17:18], v[27:28], v[10:11]
	v_fma_f64 v[7:8], v[19:20], v[27:28], v[7:8]
	s_waitcnt vmcnt(7)
	s_delay_alu instid0(VALU_DEP_2) | instskip(NEXT) | instid1(VALU_DEP_2)
	v_fma_f64 v[9:10], v[33:34], v[29:30], v[9:10]
	v_fma_f64 v[7:8], v[35:36], v[29:30], v[7:8]
	s_waitcnt vmcnt(6)
	;; [unrolled: 4-line block ×3, first 2 shown]
	s_delay_alu instid0(VALU_DEP_2) | instskip(NEXT) | instid1(VALU_DEP_2)
	v_fma_f64 v[9:10], v[45:46], v[49:50], v[9:10]
	v_fma_f64 v[7:8], v[47:48], v[49:50], v[7:8]
	s_delay_alu instid0(VALU_DEP_2) | instskip(NEXT) | instid1(VALU_DEP_2)
	v_fma_f64 v[9:10], v[41:42], v[51:52], v[9:10]
	v_fma_f64 v[7:8], v[43:44], v[51:52], v[7:8]
	s_waitcnt vmcnt(1)
	s_delay_alu instid0(VALU_DEP_2) | instskip(NEXT) | instid1(VALU_DEP_2)
	v_fma_f64 v[9:10], v[57:58], v[53:54], v[9:10]
	v_fma_f64 v[7:8], v[59:60], v[53:54], v[7:8]
	s_waitcnt vmcnt(0)
	s_delay_alu instid0(VALU_DEP_2) | instskip(NEXT) | instid1(VALU_DEP_2)
	v_fma_f64 v[10:11], v[61:62], v[55:56], v[9:10]
	v_fma_f64 v[8:9], v[63:64], v[55:56], v[7:8]
	s_and_not1_b32 exec_lo, exec_lo, s4
	s_cbranch_execnz .LBB106_9
; %bb.10:
	s_or_b32 exec_lo, exec_lo, s4
.LBB106_11:
	s_delay_alu instid0(SALU_CYCLE_1)
	s_or_b32 exec_lo, exec_lo, s3
	s_cbranch_execz .LBB106_13
	s_branch .LBB106_18
.LBB106_12:
                                        ; implicit-def: $vgpr10_vgpr11
                                        ; implicit-def: $vgpr8_vgpr9
.LBB106_13:
	v_mov_b32_e32 v10, 0
	v_mov_b32_e32 v11, 0
	s_delay_alu instid0(VALU_DEP_1)
	v_dual_mov_b32 v8, v10 :: v_dual_mov_b32 v9, v11
	s_and_saveexec_b32 s3, s2
	s_cbranch_execz .LBB106_17
; %bb.14:
	v_dual_mov_b32 v10, 0 :: v_dual_mov_b32 v13, 0
	v_dual_mov_b32 v11, 0 :: v_dual_lshlrev_b32 v12, 4, v6
	s_delay_alu instid0(VALU_DEP_2) | instskip(SKIP_1) | instid1(VALU_DEP_2)
	v_mov_b32_e32 v8, v10
	s_mov_b32 s2, 0
	v_mov_b32_e32 v9, v11
.LBB106_15:                             ; =>This Inner Loop Header: Depth=1
	v_ashrrev_i32_e32 v7, 31, v6
	s_delay_alu instid0(VALU_DEP_1) | instskip(SKIP_1) | instid1(VALU_DEP_2)
	v_lshlrev_b64 v[14:15], 2, v[6:7]
	v_add_nc_u32_e32 v6, 4, v6
	v_add_co_u32 v14, vcc_lo, s6, v14
	s_delay_alu instid0(VALU_DEP_3) | instskip(SKIP_3) | instid1(VALU_DEP_2)
	v_add_co_ci_u32_e32 v15, vcc_lo, s7, v15, vcc_lo
	global_load_b32 v7, v[14:15], off
	v_lshlrev_b64 v[14:15], 3, v[12:13]
	v_add_nc_u32_e32 v12, 64, v12
	v_add_co_u32 v14, vcc_lo, s8, v14
	s_delay_alu instid0(VALU_DEP_3) | instskip(SKIP_2) | instid1(VALU_DEP_1)
	v_add_co_ci_u32_e32 v15, vcc_lo, s9, v15, vcc_lo
	s_waitcnt vmcnt(0)
	v_subrev_nc_u32_e32 v7, s12, v7
	v_dual_mov_b32 v18, v13 :: v_dual_lshlrev_b32 v17, 3, v7
	s_delay_alu instid0(VALU_DEP_1)
	v_lshlrev_b64 v[21:22], 3, v[17:18]
	global_load_b128 v[17:20], v[14:15], off offset:16
	v_add_co_u32 v61, vcc_lo, s10, v21
	v_add_co_ci_u32_e32 v62, vcc_lo, s11, v22, vcc_lo
	s_clause 0x2
	global_load_b128 v[21:24], v[14:15], off
	global_load_b128 v[25:28], v[14:15], off offset:80
	global_load_b128 v[29:32], v[14:15], off offset:64
	s_clause 0x1
	global_load_b128 v[33:36], v[61:62], off
	global_load_b128 v[37:40], v[61:62], off offset:16
	s_clause 0x3
	global_load_b128 v[41:44], v[14:15], off offset:48
	global_load_b128 v[45:48], v[14:15], off offset:32
	global_load_b128 v[49:52], v[14:15], off offset:112
	global_load_b128 v[53:56], v[14:15], off offset:96
	s_clause 0x1
	global_load_b128 v[57:60], v[61:62], off offset:32
	global_load_b128 v[61:64], v[61:62], off offset:48
	v_cmp_ge_i32_e32 vcc_lo, v6, v16
	s_or_b32 s2, vcc_lo, s2
	s_waitcnt vmcnt(7)
	v_fma_f64 v[10:11], v[21:22], v[33:34], v[10:11]
	v_fma_f64 v[7:8], v[29:30], v[33:34], v[8:9]
	s_delay_alu instid0(VALU_DEP_2) | instskip(NEXT) | instid1(VALU_DEP_2)
	v_fma_f64 v[9:10], v[23:24], v[35:36], v[10:11]
	v_fma_f64 v[7:8], v[31:32], v[35:36], v[7:8]
	s_waitcnt vmcnt(6)
	s_delay_alu instid0(VALU_DEP_2) | instskip(NEXT) | instid1(VALU_DEP_2)
	v_fma_f64 v[9:10], v[17:18], v[37:38], v[9:10]
	v_fma_f64 v[7:8], v[25:26], v[37:38], v[7:8]
	s_delay_alu instid0(VALU_DEP_2) | instskip(NEXT) | instid1(VALU_DEP_2)
	v_fma_f64 v[9:10], v[19:20], v[39:40], v[9:10]
	v_fma_f64 v[7:8], v[27:28], v[39:40], v[7:8]
	s_waitcnt vmcnt(1)
	s_delay_alu instid0(VALU_DEP_2) | instskip(NEXT) | instid1(VALU_DEP_2)
	;; [unrolled: 7-line block ×3, first 2 shown]
	v_fma_f64 v[9:10], v[41:42], v[61:62], v[9:10]
	v_fma_f64 v[7:8], v[49:50], v[61:62], v[7:8]
	s_delay_alu instid0(VALU_DEP_2) | instskip(NEXT) | instid1(VALU_DEP_2)
	v_fma_f64 v[10:11], v[43:44], v[63:64], v[9:10]
	v_fma_f64 v[8:9], v[51:52], v[63:64], v[7:8]
	s_and_not1_b32 exec_lo, exec_lo, s2
	s_cbranch_execnz .LBB106_15
; %bb.16:
	s_or_b32 exec_lo, exec_lo, s2
.LBB106_17:
	s_delay_alu instid0(SALU_CYCLE_1)
	s_or_b32 exec_lo, exec_lo, s3
.LBB106_18:
	v_mbcnt_lo_u32_b32 v14, -1, 0
	s_delay_alu instid0(VALU_DEP_1) | instskip(NEXT) | instid1(VALU_DEP_1)
	v_xor_b32_e32 v6, 2, v14
	v_cmp_gt_i32_e32 vcc_lo, 32, v6
	v_cndmask_b32_e32 v6, v14, v6, vcc_lo
	s_delay_alu instid0(VALU_DEP_1)
	v_lshlrev_b32_e32 v13, 2, v6
	ds_bpermute_b32 v6, v13, v10
	ds_bpermute_b32 v7, v13, v11
	;; [unrolled: 1-line block ×4, first 2 shown]
	s_waitcnt lgkmcnt(2)
	v_add_f64 v[6:7], v[10:11], v[6:7]
	s_waitcnt lgkmcnt(0)
	v_add_f64 v[10:11], v[8:9], v[12:13]
	v_xor_b32_e32 v8, 1, v14
	s_delay_alu instid0(VALU_DEP_1) | instskip(SKIP_2) | instid1(VALU_DEP_2)
	v_cmp_gt_i32_e32 vcc_lo, 32, v8
	v_cndmask_b32_e32 v8, v14, v8, vcc_lo
	v_cmp_eq_u32_e32 vcc_lo, 3, v0
	v_lshlrev_b32_e32 v13, 2, v8
	ds_bpermute_b32 v8, v13, v6
	ds_bpermute_b32 v9, v13, v7
	;; [unrolled: 1-line block ×4, first 2 shown]
	s_and_b32 exec_lo, exec_lo, vcc_lo
	s_cbranch_execz .LBB106_23
; %bb.19:
	s_waitcnt lgkmcnt(2)
	v_add_f64 v[8:9], v[6:7], v[8:9]
	s_waitcnt lgkmcnt(0)
	v_add_f64 v[6:7], v[10:11], v[12:13]
	s_load_b64 s[0:1], s[0:1], 0x38
	s_mov_b32 s2, exec_lo
	v_cmpx_eq_f64_e32 0, v[3:4]
	s_xor_b32 s2, exec_lo, s2
	s_cbranch_execz .LBB106_21
; %bb.20:
	s_delay_alu instid0(VALU_DEP_3) | instskip(NEXT) | instid1(VALU_DEP_3)
	v_mul_f64 v[8:9], v[1:2], v[8:9]
	v_mul_f64 v[10:11], v[1:2], v[6:7]
	v_lshlrev_b32_e32 v0, 1, v5
                                        ; implicit-def: $vgpr5
                                        ; implicit-def: $vgpr3_vgpr4
                                        ; implicit-def: $vgpr6_vgpr7
	s_delay_alu instid0(VALU_DEP_1) | instskip(NEXT) | instid1(VALU_DEP_1)
	v_ashrrev_i32_e32 v1, 31, v0
	v_lshlrev_b64 v[0:1], 3, v[0:1]
	s_waitcnt lgkmcnt(0)
	s_delay_alu instid0(VALU_DEP_1) | instskip(NEXT) | instid1(VALU_DEP_2)
	v_add_co_u32 v0, vcc_lo, s0, v0
	v_add_co_ci_u32_e32 v1, vcc_lo, s1, v1, vcc_lo
	global_store_b128 v[0:1], v[8:11], off
                                        ; implicit-def: $vgpr1_vgpr2
                                        ; implicit-def: $vgpr8_vgpr9
.LBB106_21:
	s_and_not1_saveexec_b32 s2, s2
	s_cbranch_execz .LBB106_23
; %bb.22:
	v_lshlrev_b32_e32 v10, 1, v5
	s_delay_alu instid0(VALU_DEP_4) | instskip(NEXT) | instid1(VALU_DEP_4)
	v_mul_f64 v[8:9], v[1:2], v[8:9]
	v_mul_f64 v[5:6], v[1:2], v[6:7]
	s_delay_alu instid0(VALU_DEP_3) | instskip(NEXT) | instid1(VALU_DEP_1)
	v_ashrrev_i32_e32 v11, 31, v10
	v_lshlrev_b64 v[10:11], 3, v[10:11]
	s_waitcnt lgkmcnt(0)
	s_delay_alu instid0(VALU_DEP_1) | instskip(NEXT) | instid1(VALU_DEP_2)
	v_add_co_u32 v14, vcc_lo, s0, v10
	v_add_co_ci_u32_e32 v15, vcc_lo, s1, v11, vcc_lo
	global_load_b128 v[10:13], v[14:15], off
	s_waitcnt vmcnt(0)
	v_fma_f64 v[0:1], v[3:4], v[10:11], v[8:9]
	v_fma_f64 v[2:3], v[3:4], v[12:13], v[5:6]
	global_store_b128 v[14:15], v[0:3], off
.LBB106_23:
	s_nop 0
	s_sendmsg sendmsg(MSG_DEALLOC_VGPRS)
	s_endpgm
	.section	.rodata,"a",@progbits
	.p2align	6, 0x0
	.amdhsa_kernel _ZN9rocsparseL19gebsrmvn_2xn_kernelILj128ELj8ELj4EdEEvi20rocsparse_direction_NS_24const_host_device_scalarIT2_EEPKiS6_PKS3_S8_S4_PS3_21rocsparse_index_base_b
		.amdhsa_group_segment_fixed_size 0
		.amdhsa_private_segment_fixed_size 0
		.amdhsa_kernarg_size 72
		.amdhsa_user_sgpr_count 15
		.amdhsa_user_sgpr_dispatch_ptr 0
		.amdhsa_user_sgpr_queue_ptr 0
		.amdhsa_user_sgpr_kernarg_segment_ptr 1
		.amdhsa_user_sgpr_dispatch_id 0
		.amdhsa_user_sgpr_private_segment_size 0
		.amdhsa_wavefront_size32 1
		.amdhsa_uses_dynamic_stack 0
		.amdhsa_enable_private_segment 0
		.amdhsa_system_sgpr_workgroup_id_x 1
		.amdhsa_system_sgpr_workgroup_id_y 0
		.amdhsa_system_sgpr_workgroup_id_z 0
		.amdhsa_system_sgpr_workgroup_info 0
		.amdhsa_system_vgpr_workitem_id 0
		.amdhsa_next_free_vgpr 65
		.amdhsa_next_free_sgpr 16
		.amdhsa_reserve_vcc 1
		.amdhsa_float_round_mode_32 0
		.amdhsa_float_round_mode_16_64 0
		.amdhsa_float_denorm_mode_32 3
		.amdhsa_float_denorm_mode_16_64 3
		.amdhsa_dx10_clamp 1
		.amdhsa_ieee_mode 1
		.amdhsa_fp16_overflow 0
		.amdhsa_workgroup_processor_mode 1
		.amdhsa_memory_ordered 1
		.amdhsa_forward_progress 0
		.amdhsa_shared_vgpr_count 0
		.amdhsa_exception_fp_ieee_invalid_op 0
		.amdhsa_exception_fp_denorm_src 0
		.amdhsa_exception_fp_ieee_div_zero 0
		.amdhsa_exception_fp_ieee_overflow 0
		.amdhsa_exception_fp_ieee_underflow 0
		.amdhsa_exception_fp_ieee_inexact 0
		.amdhsa_exception_int_div_zero 0
	.end_amdhsa_kernel
	.section	.text._ZN9rocsparseL19gebsrmvn_2xn_kernelILj128ELj8ELj4EdEEvi20rocsparse_direction_NS_24const_host_device_scalarIT2_EEPKiS6_PKS3_S8_S4_PS3_21rocsparse_index_base_b,"axG",@progbits,_ZN9rocsparseL19gebsrmvn_2xn_kernelILj128ELj8ELj4EdEEvi20rocsparse_direction_NS_24const_host_device_scalarIT2_EEPKiS6_PKS3_S8_S4_PS3_21rocsparse_index_base_b,comdat
.Lfunc_end106:
	.size	_ZN9rocsparseL19gebsrmvn_2xn_kernelILj128ELj8ELj4EdEEvi20rocsparse_direction_NS_24const_host_device_scalarIT2_EEPKiS6_PKS3_S8_S4_PS3_21rocsparse_index_base_b, .Lfunc_end106-_ZN9rocsparseL19gebsrmvn_2xn_kernelILj128ELj8ELj4EdEEvi20rocsparse_direction_NS_24const_host_device_scalarIT2_EEPKiS6_PKS3_S8_S4_PS3_21rocsparse_index_base_b
                                        ; -- End function
	.section	.AMDGPU.csdata,"",@progbits
; Kernel info:
; codeLenInByte = 1656
; NumSgprs: 18
; NumVgprs: 65
; ScratchSize: 0
; MemoryBound: 1
; FloatMode: 240
; IeeeMode: 1
; LDSByteSize: 0 bytes/workgroup (compile time only)
; SGPRBlocks: 2
; VGPRBlocks: 8
; NumSGPRsForWavesPerEU: 18
; NumVGPRsForWavesPerEU: 65
; Occupancy: 16
; WaveLimiterHint : 1
; COMPUTE_PGM_RSRC2:SCRATCH_EN: 0
; COMPUTE_PGM_RSRC2:USER_SGPR: 15
; COMPUTE_PGM_RSRC2:TRAP_HANDLER: 0
; COMPUTE_PGM_RSRC2:TGID_X_EN: 1
; COMPUTE_PGM_RSRC2:TGID_Y_EN: 0
; COMPUTE_PGM_RSRC2:TGID_Z_EN: 0
; COMPUTE_PGM_RSRC2:TIDIG_COMP_CNT: 0
	.section	.text._ZN9rocsparseL19gebsrmvn_2xn_kernelILj128ELj8ELj8EdEEvi20rocsparse_direction_NS_24const_host_device_scalarIT2_EEPKiS6_PKS3_S8_S4_PS3_21rocsparse_index_base_b,"axG",@progbits,_ZN9rocsparseL19gebsrmvn_2xn_kernelILj128ELj8ELj8EdEEvi20rocsparse_direction_NS_24const_host_device_scalarIT2_EEPKiS6_PKS3_S8_S4_PS3_21rocsparse_index_base_b,comdat
	.globl	_ZN9rocsparseL19gebsrmvn_2xn_kernelILj128ELj8ELj8EdEEvi20rocsparse_direction_NS_24const_host_device_scalarIT2_EEPKiS6_PKS3_S8_S4_PS3_21rocsparse_index_base_b ; -- Begin function _ZN9rocsparseL19gebsrmvn_2xn_kernelILj128ELj8ELj8EdEEvi20rocsparse_direction_NS_24const_host_device_scalarIT2_EEPKiS6_PKS3_S8_S4_PS3_21rocsparse_index_base_b
	.p2align	8
	.type	_ZN9rocsparseL19gebsrmvn_2xn_kernelILj128ELj8ELj8EdEEvi20rocsparse_direction_NS_24const_host_device_scalarIT2_EEPKiS6_PKS3_S8_S4_PS3_21rocsparse_index_base_b,@function
_ZN9rocsparseL19gebsrmvn_2xn_kernelILj128ELj8ELj8EdEEvi20rocsparse_direction_NS_24const_host_device_scalarIT2_EEPKiS6_PKS3_S8_S4_PS3_21rocsparse_index_base_b: ; @_ZN9rocsparseL19gebsrmvn_2xn_kernelILj128ELj8ELj8EdEEvi20rocsparse_direction_NS_24const_host_device_scalarIT2_EEPKiS6_PKS3_S8_S4_PS3_21rocsparse_index_base_b
; %bb.0:
	s_clause 0x2
	s_load_b64 s[12:13], s[0:1], 0x40
	s_load_b64 s[4:5], s[0:1], 0x8
	;; [unrolled: 1-line block ×3, first 2 shown]
	s_waitcnt lgkmcnt(0)
	s_bitcmp1_b32 s13, 0
	v_dual_mov_b32 v1, s4 :: v_dual_mov_b32 v2, s5
	s_cselect_b32 s6, -1, 0
	s_delay_alu instid0(SALU_CYCLE_1)
	s_and_b32 vcc_lo, exec_lo, s6
	s_xor_b32 s6, s6, -1
	s_cbranch_vccnz .LBB107_2
; %bb.1:
	v_dual_mov_b32 v1, s4 :: v_dual_mov_b32 v2, s5
	flat_load_b64 v[1:2], v[1:2]
.LBB107_2:
	v_dual_mov_b32 v4, s3 :: v_dual_mov_b32 v3, s2
	s_and_not1_b32 vcc_lo, exec_lo, s6
	s_cbranch_vccnz .LBB107_4
; %bb.3:
	v_dual_mov_b32 v4, s3 :: v_dual_mov_b32 v3, s2
	flat_load_b64 v[3:4], v[3:4]
.LBB107_4:
	s_waitcnt vmcnt(0) lgkmcnt(0)
	v_cmp_neq_f64_e32 vcc_lo, 0, v[1:2]
	v_cmp_neq_f64_e64 s2, 1.0, v[3:4]
	s_delay_alu instid0(VALU_DEP_1) | instskip(NEXT) | instid1(SALU_CYCLE_1)
	s_or_b32 s2, vcc_lo, s2
	s_and_saveexec_b32 s3, s2
	s_cbranch_execz .LBB107_23
; %bb.5:
	s_load_b64 s[2:3], s[0:1], 0x0
	v_lshrrev_b32_e32 v5, 3, v0
	s_delay_alu instid0(VALU_DEP_1) | instskip(SKIP_1) | instid1(VALU_DEP_1)
	v_lshl_or_b32 v5, s15, 4, v5
	s_waitcnt lgkmcnt(0)
	v_cmp_gt_i32_e32 vcc_lo, s2, v5
	s_and_b32 exec_lo, exec_lo, vcc_lo
	s_cbranch_execz .LBB107_23
; %bb.6:
	s_load_b256 s[4:11], s[0:1], 0x10
	v_ashrrev_i32_e32 v6, 31, v5
	v_and_b32_e32 v0, 7, v0
	s_cmp_lg_u32 s3, 0
	s_delay_alu instid0(VALU_DEP_2) | instskip(SKIP_1) | instid1(VALU_DEP_1)
	v_lshlrev_b64 v[6:7], 2, v[5:6]
	s_waitcnt lgkmcnt(0)
	v_add_co_u32 v6, vcc_lo, s4, v6
	s_delay_alu instid0(VALU_DEP_2) | instskip(SKIP_4) | instid1(VALU_DEP_2)
	v_add_co_ci_u32_e32 v7, vcc_lo, s5, v7, vcc_lo
	global_load_b64 v[6:7], v[6:7], off
	s_waitcnt vmcnt(0)
	v_subrev_nc_u32_e32 v6, s12, v6
	v_subrev_nc_u32_e32 v16, s12, v7
	v_add_nc_u32_e32 v6, v6, v0
	s_delay_alu instid0(VALU_DEP_1)
	v_cmp_lt_i32_e64 s2, v6, v16
	s_cbranch_scc0 .LBB107_12
; %bb.7:
	v_mov_b32_e32 v10, 0
	v_mov_b32_e32 v11, 0
	s_delay_alu instid0(VALU_DEP_1)
	v_dual_mov_b32 v8, v10 :: v_dual_mov_b32 v9, v11
	s_and_saveexec_b32 s3, s2
	s_cbranch_execz .LBB107_11
; %bb.8:
	v_dual_mov_b32 v10, 0 :: v_dual_mov_b32 v13, 0
	v_dual_mov_b32 v11, 0 :: v_dual_lshlrev_b32 v12, 4, v6
	s_delay_alu instid0(VALU_DEP_2) | instskip(SKIP_2) | instid1(VALU_DEP_3)
	v_mov_b32_e32 v8, v10
	v_mov_b32_e32 v14, v6
	s_mov_b32 s4, 0
	v_mov_b32_e32 v9, v11
.LBB107_9:                              ; =>This Inner Loop Header: Depth=1
	s_delay_alu instid0(VALU_DEP_2) | instskip(NEXT) | instid1(VALU_DEP_1)
	v_ashrrev_i32_e32 v15, 31, v14
	v_lshlrev_b64 v[17:18], 2, v[14:15]
	v_add_nc_u32_e32 v14, 8, v14
	s_delay_alu instid0(VALU_DEP_2) | instskip(NEXT) | instid1(VALU_DEP_3)
	v_add_co_u32 v17, vcc_lo, s6, v17
	v_add_co_ci_u32_e32 v18, vcc_lo, s7, v18, vcc_lo
	global_load_b32 v7, v[17:18], off
	v_lshlrev_b64 v[17:18], 3, v[12:13]
	v_add_nc_u32_e32 v12, 0x80, v12
	s_delay_alu instid0(VALU_DEP_2) | instskip(NEXT) | instid1(VALU_DEP_3)
	v_add_co_u32 v61, vcc_lo, s8, v17
	v_add_co_ci_u32_e32 v62, vcc_lo, s9, v18, vcc_lo
	s_waitcnt vmcnt(0)
	v_subrev_nc_u32_e32 v7, s12, v7
	s_delay_alu instid0(VALU_DEP_1) | instskip(NEXT) | instid1(VALU_DEP_1)
	v_dual_mov_b32 v20, v13 :: v_dual_lshlrev_b32 v19, 3, v7
	v_lshlrev_b64 v[19:20], 3, v[19:20]
	s_delay_alu instid0(VALU_DEP_1) | instskip(NEXT) | instid1(VALU_DEP_2)
	v_add_co_u32 v53, vcc_lo, s10, v19
	v_add_co_ci_u32_e32 v54, vcc_lo, s11, v20, vcc_lo
	v_cmp_ge_i32_e32 vcc_lo, v14, v16
	s_clause 0x1
	global_load_b128 v[17:20], v[61:62], off offset:16
	global_load_b128 v[21:24], v[61:62], off
	s_clause 0x1
	global_load_b128 v[25:28], v[53:54], off
	global_load_b128 v[29:32], v[53:54], off offset:16
	s_clause 0x3
	global_load_b128 v[33:36], v[61:62], off offset:32
	global_load_b128 v[37:40], v[61:62], off offset:48
	;; [unrolled: 1-line block ×4, first 2 shown]
	s_clause 0x1
	global_load_b128 v[49:52], v[53:54], off offset:32
	global_load_b128 v[53:56], v[53:54], off offset:48
	s_clause 0x1
	global_load_b128 v[57:60], v[61:62], off offset:96
	global_load_b128 v[61:64], v[61:62], off offset:112
	s_or_b32 s4, vcc_lo, s4
	s_waitcnt vmcnt(9)
	v_fma_f64 v[10:11], v[21:22], v[25:26], v[10:11]
	v_fma_f64 v[7:8], v[23:24], v[25:26], v[8:9]
	s_delay_alu instid0(VALU_DEP_2) | instskip(NEXT) | instid1(VALU_DEP_2)
	v_fma_f64 v[9:10], v[17:18], v[27:28], v[10:11]
	v_fma_f64 v[7:8], v[19:20], v[27:28], v[7:8]
	s_waitcnt vmcnt(7)
	s_delay_alu instid0(VALU_DEP_2) | instskip(NEXT) | instid1(VALU_DEP_2)
	v_fma_f64 v[9:10], v[33:34], v[29:30], v[9:10]
	v_fma_f64 v[7:8], v[35:36], v[29:30], v[7:8]
	s_waitcnt vmcnt(6)
	;; [unrolled: 4-line block ×3, first 2 shown]
	s_delay_alu instid0(VALU_DEP_2) | instskip(NEXT) | instid1(VALU_DEP_2)
	v_fma_f64 v[9:10], v[45:46], v[49:50], v[9:10]
	v_fma_f64 v[7:8], v[47:48], v[49:50], v[7:8]
	s_delay_alu instid0(VALU_DEP_2) | instskip(NEXT) | instid1(VALU_DEP_2)
	v_fma_f64 v[9:10], v[41:42], v[51:52], v[9:10]
	v_fma_f64 v[7:8], v[43:44], v[51:52], v[7:8]
	s_waitcnt vmcnt(1)
	s_delay_alu instid0(VALU_DEP_2) | instskip(NEXT) | instid1(VALU_DEP_2)
	v_fma_f64 v[9:10], v[57:58], v[53:54], v[9:10]
	v_fma_f64 v[7:8], v[59:60], v[53:54], v[7:8]
	s_waitcnt vmcnt(0)
	s_delay_alu instid0(VALU_DEP_2) | instskip(NEXT) | instid1(VALU_DEP_2)
	v_fma_f64 v[10:11], v[61:62], v[55:56], v[9:10]
	v_fma_f64 v[8:9], v[63:64], v[55:56], v[7:8]
	s_and_not1_b32 exec_lo, exec_lo, s4
	s_cbranch_execnz .LBB107_9
; %bb.10:
	s_or_b32 exec_lo, exec_lo, s4
.LBB107_11:
	s_delay_alu instid0(SALU_CYCLE_1)
	s_or_b32 exec_lo, exec_lo, s3
	s_cbranch_execz .LBB107_13
	s_branch .LBB107_18
.LBB107_12:
                                        ; implicit-def: $vgpr10_vgpr11
                                        ; implicit-def: $vgpr8_vgpr9
.LBB107_13:
	v_mov_b32_e32 v10, 0
	v_mov_b32_e32 v11, 0
	s_delay_alu instid0(VALU_DEP_1)
	v_dual_mov_b32 v8, v10 :: v_dual_mov_b32 v9, v11
	s_and_saveexec_b32 s3, s2
	s_cbranch_execz .LBB107_17
; %bb.14:
	v_dual_mov_b32 v10, 0 :: v_dual_mov_b32 v13, 0
	v_dual_mov_b32 v11, 0 :: v_dual_lshlrev_b32 v12, 4, v6
	s_delay_alu instid0(VALU_DEP_2) | instskip(SKIP_1) | instid1(VALU_DEP_2)
	v_mov_b32_e32 v8, v10
	s_mov_b32 s2, 0
	v_mov_b32_e32 v9, v11
.LBB107_15:                             ; =>This Inner Loop Header: Depth=1
	v_ashrrev_i32_e32 v7, 31, v6
	s_delay_alu instid0(VALU_DEP_1) | instskip(SKIP_1) | instid1(VALU_DEP_2)
	v_lshlrev_b64 v[14:15], 2, v[6:7]
	v_add_nc_u32_e32 v6, 8, v6
	v_add_co_u32 v14, vcc_lo, s6, v14
	s_delay_alu instid0(VALU_DEP_3) | instskip(SKIP_3) | instid1(VALU_DEP_2)
	v_add_co_ci_u32_e32 v15, vcc_lo, s7, v15, vcc_lo
	global_load_b32 v7, v[14:15], off
	v_lshlrev_b64 v[14:15], 3, v[12:13]
	v_add_nc_u32_e32 v12, 0x80, v12
	v_add_co_u32 v14, vcc_lo, s8, v14
	s_delay_alu instid0(VALU_DEP_3) | instskip(SKIP_2) | instid1(VALU_DEP_1)
	v_add_co_ci_u32_e32 v15, vcc_lo, s9, v15, vcc_lo
	s_waitcnt vmcnt(0)
	v_subrev_nc_u32_e32 v7, s12, v7
	v_dual_mov_b32 v18, v13 :: v_dual_lshlrev_b32 v17, 3, v7
	s_delay_alu instid0(VALU_DEP_1)
	v_lshlrev_b64 v[21:22], 3, v[17:18]
	global_load_b128 v[17:20], v[14:15], off offset:16
	v_add_co_u32 v61, vcc_lo, s10, v21
	v_add_co_ci_u32_e32 v62, vcc_lo, s11, v22, vcc_lo
	s_clause 0x2
	global_load_b128 v[21:24], v[14:15], off
	global_load_b128 v[25:28], v[14:15], off offset:80
	global_load_b128 v[29:32], v[14:15], off offset:64
	s_clause 0x1
	global_load_b128 v[33:36], v[61:62], off
	global_load_b128 v[37:40], v[61:62], off offset:16
	s_clause 0x3
	global_load_b128 v[41:44], v[14:15], off offset:48
	global_load_b128 v[45:48], v[14:15], off offset:32
	;; [unrolled: 1-line block ×4, first 2 shown]
	s_clause 0x1
	global_load_b128 v[57:60], v[61:62], off offset:32
	global_load_b128 v[61:64], v[61:62], off offset:48
	v_cmp_ge_i32_e32 vcc_lo, v6, v16
	s_or_b32 s2, vcc_lo, s2
	s_waitcnt vmcnt(7)
	v_fma_f64 v[10:11], v[21:22], v[33:34], v[10:11]
	v_fma_f64 v[7:8], v[29:30], v[33:34], v[8:9]
	s_delay_alu instid0(VALU_DEP_2) | instskip(NEXT) | instid1(VALU_DEP_2)
	v_fma_f64 v[9:10], v[23:24], v[35:36], v[10:11]
	v_fma_f64 v[7:8], v[31:32], v[35:36], v[7:8]
	s_waitcnt vmcnt(6)
	s_delay_alu instid0(VALU_DEP_2) | instskip(NEXT) | instid1(VALU_DEP_2)
	v_fma_f64 v[9:10], v[17:18], v[37:38], v[9:10]
	v_fma_f64 v[7:8], v[25:26], v[37:38], v[7:8]
	s_delay_alu instid0(VALU_DEP_2) | instskip(NEXT) | instid1(VALU_DEP_2)
	v_fma_f64 v[9:10], v[19:20], v[39:40], v[9:10]
	v_fma_f64 v[7:8], v[27:28], v[39:40], v[7:8]
	s_waitcnt vmcnt(1)
	s_delay_alu instid0(VALU_DEP_2) | instskip(NEXT) | instid1(VALU_DEP_2)
	;; [unrolled: 7-line block ×3, first 2 shown]
	v_fma_f64 v[9:10], v[41:42], v[61:62], v[9:10]
	v_fma_f64 v[7:8], v[49:50], v[61:62], v[7:8]
	s_delay_alu instid0(VALU_DEP_2) | instskip(NEXT) | instid1(VALU_DEP_2)
	v_fma_f64 v[10:11], v[43:44], v[63:64], v[9:10]
	v_fma_f64 v[8:9], v[51:52], v[63:64], v[7:8]
	s_and_not1_b32 exec_lo, exec_lo, s2
	s_cbranch_execnz .LBB107_15
; %bb.16:
	s_or_b32 exec_lo, exec_lo, s2
.LBB107_17:
	s_delay_alu instid0(SALU_CYCLE_1)
	s_or_b32 exec_lo, exec_lo, s3
.LBB107_18:
	v_mbcnt_lo_u32_b32 v14, -1, 0
	s_delay_alu instid0(VALU_DEP_1) | instskip(NEXT) | instid1(VALU_DEP_1)
	v_xor_b32_e32 v6, 4, v14
	v_cmp_gt_i32_e32 vcc_lo, 32, v6
	v_cndmask_b32_e32 v6, v14, v6, vcc_lo
	s_delay_alu instid0(VALU_DEP_1)
	v_lshlrev_b32_e32 v13, 2, v6
	ds_bpermute_b32 v6, v13, v10
	ds_bpermute_b32 v7, v13, v11
	;; [unrolled: 1-line block ×4, first 2 shown]
	s_waitcnt lgkmcnt(2)
	v_add_f64 v[6:7], v[10:11], v[6:7]
	v_xor_b32_e32 v10, 2, v14
	s_waitcnt lgkmcnt(0)
	v_add_f64 v[8:9], v[8:9], v[12:13]
	s_delay_alu instid0(VALU_DEP_2) | instskip(SKIP_1) | instid1(VALU_DEP_1)
	v_cmp_gt_i32_e32 vcc_lo, 32, v10
	v_cndmask_b32_e32 v10, v14, v10, vcc_lo
	v_lshlrev_b32_e32 v13, 2, v10
	ds_bpermute_b32 v10, v13, v6
	ds_bpermute_b32 v11, v13, v7
	;; [unrolled: 1-line block ×4, first 2 shown]
	s_waitcnt lgkmcnt(2)
	v_add_f64 v[6:7], v[6:7], v[10:11]
	s_waitcnt lgkmcnt(0)
	v_add_f64 v[10:11], v[8:9], v[12:13]
	v_xor_b32_e32 v8, 1, v14
	s_delay_alu instid0(VALU_DEP_1) | instskip(SKIP_2) | instid1(VALU_DEP_2)
	v_cmp_gt_i32_e32 vcc_lo, 32, v8
	v_cndmask_b32_e32 v8, v14, v8, vcc_lo
	v_cmp_eq_u32_e32 vcc_lo, 7, v0
	v_lshlrev_b32_e32 v13, 2, v8
	ds_bpermute_b32 v8, v13, v6
	ds_bpermute_b32 v9, v13, v7
	ds_bpermute_b32 v12, v13, v10
	ds_bpermute_b32 v13, v13, v11
	s_and_b32 exec_lo, exec_lo, vcc_lo
	s_cbranch_execz .LBB107_23
; %bb.19:
	s_waitcnt lgkmcnt(2)
	v_add_f64 v[8:9], v[6:7], v[8:9]
	s_waitcnt lgkmcnt(0)
	v_add_f64 v[6:7], v[10:11], v[12:13]
	s_load_b64 s[0:1], s[0:1], 0x38
	s_mov_b32 s2, exec_lo
	v_cmpx_eq_f64_e32 0, v[3:4]
	s_xor_b32 s2, exec_lo, s2
	s_cbranch_execz .LBB107_21
; %bb.20:
	s_delay_alu instid0(VALU_DEP_3) | instskip(NEXT) | instid1(VALU_DEP_3)
	v_mul_f64 v[8:9], v[1:2], v[8:9]
	v_mul_f64 v[10:11], v[1:2], v[6:7]
	v_lshlrev_b32_e32 v0, 1, v5
                                        ; implicit-def: $vgpr5
                                        ; implicit-def: $vgpr3_vgpr4
                                        ; implicit-def: $vgpr6_vgpr7
	s_delay_alu instid0(VALU_DEP_1) | instskip(NEXT) | instid1(VALU_DEP_1)
	v_ashrrev_i32_e32 v1, 31, v0
	v_lshlrev_b64 v[0:1], 3, v[0:1]
	s_waitcnt lgkmcnt(0)
	s_delay_alu instid0(VALU_DEP_1) | instskip(NEXT) | instid1(VALU_DEP_2)
	v_add_co_u32 v0, vcc_lo, s0, v0
	v_add_co_ci_u32_e32 v1, vcc_lo, s1, v1, vcc_lo
	global_store_b128 v[0:1], v[8:11], off
                                        ; implicit-def: $vgpr1_vgpr2
                                        ; implicit-def: $vgpr8_vgpr9
.LBB107_21:
	s_and_not1_saveexec_b32 s2, s2
	s_cbranch_execz .LBB107_23
; %bb.22:
	v_lshlrev_b32_e32 v10, 1, v5
	s_delay_alu instid0(VALU_DEP_4) | instskip(NEXT) | instid1(VALU_DEP_4)
	v_mul_f64 v[8:9], v[1:2], v[8:9]
	v_mul_f64 v[5:6], v[1:2], v[6:7]
	s_delay_alu instid0(VALU_DEP_3) | instskip(NEXT) | instid1(VALU_DEP_1)
	v_ashrrev_i32_e32 v11, 31, v10
	v_lshlrev_b64 v[10:11], 3, v[10:11]
	s_waitcnt lgkmcnt(0)
	s_delay_alu instid0(VALU_DEP_1) | instskip(NEXT) | instid1(VALU_DEP_2)
	v_add_co_u32 v14, vcc_lo, s0, v10
	v_add_co_ci_u32_e32 v15, vcc_lo, s1, v11, vcc_lo
	global_load_b128 v[10:13], v[14:15], off
	s_waitcnt vmcnt(0)
	v_fma_f64 v[0:1], v[3:4], v[10:11], v[8:9]
	v_fma_f64 v[2:3], v[3:4], v[12:13], v[5:6]
	global_store_b128 v[14:15], v[0:3], off
.LBB107_23:
	s_nop 0
	s_sendmsg sendmsg(MSG_DEALLOC_VGPRS)
	s_endpgm
	.section	.rodata,"a",@progbits
	.p2align	6, 0x0
	.amdhsa_kernel _ZN9rocsparseL19gebsrmvn_2xn_kernelILj128ELj8ELj8EdEEvi20rocsparse_direction_NS_24const_host_device_scalarIT2_EEPKiS6_PKS3_S8_S4_PS3_21rocsparse_index_base_b
		.amdhsa_group_segment_fixed_size 0
		.amdhsa_private_segment_fixed_size 0
		.amdhsa_kernarg_size 72
		.amdhsa_user_sgpr_count 15
		.amdhsa_user_sgpr_dispatch_ptr 0
		.amdhsa_user_sgpr_queue_ptr 0
		.amdhsa_user_sgpr_kernarg_segment_ptr 1
		.amdhsa_user_sgpr_dispatch_id 0
		.amdhsa_user_sgpr_private_segment_size 0
		.amdhsa_wavefront_size32 1
		.amdhsa_uses_dynamic_stack 0
		.amdhsa_enable_private_segment 0
		.amdhsa_system_sgpr_workgroup_id_x 1
		.amdhsa_system_sgpr_workgroup_id_y 0
		.amdhsa_system_sgpr_workgroup_id_z 0
		.amdhsa_system_sgpr_workgroup_info 0
		.amdhsa_system_vgpr_workitem_id 0
		.amdhsa_next_free_vgpr 65
		.amdhsa_next_free_sgpr 16
		.amdhsa_reserve_vcc 1
		.amdhsa_float_round_mode_32 0
		.amdhsa_float_round_mode_16_64 0
		.amdhsa_float_denorm_mode_32 3
		.amdhsa_float_denorm_mode_16_64 3
		.amdhsa_dx10_clamp 1
		.amdhsa_ieee_mode 1
		.amdhsa_fp16_overflow 0
		.amdhsa_workgroup_processor_mode 1
		.amdhsa_memory_ordered 1
		.amdhsa_forward_progress 0
		.amdhsa_shared_vgpr_count 0
		.amdhsa_exception_fp_ieee_invalid_op 0
		.amdhsa_exception_fp_denorm_src 0
		.amdhsa_exception_fp_ieee_div_zero 0
		.amdhsa_exception_fp_ieee_overflow 0
		.amdhsa_exception_fp_ieee_underflow 0
		.amdhsa_exception_fp_ieee_inexact 0
		.amdhsa_exception_int_div_zero 0
	.end_amdhsa_kernel
	.section	.text._ZN9rocsparseL19gebsrmvn_2xn_kernelILj128ELj8ELj8EdEEvi20rocsparse_direction_NS_24const_host_device_scalarIT2_EEPKiS6_PKS3_S8_S4_PS3_21rocsparse_index_base_b,"axG",@progbits,_ZN9rocsparseL19gebsrmvn_2xn_kernelILj128ELj8ELj8EdEEvi20rocsparse_direction_NS_24const_host_device_scalarIT2_EEPKiS6_PKS3_S8_S4_PS3_21rocsparse_index_base_b,comdat
.Lfunc_end107:
	.size	_ZN9rocsparseL19gebsrmvn_2xn_kernelILj128ELj8ELj8EdEEvi20rocsparse_direction_NS_24const_host_device_scalarIT2_EEPKiS6_PKS3_S8_S4_PS3_21rocsparse_index_base_b, .Lfunc_end107-_ZN9rocsparseL19gebsrmvn_2xn_kernelILj128ELj8ELj8EdEEvi20rocsparse_direction_NS_24const_host_device_scalarIT2_EEPKiS6_PKS3_S8_S4_PS3_21rocsparse_index_base_b
                                        ; -- End function
	.section	.AMDGPU.csdata,"",@progbits
; Kernel info:
; codeLenInByte = 1740
; NumSgprs: 18
; NumVgprs: 65
; ScratchSize: 0
; MemoryBound: 1
; FloatMode: 240
; IeeeMode: 1
; LDSByteSize: 0 bytes/workgroup (compile time only)
; SGPRBlocks: 2
; VGPRBlocks: 8
; NumSGPRsForWavesPerEU: 18
; NumVGPRsForWavesPerEU: 65
; Occupancy: 16
; WaveLimiterHint : 1
; COMPUTE_PGM_RSRC2:SCRATCH_EN: 0
; COMPUTE_PGM_RSRC2:USER_SGPR: 15
; COMPUTE_PGM_RSRC2:TRAP_HANDLER: 0
; COMPUTE_PGM_RSRC2:TGID_X_EN: 1
; COMPUTE_PGM_RSRC2:TGID_Y_EN: 0
; COMPUTE_PGM_RSRC2:TGID_Z_EN: 0
; COMPUTE_PGM_RSRC2:TIDIG_COMP_CNT: 0
	.section	.text._ZN9rocsparseL19gebsrmvn_2xn_kernelILj128ELj8ELj16EdEEvi20rocsparse_direction_NS_24const_host_device_scalarIT2_EEPKiS6_PKS3_S8_S4_PS3_21rocsparse_index_base_b,"axG",@progbits,_ZN9rocsparseL19gebsrmvn_2xn_kernelILj128ELj8ELj16EdEEvi20rocsparse_direction_NS_24const_host_device_scalarIT2_EEPKiS6_PKS3_S8_S4_PS3_21rocsparse_index_base_b,comdat
	.globl	_ZN9rocsparseL19gebsrmvn_2xn_kernelILj128ELj8ELj16EdEEvi20rocsparse_direction_NS_24const_host_device_scalarIT2_EEPKiS6_PKS3_S8_S4_PS3_21rocsparse_index_base_b ; -- Begin function _ZN9rocsparseL19gebsrmvn_2xn_kernelILj128ELj8ELj16EdEEvi20rocsparse_direction_NS_24const_host_device_scalarIT2_EEPKiS6_PKS3_S8_S4_PS3_21rocsparse_index_base_b
	.p2align	8
	.type	_ZN9rocsparseL19gebsrmvn_2xn_kernelILj128ELj8ELj16EdEEvi20rocsparse_direction_NS_24const_host_device_scalarIT2_EEPKiS6_PKS3_S8_S4_PS3_21rocsparse_index_base_b,@function
_ZN9rocsparseL19gebsrmvn_2xn_kernelILj128ELj8ELj16EdEEvi20rocsparse_direction_NS_24const_host_device_scalarIT2_EEPKiS6_PKS3_S8_S4_PS3_21rocsparse_index_base_b: ; @_ZN9rocsparseL19gebsrmvn_2xn_kernelILj128ELj8ELj16EdEEvi20rocsparse_direction_NS_24const_host_device_scalarIT2_EEPKiS6_PKS3_S8_S4_PS3_21rocsparse_index_base_b
; %bb.0:
	s_clause 0x2
	s_load_b64 s[12:13], s[0:1], 0x40
	s_load_b64 s[4:5], s[0:1], 0x8
	s_load_b64 s[2:3], s[0:1], 0x30
	s_waitcnt lgkmcnt(0)
	s_bitcmp1_b32 s13, 0
	v_dual_mov_b32 v1, s4 :: v_dual_mov_b32 v2, s5
	s_cselect_b32 s6, -1, 0
	s_delay_alu instid0(SALU_CYCLE_1)
	s_and_b32 vcc_lo, exec_lo, s6
	s_xor_b32 s6, s6, -1
	s_cbranch_vccnz .LBB108_2
; %bb.1:
	v_dual_mov_b32 v1, s4 :: v_dual_mov_b32 v2, s5
	flat_load_b64 v[1:2], v[1:2]
.LBB108_2:
	v_dual_mov_b32 v4, s3 :: v_dual_mov_b32 v3, s2
	s_and_not1_b32 vcc_lo, exec_lo, s6
	s_cbranch_vccnz .LBB108_4
; %bb.3:
	v_dual_mov_b32 v4, s3 :: v_dual_mov_b32 v3, s2
	flat_load_b64 v[3:4], v[3:4]
.LBB108_4:
	s_waitcnt vmcnt(0) lgkmcnt(0)
	v_cmp_neq_f64_e32 vcc_lo, 0, v[1:2]
	v_cmp_neq_f64_e64 s2, 1.0, v[3:4]
	s_delay_alu instid0(VALU_DEP_1) | instskip(NEXT) | instid1(SALU_CYCLE_1)
	s_or_b32 s2, vcc_lo, s2
	s_and_saveexec_b32 s3, s2
	s_cbranch_execz .LBB108_23
; %bb.5:
	s_load_b64 s[2:3], s[0:1], 0x0
	v_lshrrev_b32_e32 v5, 4, v0
	s_delay_alu instid0(VALU_DEP_1) | instskip(SKIP_1) | instid1(VALU_DEP_1)
	v_lshl_or_b32 v5, s15, 3, v5
	s_waitcnt lgkmcnt(0)
	v_cmp_gt_i32_e32 vcc_lo, s2, v5
	s_and_b32 exec_lo, exec_lo, vcc_lo
	s_cbranch_execz .LBB108_23
; %bb.6:
	s_load_b256 s[4:11], s[0:1], 0x10
	v_ashrrev_i32_e32 v6, 31, v5
	v_and_b32_e32 v0, 15, v0
	s_cmp_lg_u32 s3, 0
	s_delay_alu instid0(VALU_DEP_2) | instskip(SKIP_1) | instid1(VALU_DEP_1)
	v_lshlrev_b64 v[6:7], 2, v[5:6]
	s_waitcnt lgkmcnt(0)
	v_add_co_u32 v6, vcc_lo, s4, v6
	s_delay_alu instid0(VALU_DEP_2) | instskip(SKIP_4) | instid1(VALU_DEP_2)
	v_add_co_ci_u32_e32 v7, vcc_lo, s5, v7, vcc_lo
	global_load_b64 v[6:7], v[6:7], off
	s_waitcnt vmcnt(0)
	v_subrev_nc_u32_e32 v6, s12, v6
	v_subrev_nc_u32_e32 v16, s12, v7
	v_add_nc_u32_e32 v6, v6, v0
	s_delay_alu instid0(VALU_DEP_1)
	v_cmp_lt_i32_e64 s2, v6, v16
	s_cbranch_scc0 .LBB108_12
; %bb.7:
	v_mov_b32_e32 v10, 0
	v_mov_b32_e32 v11, 0
	s_delay_alu instid0(VALU_DEP_1)
	v_dual_mov_b32 v8, v10 :: v_dual_mov_b32 v9, v11
	s_and_saveexec_b32 s3, s2
	s_cbranch_execz .LBB108_11
; %bb.8:
	v_dual_mov_b32 v10, 0 :: v_dual_mov_b32 v13, 0
	v_dual_mov_b32 v11, 0 :: v_dual_lshlrev_b32 v12, 4, v6
	s_delay_alu instid0(VALU_DEP_2) | instskip(SKIP_2) | instid1(VALU_DEP_3)
	v_mov_b32_e32 v8, v10
	v_mov_b32_e32 v14, v6
	s_mov_b32 s4, 0
	v_mov_b32_e32 v9, v11
.LBB108_9:                              ; =>This Inner Loop Header: Depth=1
	s_delay_alu instid0(VALU_DEP_2) | instskip(NEXT) | instid1(VALU_DEP_1)
	v_ashrrev_i32_e32 v15, 31, v14
	v_lshlrev_b64 v[17:18], 2, v[14:15]
	v_add_nc_u32_e32 v14, 16, v14
	s_delay_alu instid0(VALU_DEP_2) | instskip(NEXT) | instid1(VALU_DEP_3)
	v_add_co_u32 v17, vcc_lo, s6, v17
	v_add_co_ci_u32_e32 v18, vcc_lo, s7, v18, vcc_lo
	global_load_b32 v7, v[17:18], off
	v_lshlrev_b64 v[17:18], 3, v[12:13]
	v_add_nc_u32_e32 v12, 0x100, v12
	s_delay_alu instid0(VALU_DEP_2) | instskip(NEXT) | instid1(VALU_DEP_3)
	v_add_co_u32 v61, vcc_lo, s8, v17
	v_add_co_ci_u32_e32 v62, vcc_lo, s9, v18, vcc_lo
	s_waitcnt vmcnt(0)
	v_subrev_nc_u32_e32 v7, s12, v7
	s_delay_alu instid0(VALU_DEP_1) | instskip(NEXT) | instid1(VALU_DEP_1)
	v_dual_mov_b32 v20, v13 :: v_dual_lshlrev_b32 v19, 3, v7
	v_lshlrev_b64 v[19:20], 3, v[19:20]
	s_delay_alu instid0(VALU_DEP_1) | instskip(NEXT) | instid1(VALU_DEP_2)
	v_add_co_u32 v53, vcc_lo, s10, v19
	v_add_co_ci_u32_e32 v54, vcc_lo, s11, v20, vcc_lo
	v_cmp_ge_i32_e32 vcc_lo, v14, v16
	s_clause 0x1
	global_load_b128 v[17:20], v[61:62], off offset:16
	global_load_b128 v[21:24], v[61:62], off
	s_clause 0x1
	global_load_b128 v[25:28], v[53:54], off
	global_load_b128 v[29:32], v[53:54], off offset:16
	s_clause 0x3
	global_load_b128 v[33:36], v[61:62], off offset:32
	global_load_b128 v[37:40], v[61:62], off offset:48
	;; [unrolled: 1-line block ×4, first 2 shown]
	s_clause 0x1
	global_load_b128 v[49:52], v[53:54], off offset:32
	global_load_b128 v[53:56], v[53:54], off offset:48
	s_clause 0x1
	global_load_b128 v[57:60], v[61:62], off offset:96
	global_load_b128 v[61:64], v[61:62], off offset:112
	s_or_b32 s4, vcc_lo, s4
	s_waitcnt vmcnt(9)
	v_fma_f64 v[10:11], v[21:22], v[25:26], v[10:11]
	v_fma_f64 v[7:8], v[23:24], v[25:26], v[8:9]
	s_delay_alu instid0(VALU_DEP_2) | instskip(NEXT) | instid1(VALU_DEP_2)
	v_fma_f64 v[9:10], v[17:18], v[27:28], v[10:11]
	v_fma_f64 v[7:8], v[19:20], v[27:28], v[7:8]
	s_waitcnt vmcnt(7)
	s_delay_alu instid0(VALU_DEP_2) | instskip(NEXT) | instid1(VALU_DEP_2)
	v_fma_f64 v[9:10], v[33:34], v[29:30], v[9:10]
	v_fma_f64 v[7:8], v[35:36], v[29:30], v[7:8]
	s_waitcnt vmcnt(6)
	;; [unrolled: 4-line block ×3, first 2 shown]
	s_delay_alu instid0(VALU_DEP_2) | instskip(NEXT) | instid1(VALU_DEP_2)
	v_fma_f64 v[9:10], v[45:46], v[49:50], v[9:10]
	v_fma_f64 v[7:8], v[47:48], v[49:50], v[7:8]
	s_delay_alu instid0(VALU_DEP_2) | instskip(NEXT) | instid1(VALU_DEP_2)
	v_fma_f64 v[9:10], v[41:42], v[51:52], v[9:10]
	v_fma_f64 v[7:8], v[43:44], v[51:52], v[7:8]
	s_waitcnt vmcnt(1)
	s_delay_alu instid0(VALU_DEP_2) | instskip(NEXT) | instid1(VALU_DEP_2)
	v_fma_f64 v[9:10], v[57:58], v[53:54], v[9:10]
	v_fma_f64 v[7:8], v[59:60], v[53:54], v[7:8]
	s_waitcnt vmcnt(0)
	s_delay_alu instid0(VALU_DEP_2) | instskip(NEXT) | instid1(VALU_DEP_2)
	v_fma_f64 v[10:11], v[61:62], v[55:56], v[9:10]
	v_fma_f64 v[8:9], v[63:64], v[55:56], v[7:8]
	s_and_not1_b32 exec_lo, exec_lo, s4
	s_cbranch_execnz .LBB108_9
; %bb.10:
	s_or_b32 exec_lo, exec_lo, s4
.LBB108_11:
	s_delay_alu instid0(SALU_CYCLE_1)
	s_or_b32 exec_lo, exec_lo, s3
	s_cbranch_execz .LBB108_13
	s_branch .LBB108_18
.LBB108_12:
                                        ; implicit-def: $vgpr10_vgpr11
                                        ; implicit-def: $vgpr8_vgpr9
.LBB108_13:
	v_mov_b32_e32 v10, 0
	v_mov_b32_e32 v11, 0
	s_delay_alu instid0(VALU_DEP_1)
	v_dual_mov_b32 v8, v10 :: v_dual_mov_b32 v9, v11
	s_and_saveexec_b32 s3, s2
	s_cbranch_execz .LBB108_17
; %bb.14:
	v_dual_mov_b32 v10, 0 :: v_dual_mov_b32 v13, 0
	v_dual_mov_b32 v11, 0 :: v_dual_lshlrev_b32 v12, 4, v6
	s_delay_alu instid0(VALU_DEP_2) | instskip(SKIP_1) | instid1(VALU_DEP_2)
	v_mov_b32_e32 v8, v10
	s_mov_b32 s2, 0
	v_mov_b32_e32 v9, v11
.LBB108_15:                             ; =>This Inner Loop Header: Depth=1
	v_ashrrev_i32_e32 v7, 31, v6
	s_delay_alu instid0(VALU_DEP_1) | instskip(SKIP_1) | instid1(VALU_DEP_2)
	v_lshlrev_b64 v[14:15], 2, v[6:7]
	v_add_nc_u32_e32 v6, 16, v6
	v_add_co_u32 v14, vcc_lo, s6, v14
	s_delay_alu instid0(VALU_DEP_3) | instskip(SKIP_3) | instid1(VALU_DEP_2)
	v_add_co_ci_u32_e32 v15, vcc_lo, s7, v15, vcc_lo
	global_load_b32 v7, v[14:15], off
	v_lshlrev_b64 v[14:15], 3, v[12:13]
	v_add_nc_u32_e32 v12, 0x100, v12
	v_add_co_u32 v14, vcc_lo, s8, v14
	s_delay_alu instid0(VALU_DEP_3) | instskip(SKIP_2) | instid1(VALU_DEP_1)
	v_add_co_ci_u32_e32 v15, vcc_lo, s9, v15, vcc_lo
	s_waitcnt vmcnt(0)
	v_subrev_nc_u32_e32 v7, s12, v7
	v_dual_mov_b32 v18, v13 :: v_dual_lshlrev_b32 v17, 3, v7
	s_delay_alu instid0(VALU_DEP_1)
	v_lshlrev_b64 v[21:22], 3, v[17:18]
	global_load_b128 v[17:20], v[14:15], off offset:16
	v_add_co_u32 v61, vcc_lo, s10, v21
	v_add_co_ci_u32_e32 v62, vcc_lo, s11, v22, vcc_lo
	s_clause 0x2
	global_load_b128 v[21:24], v[14:15], off
	global_load_b128 v[25:28], v[14:15], off offset:80
	global_load_b128 v[29:32], v[14:15], off offset:64
	s_clause 0x1
	global_load_b128 v[33:36], v[61:62], off
	global_load_b128 v[37:40], v[61:62], off offset:16
	s_clause 0x3
	global_load_b128 v[41:44], v[14:15], off offset:48
	global_load_b128 v[45:48], v[14:15], off offset:32
	;; [unrolled: 1-line block ×4, first 2 shown]
	s_clause 0x1
	global_load_b128 v[57:60], v[61:62], off offset:32
	global_load_b128 v[61:64], v[61:62], off offset:48
	v_cmp_ge_i32_e32 vcc_lo, v6, v16
	s_or_b32 s2, vcc_lo, s2
	s_waitcnt vmcnt(7)
	v_fma_f64 v[10:11], v[21:22], v[33:34], v[10:11]
	v_fma_f64 v[7:8], v[29:30], v[33:34], v[8:9]
	s_delay_alu instid0(VALU_DEP_2) | instskip(NEXT) | instid1(VALU_DEP_2)
	v_fma_f64 v[9:10], v[23:24], v[35:36], v[10:11]
	v_fma_f64 v[7:8], v[31:32], v[35:36], v[7:8]
	s_waitcnt vmcnt(6)
	s_delay_alu instid0(VALU_DEP_2) | instskip(NEXT) | instid1(VALU_DEP_2)
	v_fma_f64 v[9:10], v[17:18], v[37:38], v[9:10]
	v_fma_f64 v[7:8], v[25:26], v[37:38], v[7:8]
	s_delay_alu instid0(VALU_DEP_2) | instskip(NEXT) | instid1(VALU_DEP_2)
	v_fma_f64 v[9:10], v[19:20], v[39:40], v[9:10]
	v_fma_f64 v[7:8], v[27:28], v[39:40], v[7:8]
	s_waitcnt vmcnt(1)
	s_delay_alu instid0(VALU_DEP_2) | instskip(NEXT) | instid1(VALU_DEP_2)
	;; [unrolled: 7-line block ×3, first 2 shown]
	v_fma_f64 v[9:10], v[41:42], v[61:62], v[9:10]
	v_fma_f64 v[7:8], v[49:50], v[61:62], v[7:8]
	s_delay_alu instid0(VALU_DEP_2) | instskip(NEXT) | instid1(VALU_DEP_2)
	v_fma_f64 v[10:11], v[43:44], v[63:64], v[9:10]
	v_fma_f64 v[8:9], v[51:52], v[63:64], v[7:8]
	s_and_not1_b32 exec_lo, exec_lo, s2
	s_cbranch_execnz .LBB108_15
; %bb.16:
	s_or_b32 exec_lo, exec_lo, s2
.LBB108_17:
	s_delay_alu instid0(SALU_CYCLE_1)
	s_or_b32 exec_lo, exec_lo, s3
.LBB108_18:
	v_mbcnt_lo_u32_b32 v14, -1, 0
	s_delay_alu instid0(VALU_DEP_1) | instskip(NEXT) | instid1(VALU_DEP_1)
	v_xor_b32_e32 v6, 8, v14
	v_cmp_gt_i32_e32 vcc_lo, 32, v6
	v_cndmask_b32_e32 v6, v14, v6, vcc_lo
	s_delay_alu instid0(VALU_DEP_1)
	v_lshlrev_b32_e32 v13, 2, v6
	ds_bpermute_b32 v6, v13, v10
	ds_bpermute_b32 v7, v13, v11
	;; [unrolled: 1-line block ×4, first 2 shown]
	s_waitcnt lgkmcnt(2)
	v_add_f64 v[6:7], v[10:11], v[6:7]
	v_xor_b32_e32 v10, 4, v14
	s_waitcnt lgkmcnt(0)
	v_add_f64 v[8:9], v[8:9], v[12:13]
	s_delay_alu instid0(VALU_DEP_2) | instskip(SKIP_1) | instid1(VALU_DEP_1)
	v_cmp_gt_i32_e32 vcc_lo, 32, v10
	v_cndmask_b32_e32 v10, v14, v10, vcc_lo
	v_lshlrev_b32_e32 v13, 2, v10
	ds_bpermute_b32 v10, v13, v6
	ds_bpermute_b32 v11, v13, v7
	;; [unrolled: 1-line block ×4, first 2 shown]
	s_waitcnt lgkmcnt(2)
	v_add_f64 v[6:7], v[6:7], v[10:11]
	v_xor_b32_e32 v10, 2, v14
	s_waitcnt lgkmcnt(0)
	v_add_f64 v[8:9], v[8:9], v[12:13]
	s_delay_alu instid0(VALU_DEP_2) | instskip(SKIP_1) | instid1(VALU_DEP_1)
	v_cmp_gt_i32_e32 vcc_lo, 32, v10
	v_cndmask_b32_e32 v10, v14, v10, vcc_lo
	v_lshlrev_b32_e32 v13, 2, v10
	ds_bpermute_b32 v10, v13, v6
	ds_bpermute_b32 v11, v13, v7
	;; [unrolled: 1-line block ×4, first 2 shown]
	s_waitcnt lgkmcnt(2)
	v_add_f64 v[6:7], v[6:7], v[10:11]
	s_waitcnt lgkmcnt(0)
	v_add_f64 v[10:11], v[8:9], v[12:13]
	v_xor_b32_e32 v8, 1, v14
	s_delay_alu instid0(VALU_DEP_1) | instskip(SKIP_2) | instid1(VALU_DEP_2)
	v_cmp_gt_i32_e32 vcc_lo, 32, v8
	v_cndmask_b32_e32 v8, v14, v8, vcc_lo
	v_cmp_eq_u32_e32 vcc_lo, 15, v0
	v_lshlrev_b32_e32 v13, 2, v8
	ds_bpermute_b32 v8, v13, v6
	ds_bpermute_b32 v9, v13, v7
	;; [unrolled: 1-line block ×4, first 2 shown]
	s_and_b32 exec_lo, exec_lo, vcc_lo
	s_cbranch_execz .LBB108_23
; %bb.19:
	s_waitcnt lgkmcnt(2)
	v_add_f64 v[8:9], v[6:7], v[8:9]
	s_waitcnt lgkmcnt(0)
	v_add_f64 v[6:7], v[10:11], v[12:13]
	s_load_b64 s[0:1], s[0:1], 0x38
	s_mov_b32 s2, exec_lo
	v_cmpx_eq_f64_e32 0, v[3:4]
	s_xor_b32 s2, exec_lo, s2
	s_cbranch_execz .LBB108_21
; %bb.20:
	s_delay_alu instid0(VALU_DEP_3) | instskip(NEXT) | instid1(VALU_DEP_3)
	v_mul_f64 v[8:9], v[1:2], v[8:9]
	v_mul_f64 v[10:11], v[1:2], v[6:7]
	v_lshlrev_b32_e32 v0, 1, v5
                                        ; implicit-def: $vgpr5
                                        ; implicit-def: $vgpr3_vgpr4
                                        ; implicit-def: $vgpr6_vgpr7
	s_delay_alu instid0(VALU_DEP_1) | instskip(NEXT) | instid1(VALU_DEP_1)
	v_ashrrev_i32_e32 v1, 31, v0
	v_lshlrev_b64 v[0:1], 3, v[0:1]
	s_waitcnt lgkmcnt(0)
	s_delay_alu instid0(VALU_DEP_1) | instskip(NEXT) | instid1(VALU_DEP_2)
	v_add_co_u32 v0, vcc_lo, s0, v0
	v_add_co_ci_u32_e32 v1, vcc_lo, s1, v1, vcc_lo
	global_store_b128 v[0:1], v[8:11], off
                                        ; implicit-def: $vgpr1_vgpr2
                                        ; implicit-def: $vgpr8_vgpr9
.LBB108_21:
	s_and_not1_saveexec_b32 s2, s2
	s_cbranch_execz .LBB108_23
; %bb.22:
	v_lshlrev_b32_e32 v10, 1, v5
	s_delay_alu instid0(VALU_DEP_4) | instskip(NEXT) | instid1(VALU_DEP_4)
	v_mul_f64 v[8:9], v[1:2], v[8:9]
	v_mul_f64 v[5:6], v[1:2], v[6:7]
	s_delay_alu instid0(VALU_DEP_3) | instskip(NEXT) | instid1(VALU_DEP_1)
	v_ashrrev_i32_e32 v11, 31, v10
	v_lshlrev_b64 v[10:11], 3, v[10:11]
	s_waitcnt lgkmcnt(0)
	s_delay_alu instid0(VALU_DEP_1) | instskip(NEXT) | instid1(VALU_DEP_2)
	v_add_co_u32 v14, vcc_lo, s0, v10
	v_add_co_ci_u32_e32 v15, vcc_lo, s1, v11, vcc_lo
	global_load_b128 v[10:13], v[14:15], off
	s_waitcnt vmcnt(0)
	v_fma_f64 v[0:1], v[3:4], v[10:11], v[8:9]
	v_fma_f64 v[2:3], v[3:4], v[12:13], v[5:6]
	global_store_b128 v[14:15], v[0:3], off
.LBB108_23:
	s_nop 0
	s_sendmsg sendmsg(MSG_DEALLOC_VGPRS)
	s_endpgm
	.section	.rodata,"a",@progbits
	.p2align	6, 0x0
	.amdhsa_kernel _ZN9rocsparseL19gebsrmvn_2xn_kernelILj128ELj8ELj16EdEEvi20rocsparse_direction_NS_24const_host_device_scalarIT2_EEPKiS6_PKS3_S8_S4_PS3_21rocsparse_index_base_b
		.amdhsa_group_segment_fixed_size 0
		.amdhsa_private_segment_fixed_size 0
		.amdhsa_kernarg_size 72
		.amdhsa_user_sgpr_count 15
		.amdhsa_user_sgpr_dispatch_ptr 0
		.amdhsa_user_sgpr_queue_ptr 0
		.amdhsa_user_sgpr_kernarg_segment_ptr 1
		.amdhsa_user_sgpr_dispatch_id 0
		.amdhsa_user_sgpr_private_segment_size 0
		.amdhsa_wavefront_size32 1
		.amdhsa_uses_dynamic_stack 0
		.amdhsa_enable_private_segment 0
		.amdhsa_system_sgpr_workgroup_id_x 1
		.amdhsa_system_sgpr_workgroup_id_y 0
		.amdhsa_system_sgpr_workgroup_id_z 0
		.amdhsa_system_sgpr_workgroup_info 0
		.amdhsa_system_vgpr_workitem_id 0
		.amdhsa_next_free_vgpr 65
		.amdhsa_next_free_sgpr 16
		.amdhsa_reserve_vcc 1
		.amdhsa_float_round_mode_32 0
		.amdhsa_float_round_mode_16_64 0
		.amdhsa_float_denorm_mode_32 3
		.amdhsa_float_denorm_mode_16_64 3
		.amdhsa_dx10_clamp 1
		.amdhsa_ieee_mode 1
		.amdhsa_fp16_overflow 0
		.amdhsa_workgroup_processor_mode 1
		.amdhsa_memory_ordered 1
		.amdhsa_forward_progress 0
		.amdhsa_shared_vgpr_count 0
		.amdhsa_exception_fp_ieee_invalid_op 0
		.amdhsa_exception_fp_denorm_src 0
		.amdhsa_exception_fp_ieee_div_zero 0
		.amdhsa_exception_fp_ieee_overflow 0
		.amdhsa_exception_fp_ieee_underflow 0
		.amdhsa_exception_fp_ieee_inexact 0
		.amdhsa_exception_int_div_zero 0
	.end_amdhsa_kernel
	.section	.text._ZN9rocsparseL19gebsrmvn_2xn_kernelILj128ELj8ELj16EdEEvi20rocsparse_direction_NS_24const_host_device_scalarIT2_EEPKiS6_PKS3_S8_S4_PS3_21rocsparse_index_base_b,"axG",@progbits,_ZN9rocsparseL19gebsrmvn_2xn_kernelILj128ELj8ELj16EdEEvi20rocsparse_direction_NS_24const_host_device_scalarIT2_EEPKiS6_PKS3_S8_S4_PS3_21rocsparse_index_base_b,comdat
.Lfunc_end108:
	.size	_ZN9rocsparseL19gebsrmvn_2xn_kernelILj128ELj8ELj16EdEEvi20rocsparse_direction_NS_24const_host_device_scalarIT2_EEPKiS6_PKS3_S8_S4_PS3_21rocsparse_index_base_b, .Lfunc_end108-_ZN9rocsparseL19gebsrmvn_2xn_kernelILj128ELj8ELj16EdEEvi20rocsparse_direction_NS_24const_host_device_scalarIT2_EEPKiS6_PKS3_S8_S4_PS3_21rocsparse_index_base_b
                                        ; -- End function
	.section	.AMDGPU.csdata,"",@progbits
; Kernel info:
; codeLenInByte = 1816
; NumSgprs: 18
; NumVgprs: 65
; ScratchSize: 0
; MemoryBound: 1
; FloatMode: 240
; IeeeMode: 1
; LDSByteSize: 0 bytes/workgroup (compile time only)
; SGPRBlocks: 2
; VGPRBlocks: 8
; NumSGPRsForWavesPerEU: 18
; NumVGPRsForWavesPerEU: 65
; Occupancy: 16
; WaveLimiterHint : 1
; COMPUTE_PGM_RSRC2:SCRATCH_EN: 0
; COMPUTE_PGM_RSRC2:USER_SGPR: 15
; COMPUTE_PGM_RSRC2:TRAP_HANDLER: 0
; COMPUTE_PGM_RSRC2:TGID_X_EN: 1
; COMPUTE_PGM_RSRC2:TGID_Y_EN: 0
; COMPUTE_PGM_RSRC2:TGID_Z_EN: 0
; COMPUTE_PGM_RSRC2:TIDIG_COMP_CNT: 0
	.section	.text._ZN9rocsparseL19gebsrmvn_2xn_kernelILj128ELj8ELj32EdEEvi20rocsparse_direction_NS_24const_host_device_scalarIT2_EEPKiS6_PKS3_S8_S4_PS3_21rocsparse_index_base_b,"axG",@progbits,_ZN9rocsparseL19gebsrmvn_2xn_kernelILj128ELj8ELj32EdEEvi20rocsparse_direction_NS_24const_host_device_scalarIT2_EEPKiS6_PKS3_S8_S4_PS3_21rocsparse_index_base_b,comdat
	.globl	_ZN9rocsparseL19gebsrmvn_2xn_kernelILj128ELj8ELj32EdEEvi20rocsparse_direction_NS_24const_host_device_scalarIT2_EEPKiS6_PKS3_S8_S4_PS3_21rocsparse_index_base_b ; -- Begin function _ZN9rocsparseL19gebsrmvn_2xn_kernelILj128ELj8ELj32EdEEvi20rocsparse_direction_NS_24const_host_device_scalarIT2_EEPKiS6_PKS3_S8_S4_PS3_21rocsparse_index_base_b
	.p2align	8
	.type	_ZN9rocsparseL19gebsrmvn_2xn_kernelILj128ELj8ELj32EdEEvi20rocsparse_direction_NS_24const_host_device_scalarIT2_EEPKiS6_PKS3_S8_S4_PS3_21rocsparse_index_base_b,@function
_ZN9rocsparseL19gebsrmvn_2xn_kernelILj128ELj8ELj32EdEEvi20rocsparse_direction_NS_24const_host_device_scalarIT2_EEPKiS6_PKS3_S8_S4_PS3_21rocsparse_index_base_b: ; @_ZN9rocsparseL19gebsrmvn_2xn_kernelILj128ELj8ELj32EdEEvi20rocsparse_direction_NS_24const_host_device_scalarIT2_EEPKiS6_PKS3_S8_S4_PS3_21rocsparse_index_base_b
; %bb.0:
	s_clause 0x2
	s_load_b64 s[12:13], s[0:1], 0x40
	s_load_b64 s[4:5], s[0:1], 0x8
	;; [unrolled: 1-line block ×3, first 2 shown]
	s_waitcnt lgkmcnt(0)
	s_bitcmp1_b32 s13, 0
	v_dual_mov_b32 v1, s4 :: v_dual_mov_b32 v2, s5
	s_cselect_b32 s6, -1, 0
	s_delay_alu instid0(SALU_CYCLE_1)
	s_and_b32 vcc_lo, exec_lo, s6
	s_xor_b32 s6, s6, -1
	s_cbranch_vccnz .LBB109_2
; %bb.1:
	v_dual_mov_b32 v1, s4 :: v_dual_mov_b32 v2, s5
	flat_load_b64 v[1:2], v[1:2]
.LBB109_2:
	v_dual_mov_b32 v4, s3 :: v_dual_mov_b32 v3, s2
	s_and_not1_b32 vcc_lo, exec_lo, s6
	s_cbranch_vccnz .LBB109_4
; %bb.3:
	v_dual_mov_b32 v4, s3 :: v_dual_mov_b32 v3, s2
	flat_load_b64 v[3:4], v[3:4]
.LBB109_4:
	s_waitcnt vmcnt(0) lgkmcnt(0)
	v_cmp_neq_f64_e32 vcc_lo, 0, v[1:2]
	v_cmp_neq_f64_e64 s2, 1.0, v[3:4]
	s_delay_alu instid0(VALU_DEP_1) | instskip(NEXT) | instid1(SALU_CYCLE_1)
	s_or_b32 s2, vcc_lo, s2
	s_and_saveexec_b32 s3, s2
	s_cbranch_execz .LBB109_23
; %bb.5:
	s_load_b64 s[2:3], s[0:1], 0x0
	v_lshrrev_b32_e32 v5, 5, v0
	s_delay_alu instid0(VALU_DEP_1) | instskip(SKIP_1) | instid1(VALU_DEP_1)
	v_lshl_or_b32 v5, s15, 2, v5
	s_waitcnt lgkmcnt(0)
	v_cmp_gt_i32_e32 vcc_lo, s2, v5
	s_and_b32 exec_lo, exec_lo, vcc_lo
	s_cbranch_execz .LBB109_23
; %bb.6:
	s_load_b256 s[4:11], s[0:1], 0x10
	v_ashrrev_i32_e32 v6, 31, v5
	v_and_b32_e32 v0, 31, v0
	s_cmp_lg_u32 s3, 0
	s_delay_alu instid0(VALU_DEP_2) | instskip(SKIP_1) | instid1(VALU_DEP_1)
	v_lshlrev_b64 v[6:7], 2, v[5:6]
	s_waitcnt lgkmcnt(0)
	v_add_co_u32 v6, vcc_lo, s4, v6
	s_delay_alu instid0(VALU_DEP_2) | instskip(SKIP_4) | instid1(VALU_DEP_2)
	v_add_co_ci_u32_e32 v7, vcc_lo, s5, v7, vcc_lo
	global_load_b64 v[6:7], v[6:7], off
	s_waitcnt vmcnt(0)
	v_subrev_nc_u32_e32 v6, s12, v6
	v_subrev_nc_u32_e32 v16, s12, v7
	v_add_nc_u32_e32 v6, v6, v0
	s_delay_alu instid0(VALU_DEP_1)
	v_cmp_lt_i32_e64 s2, v6, v16
	s_cbranch_scc0 .LBB109_12
; %bb.7:
	v_mov_b32_e32 v10, 0
	v_mov_b32_e32 v11, 0
	s_delay_alu instid0(VALU_DEP_1)
	v_dual_mov_b32 v8, v10 :: v_dual_mov_b32 v9, v11
	s_and_saveexec_b32 s3, s2
	s_cbranch_execz .LBB109_11
; %bb.8:
	v_dual_mov_b32 v10, 0 :: v_dual_mov_b32 v13, 0
	v_dual_mov_b32 v11, 0 :: v_dual_lshlrev_b32 v12, 4, v6
	s_delay_alu instid0(VALU_DEP_2) | instskip(SKIP_2) | instid1(VALU_DEP_3)
	v_mov_b32_e32 v8, v10
	v_mov_b32_e32 v14, v6
	s_mov_b32 s4, 0
	v_mov_b32_e32 v9, v11
.LBB109_9:                              ; =>This Inner Loop Header: Depth=1
	s_delay_alu instid0(VALU_DEP_2) | instskip(NEXT) | instid1(VALU_DEP_1)
	v_ashrrev_i32_e32 v15, 31, v14
	v_lshlrev_b64 v[17:18], 2, v[14:15]
	v_add_nc_u32_e32 v14, 32, v14
	s_delay_alu instid0(VALU_DEP_2) | instskip(NEXT) | instid1(VALU_DEP_3)
	v_add_co_u32 v17, vcc_lo, s6, v17
	v_add_co_ci_u32_e32 v18, vcc_lo, s7, v18, vcc_lo
	global_load_b32 v7, v[17:18], off
	v_lshlrev_b64 v[17:18], 3, v[12:13]
	v_add_nc_u32_e32 v12, 0x200, v12
	s_delay_alu instid0(VALU_DEP_2) | instskip(NEXT) | instid1(VALU_DEP_3)
	v_add_co_u32 v61, vcc_lo, s8, v17
	v_add_co_ci_u32_e32 v62, vcc_lo, s9, v18, vcc_lo
	s_waitcnt vmcnt(0)
	v_subrev_nc_u32_e32 v7, s12, v7
	s_delay_alu instid0(VALU_DEP_1) | instskip(NEXT) | instid1(VALU_DEP_1)
	v_dual_mov_b32 v20, v13 :: v_dual_lshlrev_b32 v19, 3, v7
	v_lshlrev_b64 v[19:20], 3, v[19:20]
	s_delay_alu instid0(VALU_DEP_1) | instskip(NEXT) | instid1(VALU_DEP_2)
	v_add_co_u32 v53, vcc_lo, s10, v19
	v_add_co_ci_u32_e32 v54, vcc_lo, s11, v20, vcc_lo
	v_cmp_ge_i32_e32 vcc_lo, v14, v16
	s_clause 0x1
	global_load_b128 v[17:20], v[61:62], off offset:16
	global_load_b128 v[21:24], v[61:62], off
	s_clause 0x1
	global_load_b128 v[25:28], v[53:54], off
	global_load_b128 v[29:32], v[53:54], off offset:16
	s_clause 0x3
	global_load_b128 v[33:36], v[61:62], off offset:32
	global_load_b128 v[37:40], v[61:62], off offset:48
	;; [unrolled: 1-line block ×4, first 2 shown]
	s_clause 0x1
	global_load_b128 v[49:52], v[53:54], off offset:32
	global_load_b128 v[53:56], v[53:54], off offset:48
	s_clause 0x1
	global_load_b128 v[57:60], v[61:62], off offset:96
	global_load_b128 v[61:64], v[61:62], off offset:112
	s_or_b32 s4, vcc_lo, s4
	s_waitcnt vmcnt(9)
	v_fma_f64 v[10:11], v[21:22], v[25:26], v[10:11]
	v_fma_f64 v[7:8], v[23:24], v[25:26], v[8:9]
	s_delay_alu instid0(VALU_DEP_2) | instskip(NEXT) | instid1(VALU_DEP_2)
	v_fma_f64 v[9:10], v[17:18], v[27:28], v[10:11]
	v_fma_f64 v[7:8], v[19:20], v[27:28], v[7:8]
	s_waitcnt vmcnt(7)
	s_delay_alu instid0(VALU_DEP_2) | instskip(NEXT) | instid1(VALU_DEP_2)
	v_fma_f64 v[9:10], v[33:34], v[29:30], v[9:10]
	v_fma_f64 v[7:8], v[35:36], v[29:30], v[7:8]
	s_waitcnt vmcnt(6)
	;; [unrolled: 4-line block ×3, first 2 shown]
	s_delay_alu instid0(VALU_DEP_2) | instskip(NEXT) | instid1(VALU_DEP_2)
	v_fma_f64 v[9:10], v[45:46], v[49:50], v[9:10]
	v_fma_f64 v[7:8], v[47:48], v[49:50], v[7:8]
	s_delay_alu instid0(VALU_DEP_2) | instskip(NEXT) | instid1(VALU_DEP_2)
	v_fma_f64 v[9:10], v[41:42], v[51:52], v[9:10]
	v_fma_f64 v[7:8], v[43:44], v[51:52], v[7:8]
	s_waitcnt vmcnt(1)
	s_delay_alu instid0(VALU_DEP_2) | instskip(NEXT) | instid1(VALU_DEP_2)
	v_fma_f64 v[9:10], v[57:58], v[53:54], v[9:10]
	v_fma_f64 v[7:8], v[59:60], v[53:54], v[7:8]
	s_waitcnt vmcnt(0)
	s_delay_alu instid0(VALU_DEP_2) | instskip(NEXT) | instid1(VALU_DEP_2)
	v_fma_f64 v[10:11], v[61:62], v[55:56], v[9:10]
	v_fma_f64 v[8:9], v[63:64], v[55:56], v[7:8]
	s_and_not1_b32 exec_lo, exec_lo, s4
	s_cbranch_execnz .LBB109_9
; %bb.10:
	s_or_b32 exec_lo, exec_lo, s4
.LBB109_11:
	s_delay_alu instid0(SALU_CYCLE_1)
	s_or_b32 exec_lo, exec_lo, s3
	s_cbranch_execz .LBB109_13
	s_branch .LBB109_18
.LBB109_12:
                                        ; implicit-def: $vgpr10_vgpr11
                                        ; implicit-def: $vgpr8_vgpr9
.LBB109_13:
	v_mov_b32_e32 v10, 0
	v_mov_b32_e32 v11, 0
	s_delay_alu instid0(VALU_DEP_1)
	v_dual_mov_b32 v8, v10 :: v_dual_mov_b32 v9, v11
	s_and_saveexec_b32 s3, s2
	s_cbranch_execz .LBB109_17
; %bb.14:
	v_dual_mov_b32 v10, 0 :: v_dual_mov_b32 v13, 0
	v_dual_mov_b32 v11, 0 :: v_dual_lshlrev_b32 v12, 4, v6
	s_delay_alu instid0(VALU_DEP_2) | instskip(SKIP_1) | instid1(VALU_DEP_2)
	v_mov_b32_e32 v8, v10
	s_mov_b32 s2, 0
	v_mov_b32_e32 v9, v11
.LBB109_15:                             ; =>This Inner Loop Header: Depth=1
	v_ashrrev_i32_e32 v7, 31, v6
	s_delay_alu instid0(VALU_DEP_1) | instskip(SKIP_1) | instid1(VALU_DEP_2)
	v_lshlrev_b64 v[14:15], 2, v[6:7]
	v_add_nc_u32_e32 v6, 32, v6
	v_add_co_u32 v14, vcc_lo, s6, v14
	s_delay_alu instid0(VALU_DEP_3) | instskip(SKIP_3) | instid1(VALU_DEP_2)
	v_add_co_ci_u32_e32 v15, vcc_lo, s7, v15, vcc_lo
	global_load_b32 v7, v[14:15], off
	v_lshlrev_b64 v[14:15], 3, v[12:13]
	v_add_nc_u32_e32 v12, 0x200, v12
	v_add_co_u32 v14, vcc_lo, s8, v14
	s_delay_alu instid0(VALU_DEP_3) | instskip(SKIP_2) | instid1(VALU_DEP_1)
	v_add_co_ci_u32_e32 v15, vcc_lo, s9, v15, vcc_lo
	s_waitcnt vmcnt(0)
	v_subrev_nc_u32_e32 v7, s12, v7
	v_dual_mov_b32 v18, v13 :: v_dual_lshlrev_b32 v17, 3, v7
	s_delay_alu instid0(VALU_DEP_1)
	v_lshlrev_b64 v[21:22], 3, v[17:18]
	global_load_b128 v[17:20], v[14:15], off offset:16
	v_add_co_u32 v61, vcc_lo, s10, v21
	v_add_co_ci_u32_e32 v62, vcc_lo, s11, v22, vcc_lo
	s_clause 0x2
	global_load_b128 v[21:24], v[14:15], off
	global_load_b128 v[25:28], v[14:15], off offset:80
	global_load_b128 v[29:32], v[14:15], off offset:64
	s_clause 0x1
	global_load_b128 v[33:36], v[61:62], off
	global_load_b128 v[37:40], v[61:62], off offset:16
	s_clause 0x3
	global_load_b128 v[41:44], v[14:15], off offset:48
	global_load_b128 v[45:48], v[14:15], off offset:32
	;; [unrolled: 1-line block ×4, first 2 shown]
	s_clause 0x1
	global_load_b128 v[57:60], v[61:62], off offset:32
	global_load_b128 v[61:64], v[61:62], off offset:48
	v_cmp_ge_i32_e32 vcc_lo, v6, v16
	s_or_b32 s2, vcc_lo, s2
	s_waitcnt vmcnt(7)
	v_fma_f64 v[10:11], v[21:22], v[33:34], v[10:11]
	v_fma_f64 v[7:8], v[29:30], v[33:34], v[8:9]
	s_delay_alu instid0(VALU_DEP_2) | instskip(NEXT) | instid1(VALU_DEP_2)
	v_fma_f64 v[9:10], v[23:24], v[35:36], v[10:11]
	v_fma_f64 v[7:8], v[31:32], v[35:36], v[7:8]
	s_waitcnt vmcnt(6)
	s_delay_alu instid0(VALU_DEP_2) | instskip(NEXT) | instid1(VALU_DEP_2)
	v_fma_f64 v[9:10], v[17:18], v[37:38], v[9:10]
	v_fma_f64 v[7:8], v[25:26], v[37:38], v[7:8]
	s_delay_alu instid0(VALU_DEP_2) | instskip(NEXT) | instid1(VALU_DEP_2)
	v_fma_f64 v[9:10], v[19:20], v[39:40], v[9:10]
	v_fma_f64 v[7:8], v[27:28], v[39:40], v[7:8]
	s_waitcnt vmcnt(1)
	s_delay_alu instid0(VALU_DEP_2) | instskip(NEXT) | instid1(VALU_DEP_2)
	;; [unrolled: 7-line block ×3, first 2 shown]
	v_fma_f64 v[9:10], v[41:42], v[61:62], v[9:10]
	v_fma_f64 v[7:8], v[49:50], v[61:62], v[7:8]
	s_delay_alu instid0(VALU_DEP_2) | instskip(NEXT) | instid1(VALU_DEP_2)
	v_fma_f64 v[10:11], v[43:44], v[63:64], v[9:10]
	v_fma_f64 v[8:9], v[51:52], v[63:64], v[7:8]
	s_and_not1_b32 exec_lo, exec_lo, s2
	s_cbranch_execnz .LBB109_15
; %bb.16:
	s_or_b32 exec_lo, exec_lo, s2
.LBB109_17:
	s_delay_alu instid0(SALU_CYCLE_1)
	s_or_b32 exec_lo, exec_lo, s3
.LBB109_18:
	v_mbcnt_lo_u32_b32 v14, -1, 0
	s_delay_alu instid0(VALU_DEP_1) | instskip(NEXT) | instid1(VALU_DEP_1)
	v_xor_b32_e32 v6, 16, v14
	v_cmp_gt_i32_e32 vcc_lo, 32, v6
	v_cndmask_b32_e32 v6, v14, v6, vcc_lo
	s_delay_alu instid0(VALU_DEP_1)
	v_lshlrev_b32_e32 v13, 2, v6
	ds_bpermute_b32 v6, v13, v10
	ds_bpermute_b32 v7, v13, v11
	ds_bpermute_b32 v12, v13, v8
	ds_bpermute_b32 v13, v13, v9
	s_waitcnt lgkmcnt(2)
	v_add_f64 v[6:7], v[10:11], v[6:7]
	v_xor_b32_e32 v10, 8, v14
	s_waitcnt lgkmcnt(0)
	v_add_f64 v[8:9], v[8:9], v[12:13]
	s_delay_alu instid0(VALU_DEP_2) | instskip(SKIP_1) | instid1(VALU_DEP_1)
	v_cmp_gt_i32_e32 vcc_lo, 32, v10
	v_cndmask_b32_e32 v10, v14, v10, vcc_lo
	v_lshlrev_b32_e32 v13, 2, v10
	ds_bpermute_b32 v10, v13, v6
	ds_bpermute_b32 v11, v13, v7
	ds_bpermute_b32 v12, v13, v8
	ds_bpermute_b32 v13, v13, v9
	s_waitcnt lgkmcnt(2)
	v_add_f64 v[6:7], v[6:7], v[10:11]
	v_xor_b32_e32 v10, 4, v14
	s_waitcnt lgkmcnt(0)
	v_add_f64 v[8:9], v[8:9], v[12:13]
	s_delay_alu instid0(VALU_DEP_2) | instskip(SKIP_1) | instid1(VALU_DEP_1)
	v_cmp_gt_i32_e32 vcc_lo, 32, v10
	v_cndmask_b32_e32 v10, v14, v10, vcc_lo
	v_lshlrev_b32_e32 v13, 2, v10
	ds_bpermute_b32 v10, v13, v6
	ds_bpermute_b32 v11, v13, v7
	ds_bpermute_b32 v12, v13, v8
	ds_bpermute_b32 v13, v13, v9
	s_waitcnt lgkmcnt(2)
	v_add_f64 v[6:7], v[6:7], v[10:11]
	v_xor_b32_e32 v10, 2, v14
	s_waitcnt lgkmcnt(0)
	v_add_f64 v[8:9], v[8:9], v[12:13]
	s_delay_alu instid0(VALU_DEP_2) | instskip(SKIP_1) | instid1(VALU_DEP_1)
	v_cmp_gt_i32_e32 vcc_lo, 32, v10
	v_cndmask_b32_e32 v10, v14, v10, vcc_lo
	v_lshlrev_b32_e32 v13, 2, v10
	ds_bpermute_b32 v10, v13, v6
	ds_bpermute_b32 v11, v13, v7
	;; [unrolled: 1-line block ×4, first 2 shown]
	s_waitcnt lgkmcnt(2)
	v_add_f64 v[6:7], v[6:7], v[10:11]
	s_waitcnt lgkmcnt(0)
	v_add_f64 v[10:11], v[8:9], v[12:13]
	v_xor_b32_e32 v8, 1, v14
	s_delay_alu instid0(VALU_DEP_1) | instskip(SKIP_2) | instid1(VALU_DEP_2)
	v_cmp_gt_i32_e32 vcc_lo, 32, v8
	v_cndmask_b32_e32 v8, v14, v8, vcc_lo
	v_cmp_eq_u32_e32 vcc_lo, 31, v0
	v_lshlrev_b32_e32 v13, 2, v8
	ds_bpermute_b32 v8, v13, v6
	ds_bpermute_b32 v9, v13, v7
	;; [unrolled: 1-line block ×4, first 2 shown]
	s_and_b32 exec_lo, exec_lo, vcc_lo
	s_cbranch_execz .LBB109_23
; %bb.19:
	s_waitcnt lgkmcnt(2)
	v_add_f64 v[8:9], v[6:7], v[8:9]
	s_waitcnt lgkmcnt(0)
	v_add_f64 v[6:7], v[10:11], v[12:13]
	s_load_b64 s[0:1], s[0:1], 0x38
	s_mov_b32 s2, exec_lo
	v_cmpx_eq_f64_e32 0, v[3:4]
	s_xor_b32 s2, exec_lo, s2
	s_cbranch_execz .LBB109_21
; %bb.20:
	s_delay_alu instid0(VALU_DEP_3) | instskip(NEXT) | instid1(VALU_DEP_3)
	v_mul_f64 v[8:9], v[1:2], v[8:9]
	v_mul_f64 v[10:11], v[1:2], v[6:7]
	v_lshlrev_b32_e32 v0, 1, v5
                                        ; implicit-def: $vgpr5
                                        ; implicit-def: $vgpr3_vgpr4
                                        ; implicit-def: $vgpr6_vgpr7
	s_delay_alu instid0(VALU_DEP_1) | instskip(NEXT) | instid1(VALU_DEP_1)
	v_ashrrev_i32_e32 v1, 31, v0
	v_lshlrev_b64 v[0:1], 3, v[0:1]
	s_waitcnt lgkmcnt(0)
	s_delay_alu instid0(VALU_DEP_1) | instskip(NEXT) | instid1(VALU_DEP_2)
	v_add_co_u32 v0, vcc_lo, s0, v0
	v_add_co_ci_u32_e32 v1, vcc_lo, s1, v1, vcc_lo
	global_store_b128 v[0:1], v[8:11], off
                                        ; implicit-def: $vgpr1_vgpr2
                                        ; implicit-def: $vgpr8_vgpr9
.LBB109_21:
	s_and_not1_saveexec_b32 s2, s2
	s_cbranch_execz .LBB109_23
; %bb.22:
	v_lshlrev_b32_e32 v10, 1, v5
	s_delay_alu instid0(VALU_DEP_4) | instskip(NEXT) | instid1(VALU_DEP_4)
	v_mul_f64 v[8:9], v[1:2], v[8:9]
	v_mul_f64 v[5:6], v[1:2], v[6:7]
	s_delay_alu instid0(VALU_DEP_3) | instskip(NEXT) | instid1(VALU_DEP_1)
	v_ashrrev_i32_e32 v11, 31, v10
	v_lshlrev_b64 v[10:11], 3, v[10:11]
	s_waitcnt lgkmcnt(0)
	s_delay_alu instid0(VALU_DEP_1) | instskip(NEXT) | instid1(VALU_DEP_2)
	v_add_co_u32 v14, vcc_lo, s0, v10
	v_add_co_ci_u32_e32 v15, vcc_lo, s1, v11, vcc_lo
	global_load_b128 v[10:13], v[14:15], off
	s_waitcnt vmcnt(0)
	v_fma_f64 v[0:1], v[3:4], v[10:11], v[8:9]
	v_fma_f64 v[2:3], v[3:4], v[12:13], v[5:6]
	global_store_b128 v[14:15], v[0:3], off
.LBB109_23:
	s_nop 0
	s_sendmsg sendmsg(MSG_DEALLOC_VGPRS)
	s_endpgm
	.section	.rodata,"a",@progbits
	.p2align	6, 0x0
	.amdhsa_kernel _ZN9rocsparseL19gebsrmvn_2xn_kernelILj128ELj8ELj32EdEEvi20rocsparse_direction_NS_24const_host_device_scalarIT2_EEPKiS6_PKS3_S8_S4_PS3_21rocsparse_index_base_b
		.amdhsa_group_segment_fixed_size 0
		.amdhsa_private_segment_fixed_size 0
		.amdhsa_kernarg_size 72
		.amdhsa_user_sgpr_count 15
		.amdhsa_user_sgpr_dispatch_ptr 0
		.amdhsa_user_sgpr_queue_ptr 0
		.amdhsa_user_sgpr_kernarg_segment_ptr 1
		.amdhsa_user_sgpr_dispatch_id 0
		.amdhsa_user_sgpr_private_segment_size 0
		.amdhsa_wavefront_size32 1
		.amdhsa_uses_dynamic_stack 0
		.amdhsa_enable_private_segment 0
		.amdhsa_system_sgpr_workgroup_id_x 1
		.amdhsa_system_sgpr_workgroup_id_y 0
		.amdhsa_system_sgpr_workgroup_id_z 0
		.amdhsa_system_sgpr_workgroup_info 0
		.amdhsa_system_vgpr_workitem_id 0
		.amdhsa_next_free_vgpr 65
		.amdhsa_next_free_sgpr 16
		.amdhsa_reserve_vcc 1
		.amdhsa_float_round_mode_32 0
		.amdhsa_float_round_mode_16_64 0
		.amdhsa_float_denorm_mode_32 3
		.amdhsa_float_denorm_mode_16_64 3
		.amdhsa_dx10_clamp 1
		.amdhsa_ieee_mode 1
		.amdhsa_fp16_overflow 0
		.amdhsa_workgroup_processor_mode 1
		.amdhsa_memory_ordered 1
		.amdhsa_forward_progress 0
		.amdhsa_shared_vgpr_count 0
		.amdhsa_exception_fp_ieee_invalid_op 0
		.amdhsa_exception_fp_denorm_src 0
		.amdhsa_exception_fp_ieee_div_zero 0
		.amdhsa_exception_fp_ieee_overflow 0
		.amdhsa_exception_fp_ieee_underflow 0
		.amdhsa_exception_fp_ieee_inexact 0
		.amdhsa_exception_int_div_zero 0
	.end_amdhsa_kernel
	.section	.text._ZN9rocsparseL19gebsrmvn_2xn_kernelILj128ELj8ELj32EdEEvi20rocsparse_direction_NS_24const_host_device_scalarIT2_EEPKiS6_PKS3_S8_S4_PS3_21rocsparse_index_base_b,"axG",@progbits,_ZN9rocsparseL19gebsrmvn_2xn_kernelILj128ELj8ELj32EdEEvi20rocsparse_direction_NS_24const_host_device_scalarIT2_EEPKiS6_PKS3_S8_S4_PS3_21rocsparse_index_base_b,comdat
.Lfunc_end109:
	.size	_ZN9rocsparseL19gebsrmvn_2xn_kernelILj128ELj8ELj32EdEEvi20rocsparse_direction_NS_24const_host_device_scalarIT2_EEPKiS6_PKS3_S8_S4_PS3_21rocsparse_index_base_b, .Lfunc_end109-_ZN9rocsparseL19gebsrmvn_2xn_kernelILj128ELj8ELj32EdEEvi20rocsparse_direction_NS_24const_host_device_scalarIT2_EEPKiS6_PKS3_S8_S4_PS3_21rocsparse_index_base_b
                                        ; -- End function
	.section	.AMDGPU.csdata,"",@progbits
; Kernel info:
; codeLenInByte = 1892
; NumSgprs: 18
; NumVgprs: 65
; ScratchSize: 0
; MemoryBound: 1
; FloatMode: 240
; IeeeMode: 1
; LDSByteSize: 0 bytes/workgroup (compile time only)
; SGPRBlocks: 2
; VGPRBlocks: 8
; NumSGPRsForWavesPerEU: 18
; NumVGPRsForWavesPerEU: 65
; Occupancy: 16
; WaveLimiterHint : 1
; COMPUTE_PGM_RSRC2:SCRATCH_EN: 0
; COMPUTE_PGM_RSRC2:USER_SGPR: 15
; COMPUTE_PGM_RSRC2:TRAP_HANDLER: 0
; COMPUTE_PGM_RSRC2:TGID_X_EN: 1
; COMPUTE_PGM_RSRC2:TGID_Y_EN: 0
; COMPUTE_PGM_RSRC2:TGID_Z_EN: 0
; COMPUTE_PGM_RSRC2:TIDIG_COMP_CNT: 0
	.section	.text._ZN9rocsparseL19gebsrmvn_2xn_kernelILj128ELj8ELj64EdEEvi20rocsparse_direction_NS_24const_host_device_scalarIT2_EEPKiS6_PKS3_S8_S4_PS3_21rocsparse_index_base_b,"axG",@progbits,_ZN9rocsparseL19gebsrmvn_2xn_kernelILj128ELj8ELj64EdEEvi20rocsparse_direction_NS_24const_host_device_scalarIT2_EEPKiS6_PKS3_S8_S4_PS3_21rocsparse_index_base_b,comdat
	.globl	_ZN9rocsparseL19gebsrmvn_2xn_kernelILj128ELj8ELj64EdEEvi20rocsparse_direction_NS_24const_host_device_scalarIT2_EEPKiS6_PKS3_S8_S4_PS3_21rocsparse_index_base_b ; -- Begin function _ZN9rocsparseL19gebsrmvn_2xn_kernelILj128ELj8ELj64EdEEvi20rocsparse_direction_NS_24const_host_device_scalarIT2_EEPKiS6_PKS3_S8_S4_PS3_21rocsparse_index_base_b
	.p2align	8
	.type	_ZN9rocsparseL19gebsrmvn_2xn_kernelILj128ELj8ELj64EdEEvi20rocsparse_direction_NS_24const_host_device_scalarIT2_EEPKiS6_PKS3_S8_S4_PS3_21rocsparse_index_base_b,@function
_ZN9rocsparseL19gebsrmvn_2xn_kernelILj128ELj8ELj64EdEEvi20rocsparse_direction_NS_24const_host_device_scalarIT2_EEPKiS6_PKS3_S8_S4_PS3_21rocsparse_index_base_b: ; @_ZN9rocsparseL19gebsrmvn_2xn_kernelILj128ELj8ELj64EdEEvi20rocsparse_direction_NS_24const_host_device_scalarIT2_EEPKiS6_PKS3_S8_S4_PS3_21rocsparse_index_base_b
; %bb.0:
	s_clause 0x2
	s_load_b64 s[12:13], s[0:1], 0x40
	s_load_b64 s[4:5], s[0:1], 0x8
	;; [unrolled: 1-line block ×3, first 2 shown]
	s_waitcnt lgkmcnt(0)
	s_bitcmp1_b32 s13, 0
	v_dual_mov_b32 v1, s4 :: v_dual_mov_b32 v2, s5
	s_cselect_b32 s6, -1, 0
	s_delay_alu instid0(SALU_CYCLE_1)
	s_and_b32 vcc_lo, exec_lo, s6
	s_xor_b32 s6, s6, -1
	s_cbranch_vccnz .LBB110_2
; %bb.1:
	v_dual_mov_b32 v1, s4 :: v_dual_mov_b32 v2, s5
	flat_load_b64 v[1:2], v[1:2]
.LBB110_2:
	v_dual_mov_b32 v4, s3 :: v_dual_mov_b32 v3, s2
	s_and_not1_b32 vcc_lo, exec_lo, s6
	s_cbranch_vccnz .LBB110_4
; %bb.3:
	v_dual_mov_b32 v4, s3 :: v_dual_mov_b32 v3, s2
	flat_load_b64 v[3:4], v[3:4]
.LBB110_4:
	s_waitcnt vmcnt(0) lgkmcnt(0)
	v_cmp_neq_f64_e32 vcc_lo, 0, v[1:2]
	v_cmp_neq_f64_e64 s2, 1.0, v[3:4]
	s_delay_alu instid0(VALU_DEP_1) | instskip(NEXT) | instid1(SALU_CYCLE_1)
	s_or_b32 s2, vcc_lo, s2
	s_and_saveexec_b32 s3, s2
	s_cbranch_execz .LBB110_23
; %bb.5:
	s_load_b64 s[2:3], s[0:1], 0x0
	v_lshrrev_b32_e32 v5, 6, v0
	s_delay_alu instid0(VALU_DEP_1) | instskip(SKIP_1) | instid1(VALU_DEP_1)
	v_lshl_or_b32 v5, s15, 1, v5
	s_waitcnt lgkmcnt(0)
	v_cmp_gt_i32_e32 vcc_lo, s2, v5
	s_and_b32 exec_lo, exec_lo, vcc_lo
	s_cbranch_execz .LBB110_23
; %bb.6:
	s_load_b256 s[4:11], s[0:1], 0x10
	v_ashrrev_i32_e32 v6, 31, v5
	v_and_b32_e32 v0, 63, v0
	s_cmp_lg_u32 s3, 0
	s_delay_alu instid0(VALU_DEP_2) | instskip(SKIP_1) | instid1(VALU_DEP_1)
	v_lshlrev_b64 v[6:7], 2, v[5:6]
	s_waitcnt lgkmcnt(0)
	v_add_co_u32 v6, vcc_lo, s4, v6
	s_delay_alu instid0(VALU_DEP_2) | instskip(SKIP_4) | instid1(VALU_DEP_2)
	v_add_co_ci_u32_e32 v7, vcc_lo, s5, v7, vcc_lo
	global_load_b64 v[6:7], v[6:7], off
	s_waitcnt vmcnt(0)
	v_subrev_nc_u32_e32 v6, s12, v6
	v_subrev_nc_u32_e32 v16, s12, v7
	v_add_nc_u32_e32 v6, v6, v0
	s_delay_alu instid0(VALU_DEP_1)
	v_cmp_lt_i32_e64 s2, v6, v16
	s_cbranch_scc0 .LBB110_12
; %bb.7:
	v_mov_b32_e32 v10, 0
	v_mov_b32_e32 v11, 0
	s_delay_alu instid0(VALU_DEP_1)
	v_dual_mov_b32 v8, v10 :: v_dual_mov_b32 v9, v11
	s_and_saveexec_b32 s3, s2
	s_cbranch_execz .LBB110_11
; %bb.8:
	v_dual_mov_b32 v10, 0 :: v_dual_mov_b32 v13, 0
	v_dual_mov_b32 v11, 0 :: v_dual_lshlrev_b32 v12, 4, v6
	s_delay_alu instid0(VALU_DEP_2) | instskip(SKIP_2) | instid1(VALU_DEP_3)
	v_mov_b32_e32 v8, v10
	v_mov_b32_e32 v14, v6
	s_mov_b32 s4, 0
	v_mov_b32_e32 v9, v11
.LBB110_9:                              ; =>This Inner Loop Header: Depth=1
	s_delay_alu instid0(VALU_DEP_2) | instskip(NEXT) | instid1(VALU_DEP_1)
	v_ashrrev_i32_e32 v15, 31, v14
	v_lshlrev_b64 v[17:18], 2, v[14:15]
	v_add_nc_u32_e32 v14, 64, v14
	s_delay_alu instid0(VALU_DEP_2) | instskip(NEXT) | instid1(VALU_DEP_3)
	v_add_co_u32 v17, vcc_lo, s6, v17
	v_add_co_ci_u32_e32 v18, vcc_lo, s7, v18, vcc_lo
	global_load_b32 v7, v[17:18], off
	v_lshlrev_b64 v[17:18], 3, v[12:13]
	v_add_nc_u32_e32 v12, 0x400, v12
	s_delay_alu instid0(VALU_DEP_2) | instskip(NEXT) | instid1(VALU_DEP_3)
	v_add_co_u32 v61, vcc_lo, s8, v17
	v_add_co_ci_u32_e32 v62, vcc_lo, s9, v18, vcc_lo
	s_waitcnt vmcnt(0)
	v_subrev_nc_u32_e32 v7, s12, v7
	s_delay_alu instid0(VALU_DEP_1) | instskip(NEXT) | instid1(VALU_DEP_1)
	v_dual_mov_b32 v20, v13 :: v_dual_lshlrev_b32 v19, 3, v7
	v_lshlrev_b64 v[19:20], 3, v[19:20]
	s_delay_alu instid0(VALU_DEP_1) | instskip(NEXT) | instid1(VALU_DEP_2)
	v_add_co_u32 v53, vcc_lo, s10, v19
	v_add_co_ci_u32_e32 v54, vcc_lo, s11, v20, vcc_lo
	v_cmp_ge_i32_e32 vcc_lo, v14, v16
	s_clause 0x1
	global_load_b128 v[17:20], v[61:62], off offset:16
	global_load_b128 v[21:24], v[61:62], off
	s_clause 0x1
	global_load_b128 v[25:28], v[53:54], off
	global_load_b128 v[29:32], v[53:54], off offset:16
	s_clause 0x3
	global_load_b128 v[33:36], v[61:62], off offset:32
	global_load_b128 v[37:40], v[61:62], off offset:48
	global_load_b128 v[41:44], v[61:62], off offset:80
	global_load_b128 v[45:48], v[61:62], off offset:64
	s_clause 0x1
	global_load_b128 v[49:52], v[53:54], off offset:32
	global_load_b128 v[53:56], v[53:54], off offset:48
	s_clause 0x1
	global_load_b128 v[57:60], v[61:62], off offset:96
	global_load_b128 v[61:64], v[61:62], off offset:112
	s_or_b32 s4, vcc_lo, s4
	s_waitcnt vmcnt(9)
	v_fma_f64 v[10:11], v[21:22], v[25:26], v[10:11]
	v_fma_f64 v[7:8], v[23:24], v[25:26], v[8:9]
	s_delay_alu instid0(VALU_DEP_2) | instskip(NEXT) | instid1(VALU_DEP_2)
	v_fma_f64 v[9:10], v[17:18], v[27:28], v[10:11]
	v_fma_f64 v[7:8], v[19:20], v[27:28], v[7:8]
	s_waitcnt vmcnt(7)
	s_delay_alu instid0(VALU_DEP_2) | instskip(NEXT) | instid1(VALU_DEP_2)
	v_fma_f64 v[9:10], v[33:34], v[29:30], v[9:10]
	v_fma_f64 v[7:8], v[35:36], v[29:30], v[7:8]
	s_waitcnt vmcnt(6)
	;; [unrolled: 4-line block ×3, first 2 shown]
	s_delay_alu instid0(VALU_DEP_2) | instskip(NEXT) | instid1(VALU_DEP_2)
	v_fma_f64 v[9:10], v[45:46], v[49:50], v[9:10]
	v_fma_f64 v[7:8], v[47:48], v[49:50], v[7:8]
	s_delay_alu instid0(VALU_DEP_2) | instskip(NEXT) | instid1(VALU_DEP_2)
	v_fma_f64 v[9:10], v[41:42], v[51:52], v[9:10]
	v_fma_f64 v[7:8], v[43:44], v[51:52], v[7:8]
	s_waitcnt vmcnt(1)
	s_delay_alu instid0(VALU_DEP_2) | instskip(NEXT) | instid1(VALU_DEP_2)
	v_fma_f64 v[9:10], v[57:58], v[53:54], v[9:10]
	v_fma_f64 v[7:8], v[59:60], v[53:54], v[7:8]
	s_waitcnt vmcnt(0)
	s_delay_alu instid0(VALU_DEP_2) | instskip(NEXT) | instid1(VALU_DEP_2)
	v_fma_f64 v[10:11], v[61:62], v[55:56], v[9:10]
	v_fma_f64 v[8:9], v[63:64], v[55:56], v[7:8]
	s_and_not1_b32 exec_lo, exec_lo, s4
	s_cbranch_execnz .LBB110_9
; %bb.10:
	s_or_b32 exec_lo, exec_lo, s4
.LBB110_11:
	s_delay_alu instid0(SALU_CYCLE_1)
	s_or_b32 exec_lo, exec_lo, s3
	s_cbranch_execz .LBB110_13
	s_branch .LBB110_18
.LBB110_12:
                                        ; implicit-def: $vgpr10_vgpr11
                                        ; implicit-def: $vgpr8_vgpr9
.LBB110_13:
	v_mov_b32_e32 v10, 0
	v_mov_b32_e32 v11, 0
	s_delay_alu instid0(VALU_DEP_1)
	v_dual_mov_b32 v8, v10 :: v_dual_mov_b32 v9, v11
	s_and_saveexec_b32 s3, s2
	s_cbranch_execz .LBB110_17
; %bb.14:
	v_dual_mov_b32 v10, 0 :: v_dual_mov_b32 v13, 0
	v_dual_mov_b32 v11, 0 :: v_dual_lshlrev_b32 v12, 4, v6
	s_delay_alu instid0(VALU_DEP_2) | instskip(SKIP_1) | instid1(VALU_DEP_2)
	v_mov_b32_e32 v8, v10
	s_mov_b32 s2, 0
	v_mov_b32_e32 v9, v11
.LBB110_15:                             ; =>This Inner Loop Header: Depth=1
	v_ashrrev_i32_e32 v7, 31, v6
	s_delay_alu instid0(VALU_DEP_1) | instskip(SKIP_1) | instid1(VALU_DEP_2)
	v_lshlrev_b64 v[14:15], 2, v[6:7]
	v_add_nc_u32_e32 v6, 64, v6
	v_add_co_u32 v14, vcc_lo, s6, v14
	s_delay_alu instid0(VALU_DEP_3) | instskip(SKIP_3) | instid1(VALU_DEP_2)
	v_add_co_ci_u32_e32 v15, vcc_lo, s7, v15, vcc_lo
	global_load_b32 v7, v[14:15], off
	v_lshlrev_b64 v[14:15], 3, v[12:13]
	v_add_nc_u32_e32 v12, 0x400, v12
	v_add_co_u32 v14, vcc_lo, s8, v14
	s_delay_alu instid0(VALU_DEP_3) | instskip(SKIP_2) | instid1(VALU_DEP_1)
	v_add_co_ci_u32_e32 v15, vcc_lo, s9, v15, vcc_lo
	s_waitcnt vmcnt(0)
	v_subrev_nc_u32_e32 v7, s12, v7
	v_dual_mov_b32 v18, v13 :: v_dual_lshlrev_b32 v17, 3, v7
	s_delay_alu instid0(VALU_DEP_1)
	v_lshlrev_b64 v[21:22], 3, v[17:18]
	global_load_b128 v[17:20], v[14:15], off offset:16
	v_add_co_u32 v61, vcc_lo, s10, v21
	v_add_co_ci_u32_e32 v62, vcc_lo, s11, v22, vcc_lo
	s_clause 0x2
	global_load_b128 v[21:24], v[14:15], off
	global_load_b128 v[25:28], v[14:15], off offset:80
	global_load_b128 v[29:32], v[14:15], off offset:64
	s_clause 0x1
	global_load_b128 v[33:36], v[61:62], off
	global_load_b128 v[37:40], v[61:62], off offset:16
	s_clause 0x3
	global_load_b128 v[41:44], v[14:15], off offset:48
	global_load_b128 v[45:48], v[14:15], off offset:32
	;; [unrolled: 1-line block ×4, first 2 shown]
	s_clause 0x1
	global_load_b128 v[57:60], v[61:62], off offset:32
	global_load_b128 v[61:64], v[61:62], off offset:48
	v_cmp_ge_i32_e32 vcc_lo, v6, v16
	s_or_b32 s2, vcc_lo, s2
	s_waitcnt vmcnt(7)
	v_fma_f64 v[10:11], v[21:22], v[33:34], v[10:11]
	v_fma_f64 v[7:8], v[29:30], v[33:34], v[8:9]
	s_delay_alu instid0(VALU_DEP_2) | instskip(NEXT) | instid1(VALU_DEP_2)
	v_fma_f64 v[9:10], v[23:24], v[35:36], v[10:11]
	v_fma_f64 v[7:8], v[31:32], v[35:36], v[7:8]
	s_waitcnt vmcnt(6)
	s_delay_alu instid0(VALU_DEP_2) | instskip(NEXT) | instid1(VALU_DEP_2)
	v_fma_f64 v[9:10], v[17:18], v[37:38], v[9:10]
	v_fma_f64 v[7:8], v[25:26], v[37:38], v[7:8]
	s_delay_alu instid0(VALU_DEP_2) | instskip(NEXT) | instid1(VALU_DEP_2)
	v_fma_f64 v[9:10], v[19:20], v[39:40], v[9:10]
	v_fma_f64 v[7:8], v[27:28], v[39:40], v[7:8]
	s_waitcnt vmcnt(1)
	s_delay_alu instid0(VALU_DEP_2) | instskip(NEXT) | instid1(VALU_DEP_2)
	v_fma_f64 v[9:10], v[45:46], v[57:58], v[9:10]
	v_fma_f64 v[7:8], v[53:54], v[57:58], v[7:8]
	s_delay_alu instid0(VALU_DEP_2) | instskip(NEXT) | instid1(VALU_DEP_2)
	v_fma_f64 v[9:10], v[47:48], v[59:60], v[9:10]
	v_fma_f64 v[7:8], v[55:56], v[59:60], v[7:8]
	s_waitcnt vmcnt(0)
	s_delay_alu instid0(VALU_DEP_2) | instskip(NEXT) | instid1(VALU_DEP_2)
	v_fma_f64 v[9:10], v[41:42], v[61:62], v[9:10]
	v_fma_f64 v[7:8], v[49:50], v[61:62], v[7:8]
	s_delay_alu instid0(VALU_DEP_2) | instskip(NEXT) | instid1(VALU_DEP_2)
	v_fma_f64 v[10:11], v[43:44], v[63:64], v[9:10]
	v_fma_f64 v[8:9], v[51:52], v[63:64], v[7:8]
	s_and_not1_b32 exec_lo, exec_lo, s2
	s_cbranch_execnz .LBB110_15
; %bb.16:
	s_or_b32 exec_lo, exec_lo, s2
.LBB110_17:
	s_delay_alu instid0(SALU_CYCLE_1)
	s_or_b32 exec_lo, exec_lo, s3
.LBB110_18:
	v_mbcnt_lo_u32_b32 v14, -1, 0
	s_delay_alu instid0(VALU_DEP_1) | instskip(NEXT) | instid1(VALU_DEP_1)
	v_or_b32_e32 v6, 32, v14
	v_cmp_gt_i32_e32 vcc_lo, 32, v6
	v_cndmask_b32_e32 v6, v14, v6, vcc_lo
	s_delay_alu instid0(VALU_DEP_1)
	v_lshlrev_b32_e32 v13, 2, v6
	ds_bpermute_b32 v6, v13, v10
	ds_bpermute_b32 v7, v13, v11
	ds_bpermute_b32 v12, v13, v8
	ds_bpermute_b32 v13, v13, v9
	s_waitcnt lgkmcnt(2)
	v_add_f64 v[6:7], v[10:11], v[6:7]
	v_xor_b32_e32 v10, 16, v14
	s_waitcnt lgkmcnt(0)
	v_add_f64 v[8:9], v[8:9], v[12:13]
	s_delay_alu instid0(VALU_DEP_2) | instskip(SKIP_1) | instid1(VALU_DEP_1)
	v_cmp_gt_i32_e32 vcc_lo, 32, v10
	v_cndmask_b32_e32 v10, v14, v10, vcc_lo
	v_lshlrev_b32_e32 v13, 2, v10
	ds_bpermute_b32 v10, v13, v6
	ds_bpermute_b32 v11, v13, v7
	ds_bpermute_b32 v12, v13, v8
	ds_bpermute_b32 v13, v13, v9
	s_waitcnt lgkmcnt(2)
	v_add_f64 v[6:7], v[6:7], v[10:11]
	v_xor_b32_e32 v10, 8, v14
	s_waitcnt lgkmcnt(0)
	v_add_f64 v[8:9], v[8:9], v[12:13]
	s_delay_alu instid0(VALU_DEP_2) | instskip(SKIP_1) | instid1(VALU_DEP_1)
	v_cmp_gt_i32_e32 vcc_lo, 32, v10
	v_cndmask_b32_e32 v10, v14, v10, vcc_lo
	;; [unrolled: 13-line block ×4, first 2 shown]
	v_lshlrev_b32_e32 v13, 2, v10
	ds_bpermute_b32 v10, v13, v6
	ds_bpermute_b32 v11, v13, v7
	;; [unrolled: 1-line block ×4, first 2 shown]
	s_waitcnt lgkmcnt(2)
	v_add_f64 v[6:7], v[6:7], v[10:11]
	s_waitcnt lgkmcnt(0)
	v_add_f64 v[10:11], v[8:9], v[12:13]
	v_xor_b32_e32 v8, 1, v14
	s_delay_alu instid0(VALU_DEP_1) | instskip(SKIP_2) | instid1(VALU_DEP_2)
	v_cmp_gt_i32_e32 vcc_lo, 32, v8
	v_cndmask_b32_e32 v8, v14, v8, vcc_lo
	v_cmp_eq_u32_e32 vcc_lo, 63, v0
	v_lshlrev_b32_e32 v13, 2, v8
	ds_bpermute_b32 v8, v13, v6
	ds_bpermute_b32 v9, v13, v7
	;; [unrolled: 1-line block ×4, first 2 shown]
	s_and_b32 exec_lo, exec_lo, vcc_lo
	s_cbranch_execz .LBB110_23
; %bb.19:
	s_waitcnt lgkmcnt(2)
	v_add_f64 v[8:9], v[6:7], v[8:9]
	s_waitcnt lgkmcnt(0)
	v_add_f64 v[6:7], v[10:11], v[12:13]
	s_load_b64 s[0:1], s[0:1], 0x38
	s_mov_b32 s2, exec_lo
	v_cmpx_eq_f64_e32 0, v[3:4]
	s_xor_b32 s2, exec_lo, s2
	s_cbranch_execz .LBB110_21
; %bb.20:
	s_delay_alu instid0(VALU_DEP_3) | instskip(NEXT) | instid1(VALU_DEP_3)
	v_mul_f64 v[8:9], v[1:2], v[8:9]
	v_mul_f64 v[10:11], v[1:2], v[6:7]
	v_lshlrev_b32_e32 v0, 1, v5
                                        ; implicit-def: $vgpr5
                                        ; implicit-def: $vgpr3_vgpr4
                                        ; implicit-def: $vgpr6_vgpr7
	s_delay_alu instid0(VALU_DEP_1) | instskip(NEXT) | instid1(VALU_DEP_1)
	v_ashrrev_i32_e32 v1, 31, v0
	v_lshlrev_b64 v[0:1], 3, v[0:1]
	s_waitcnt lgkmcnt(0)
	s_delay_alu instid0(VALU_DEP_1) | instskip(NEXT) | instid1(VALU_DEP_2)
	v_add_co_u32 v0, vcc_lo, s0, v0
	v_add_co_ci_u32_e32 v1, vcc_lo, s1, v1, vcc_lo
	global_store_b128 v[0:1], v[8:11], off
                                        ; implicit-def: $vgpr1_vgpr2
                                        ; implicit-def: $vgpr8_vgpr9
.LBB110_21:
	s_and_not1_saveexec_b32 s2, s2
	s_cbranch_execz .LBB110_23
; %bb.22:
	v_lshlrev_b32_e32 v10, 1, v5
	s_delay_alu instid0(VALU_DEP_4) | instskip(NEXT) | instid1(VALU_DEP_4)
	v_mul_f64 v[8:9], v[1:2], v[8:9]
	v_mul_f64 v[5:6], v[1:2], v[6:7]
	s_delay_alu instid0(VALU_DEP_3) | instskip(NEXT) | instid1(VALU_DEP_1)
	v_ashrrev_i32_e32 v11, 31, v10
	v_lshlrev_b64 v[10:11], 3, v[10:11]
	s_waitcnt lgkmcnt(0)
	s_delay_alu instid0(VALU_DEP_1) | instskip(NEXT) | instid1(VALU_DEP_2)
	v_add_co_u32 v14, vcc_lo, s0, v10
	v_add_co_ci_u32_e32 v15, vcc_lo, s1, v11, vcc_lo
	global_load_b128 v[10:13], v[14:15], off
	s_waitcnt vmcnt(0)
	v_fma_f64 v[0:1], v[3:4], v[10:11], v[8:9]
	v_fma_f64 v[2:3], v[3:4], v[12:13], v[5:6]
	global_store_b128 v[14:15], v[0:3], off
.LBB110_23:
	s_nop 0
	s_sendmsg sendmsg(MSG_DEALLOC_VGPRS)
	s_endpgm
	.section	.rodata,"a",@progbits
	.p2align	6, 0x0
	.amdhsa_kernel _ZN9rocsparseL19gebsrmvn_2xn_kernelILj128ELj8ELj64EdEEvi20rocsparse_direction_NS_24const_host_device_scalarIT2_EEPKiS6_PKS3_S8_S4_PS3_21rocsparse_index_base_b
		.amdhsa_group_segment_fixed_size 0
		.amdhsa_private_segment_fixed_size 0
		.amdhsa_kernarg_size 72
		.amdhsa_user_sgpr_count 15
		.amdhsa_user_sgpr_dispatch_ptr 0
		.amdhsa_user_sgpr_queue_ptr 0
		.amdhsa_user_sgpr_kernarg_segment_ptr 1
		.amdhsa_user_sgpr_dispatch_id 0
		.amdhsa_user_sgpr_private_segment_size 0
		.amdhsa_wavefront_size32 1
		.amdhsa_uses_dynamic_stack 0
		.amdhsa_enable_private_segment 0
		.amdhsa_system_sgpr_workgroup_id_x 1
		.amdhsa_system_sgpr_workgroup_id_y 0
		.amdhsa_system_sgpr_workgroup_id_z 0
		.amdhsa_system_sgpr_workgroup_info 0
		.amdhsa_system_vgpr_workitem_id 0
		.amdhsa_next_free_vgpr 65
		.amdhsa_next_free_sgpr 16
		.amdhsa_reserve_vcc 1
		.amdhsa_float_round_mode_32 0
		.amdhsa_float_round_mode_16_64 0
		.amdhsa_float_denorm_mode_32 3
		.amdhsa_float_denorm_mode_16_64 3
		.amdhsa_dx10_clamp 1
		.amdhsa_ieee_mode 1
		.amdhsa_fp16_overflow 0
		.amdhsa_workgroup_processor_mode 1
		.amdhsa_memory_ordered 1
		.amdhsa_forward_progress 0
		.amdhsa_shared_vgpr_count 0
		.amdhsa_exception_fp_ieee_invalid_op 0
		.amdhsa_exception_fp_denorm_src 0
		.amdhsa_exception_fp_ieee_div_zero 0
		.amdhsa_exception_fp_ieee_overflow 0
		.amdhsa_exception_fp_ieee_underflow 0
		.amdhsa_exception_fp_ieee_inexact 0
		.amdhsa_exception_int_div_zero 0
	.end_amdhsa_kernel
	.section	.text._ZN9rocsparseL19gebsrmvn_2xn_kernelILj128ELj8ELj64EdEEvi20rocsparse_direction_NS_24const_host_device_scalarIT2_EEPKiS6_PKS3_S8_S4_PS3_21rocsparse_index_base_b,"axG",@progbits,_ZN9rocsparseL19gebsrmvn_2xn_kernelILj128ELj8ELj64EdEEvi20rocsparse_direction_NS_24const_host_device_scalarIT2_EEPKiS6_PKS3_S8_S4_PS3_21rocsparse_index_base_b,comdat
.Lfunc_end110:
	.size	_ZN9rocsparseL19gebsrmvn_2xn_kernelILj128ELj8ELj64EdEEvi20rocsparse_direction_NS_24const_host_device_scalarIT2_EEPKiS6_PKS3_S8_S4_PS3_21rocsparse_index_base_b, .Lfunc_end110-_ZN9rocsparseL19gebsrmvn_2xn_kernelILj128ELj8ELj64EdEEvi20rocsparse_direction_NS_24const_host_device_scalarIT2_EEPKiS6_PKS3_S8_S4_PS3_21rocsparse_index_base_b
                                        ; -- End function
	.section	.AMDGPU.csdata,"",@progbits
; Kernel info:
; codeLenInByte = 1968
; NumSgprs: 18
; NumVgprs: 65
; ScratchSize: 0
; MemoryBound: 1
; FloatMode: 240
; IeeeMode: 1
; LDSByteSize: 0 bytes/workgroup (compile time only)
; SGPRBlocks: 2
; VGPRBlocks: 8
; NumSGPRsForWavesPerEU: 18
; NumVGPRsForWavesPerEU: 65
; Occupancy: 16
; WaveLimiterHint : 1
; COMPUTE_PGM_RSRC2:SCRATCH_EN: 0
; COMPUTE_PGM_RSRC2:USER_SGPR: 15
; COMPUTE_PGM_RSRC2:TRAP_HANDLER: 0
; COMPUTE_PGM_RSRC2:TGID_X_EN: 1
; COMPUTE_PGM_RSRC2:TGID_Y_EN: 0
; COMPUTE_PGM_RSRC2:TGID_Z_EN: 0
; COMPUTE_PGM_RSRC2:TIDIG_COMP_CNT: 0
	.section	.text._ZN9rocsparseL19gebsrmvn_2xn_kernelILj128ELj9ELj4EdEEvi20rocsparse_direction_NS_24const_host_device_scalarIT2_EEPKiS6_PKS3_S8_S4_PS3_21rocsparse_index_base_b,"axG",@progbits,_ZN9rocsparseL19gebsrmvn_2xn_kernelILj128ELj9ELj4EdEEvi20rocsparse_direction_NS_24const_host_device_scalarIT2_EEPKiS6_PKS3_S8_S4_PS3_21rocsparse_index_base_b,comdat
	.globl	_ZN9rocsparseL19gebsrmvn_2xn_kernelILj128ELj9ELj4EdEEvi20rocsparse_direction_NS_24const_host_device_scalarIT2_EEPKiS6_PKS3_S8_S4_PS3_21rocsparse_index_base_b ; -- Begin function _ZN9rocsparseL19gebsrmvn_2xn_kernelILj128ELj9ELj4EdEEvi20rocsparse_direction_NS_24const_host_device_scalarIT2_EEPKiS6_PKS3_S8_S4_PS3_21rocsparse_index_base_b
	.p2align	8
	.type	_ZN9rocsparseL19gebsrmvn_2xn_kernelILj128ELj9ELj4EdEEvi20rocsparse_direction_NS_24const_host_device_scalarIT2_EEPKiS6_PKS3_S8_S4_PS3_21rocsparse_index_base_b,@function
_ZN9rocsparseL19gebsrmvn_2xn_kernelILj128ELj9ELj4EdEEvi20rocsparse_direction_NS_24const_host_device_scalarIT2_EEPKiS6_PKS3_S8_S4_PS3_21rocsparse_index_base_b: ; @_ZN9rocsparseL19gebsrmvn_2xn_kernelILj128ELj9ELj4EdEEvi20rocsparse_direction_NS_24const_host_device_scalarIT2_EEPKiS6_PKS3_S8_S4_PS3_21rocsparse_index_base_b
; %bb.0:
	s_clause 0x2
	s_load_b64 s[12:13], s[0:1], 0x40
	s_load_b64 s[4:5], s[0:1], 0x8
	;; [unrolled: 1-line block ×3, first 2 shown]
	s_waitcnt lgkmcnt(0)
	s_bitcmp1_b32 s13, 0
	v_dual_mov_b32 v1, s4 :: v_dual_mov_b32 v2, s5
	s_cselect_b32 s6, -1, 0
	s_delay_alu instid0(SALU_CYCLE_1)
	s_and_b32 vcc_lo, exec_lo, s6
	s_xor_b32 s6, s6, -1
	s_cbranch_vccnz .LBB111_2
; %bb.1:
	v_dual_mov_b32 v1, s4 :: v_dual_mov_b32 v2, s5
	flat_load_b64 v[1:2], v[1:2]
.LBB111_2:
	v_dual_mov_b32 v4, s3 :: v_dual_mov_b32 v3, s2
	s_and_not1_b32 vcc_lo, exec_lo, s6
	s_cbranch_vccnz .LBB111_4
; %bb.3:
	v_dual_mov_b32 v4, s3 :: v_dual_mov_b32 v3, s2
	flat_load_b64 v[3:4], v[3:4]
.LBB111_4:
	s_waitcnt vmcnt(0) lgkmcnt(0)
	v_cmp_neq_f64_e32 vcc_lo, 0, v[1:2]
	v_cmp_neq_f64_e64 s2, 1.0, v[3:4]
	s_delay_alu instid0(VALU_DEP_1) | instskip(NEXT) | instid1(SALU_CYCLE_1)
	s_or_b32 s2, vcc_lo, s2
	s_and_saveexec_b32 s3, s2
	s_cbranch_execz .LBB111_23
; %bb.5:
	s_load_b64 s[2:3], s[0:1], 0x0
	v_lshrrev_b32_e32 v5, 2, v0
	s_delay_alu instid0(VALU_DEP_1) | instskip(SKIP_1) | instid1(VALU_DEP_1)
	v_lshl_or_b32 v5, s15, 5, v5
	s_waitcnt lgkmcnt(0)
	v_cmp_gt_i32_e32 vcc_lo, s2, v5
	s_and_b32 exec_lo, exec_lo, vcc_lo
	s_cbranch_execz .LBB111_23
; %bb.6:
	s_load_b256 s[4:11], s[0:1], 0x10
	v_ashrrev_i32_e32 v6, 31, v5
	v_and_b32_e32 v0, 3, v0
	s_cmp_lg_u32 s3, 0
	s_delay_alu instid0(VALU_DEP_2) | instskip(SKIP_1) | instid1(VALU_DEP_1)
	v_lshlrev_b64 v[6:7], 2, v[5:6]
	s_waitcnt lgkmcnt(0)
	v_add_co_u32 v6, vcc_lo, s4, v6
	s_delay_alu instid0(VALU_DEP_2) | instskip(SKIP_4) | instid1(VALU_DEP_2)
	v_add_co_ci_u32_e32 v7, vcc_lo, s5, v7, vcc_lo
	global_load_b64 v[6:7], v[6:7], off
	s_waitcnt vmcnt(0)
	v_subrev_nc_u32_e32 v6, s12, v6
	v_subrev_nc_u32_e32 v17, s12, v7
	v_add_nc_u32_e32 v6, v6, v0
	s_delay_alu instid0(VALU_DEP_1)
	v_cmp_lt_i32_e64 s2, v6, v17
	s_cbranch_scc0 .LBB111_12
; %bb.7:
	v_mov_b32_e32 v8, 0
	v_mov_b32_e32 v9, 0
	s_delay_alu instid0(VALU_DEP_1)
	v_dual_mov_b32 v11, v9 :: v_dual_mov_b32 v10, v8
	s_and_saveexec_b32 s3, s2
	s_cbranch_execz .LBB111_11
; %bb.8:
	v_dual_mov_b32 v8, 0 :: v_dual_mov_b32 v15, v6
	v_dual_mov_b32 v9, 0 :: v_dual_mov_b32 v14, 0
	v_mad_u64_u32 v[12:13], null, v6, 18, 16
	s_mov_b32 s4, 0
	s_delay_alu instid0(VALU_DEP_2)
	v_dual_mov_b32 v11, v9 :: v_dual_mov_b32 v10, v8
.LBB111_9:                              ; =>This Inner Loop Header: Depth=1
	v_ashrrev_i32_e32 v16, 31, v15
	s_delay_alu instid0(VALU_DEP_3) | instskip(SKIP_1) | instid1(VALU_DEP_3)
	v_add_nc_u32_e32 v13, -16, v12
	v_mov_b32_e32 v51, v14
	v_lshlrev_b64 v[18:19], 2, v[15:16]
	v_add_nc_u32_e32 v15, 4, v15
	s_delay_alu instid0(VALU_DEP_2) | instskip(NEXT) | instid1(VALU_DEP_3)
	v_add_co_u32 v18, vcc_lo, s6, v18
	v_add_co_ci_u32_e32 v19, vcc_lo, s7, v19, vcc_lo
	global_load_b32 v7, v[18:19], off
	v_lshlrev_b64 v[18:19], 3, v[13:14]
	v_add_nc_u32_e32 v13, -14, v12
	s_delay_alu instid0(VALU_DEP_2) | instskip(NEXT) | instid1(VALU_DEP_3)
	v_add_co_u32 v18, vcc_lo, s8, v18
	v_add_co_ci_u32_e32 v19, vcc_lo, s9, v19, vcc_lo
	s_waitcnt vmcnt(0)
	v_subrev_nc_u32_e32 v7, s12, v7
	s_delay_alu instid0(VALU_DEP_1) | instskip(NEXT) | instid1(VALU_DEP_1)
	v_lshl_add_u32 v50, v7, 3, v7
	v_lshlrev_b64 v[20:21], 3, v[50:51]
	s_delay_alu instid0(VALU_DEP_1) | instskip(NEXT) | instid1(VALU_DEP_2)
	v_add_co_u32 v22, vcc_lo, s10, v20
	v_add_co_ci_u32_e32 v23, vcc_lo, s11, v21, vcc_lo
	global_load_b128 v[18:21], v[18:19], off
	global_load_b64 v[54:55], v[22:23], off
	v_lshlrev_b64 v[22:23], 3, v[13:14]
	v_add_nc_u32_e32 v13, 1, v50
	s_delay_alu instid0(VALU_DEP_1) | instskip(NEXT) | instid1(VALU_DEP_3)
	v_lshlrev_b64 v[24:25], 3, v[13:14]
	v_add_co_u32 v22, vcc_lo, s8, v22
	s_delay_alu instid0(VALU_DEP_4) | instskip(SKIP_1) | instid1(VALU_DEP_4)
	v_add_co_ci_u32_e32 v23, vcc_lo, s9, v23, vcc_lo
	v_add_nc_u32_e32 v13, -12, v12
	v_add_co_u32 v26, vcc_lo, s10, v24
	v_add_co_ci_u32_e32 v27, vcc_lo, s11, v25, vcc_lo
	global_load_b128 v[22:25], v[22:23], off
	global_load_b64 v[56:57], v[26:27], off
	v_lshlrev_b64 v[26:27], 3, v[13:14]
	v_add_nc_u32_e32 v13, 2, v50
	s_delay_alu instid0(VALU_DEP_1) | instskip(NEXT) | instid1(VALU_DEP_3)
	v_lshlrev_b64 v[28:29], 3, v[13:14]
	v_add_co_u32 v26, vcc_lo, s8, v26
	s_delay_alu instid0(VALU_DEP_4) | instskip(SKIP_1) | instid1(VALU_DEP_4)
	v_add_co_ci_u32_e32 v27, vcc_lo, s9, v27, vcc_lo
	v_add_nc_u32_e32 v13, -10, v12
	;; [unrolled: 12-line block ×6, first 2 shown]
	v_add_co_u32 v46, vcc_lo, s10, v44
	v_add_co_ci_u32_e32 v47, vcc_lo, s11, v45, vcc_lo
	global_load_b128 v[42:45], v[42:43], off
	global_load_b64 v[66:67], v[46:47], off
	v_lshlrev_b64 v[46:47], 3, v[13:14]
	v_add_nc_u32_e32 v13, 7, v50
	s_delay_alu instid0(VALU_DEP_1) | instskip(NEXT) | instid1(VALU_DEP_3)
	v_lshlrev_b64 v[48:49], 3, v[13:14]
	v_add_co_u32 v46, vcc_lo, s8, v46
	s_delay_alu instid0(VALU_DEP_4) | instskip(SKIP_1) | instid1(VALU_DEP_4)
	v_add_co_ci_u32_e32 v47, vcc_lo, s9, v47, vcc_lo
	v_mov_b32_e32 v13, v14
	v_add_co_u32 v51, vcc_lo, s10, v48
	v_add_co_ci_u32_e32 v52, vcc_lo, s11, v49, vcc_lo
	global_load_b128 v[46:49], v[46:47], off
	global_load_b64 v[68:69], v[51:52], off
	v_lshlrev_b64 v[51:52], 3, v[12:13]
	v_add_nc_u32_e32 v12, 0x48, v12
	v_add_nc_u32_e32 v13, 8, v50
	s_delay_alu instid0(VALU_DEP_3) | instskip(NEXT) | instid1(VALU_DEP_2)
	v_add_co_u32 v50, vcc_lo, s8, v51
	v_lshlrev_b64 v[70:71], 3, v[13:14]
	v_add_co_ci_u32_e32 v51, vcc_lo, s9, v52, vcc_lo
	s_delay_alu instid0(VALU_DEP_2) | instskip(NEXT) | instid1(VALU_DEP_3)
	v_add_co_u32 v70, vcc_lo, s10, v70
	v_add_co_ci_u32_e32 v71, vcc_lo, s11, v71, vcc_lo
	global_load_b128 v[50:53], v[50:51], off
	global_load_b64 v[70:71], v[70:71], off
	v_cmp_ge_i32_e32 vcc_lo, v15, v17
	s_or_b32 s4, vcc_lo, s4
	s_waitcnt vmcnt(16)
	v_fma_f64 v[7:8], v[18:19], v[54:55], v[8:9]
	v_fma_f64 v[9:10], v[20:21], v[54:55], v[10:11]
	s_waitcnt vmcnt(14)
	s_delay_alu instid0(VALU_DEP_2) | instskip(NEXT) | instid1(VALU_DEP_2)
	v_fma_f64 v[7:8], v[22:23], v[56:57], v[7:8]
	v_fma_f64 v[9:10], v[24:25], v[56:57], v[9:10]
	s_waitcnt vmcnt(12)
	s_delay_alu instid0(VALU_DEP_2) | instskip(NEXT) | instid1(VALU_DEP_2)
	;; [unrolled: 4-line block ×8, first 2 shown]
	v_fma_f64 v[8:9], v[50:51], v[70:71], v[7:8]
	v_fma_f64 v[10:11], v[52:53], v[70:71], v[10:11]
	s_and_not1_b32 exec_lo, exec_lo, s4
	s_cbranch_execnz .LBB111_9
; %bb.10:
	s_or_b32 exec_lo, exec_lo, s4
.LBB111_11:
	s_delay_alu instid0(SALU_CYCLE_1)
	s_or_b32 exec_lo, exec_lo, s3
	s_cbranch_execz .LBB111_13
	s_branch .LBB111_18
.LBB111_12:
                                        ; implicit-def: $vgpr8_vgpr9
                                        ; implicit-def: $vgpr10_vgpr11
.LBB111_13:
	v_mov_b32_e32 v8, 0
	v_mov_b32_e32 v9, 0
	s_delay_alu instid0(VALU_DEP_1)
	v_dual_mov_b32 v11, v9 :: v_dual_mov_b32 v10, v8
	s_and_saveexec_b32 s3, s2
	s_cbranch_execz .LBB111_17
; %bb.14:
	v_mov_b32_e32 v8, 0
	v_dual_mov_b32 v9, 0 :: v_dual_mov_b32 v14, 0
	v_mad_u64_u32 v[12:13], null, v6, 18, 17
	s_mov_b32 s2, 0
	s_delay_alu instid0(VALU_DEP_2)
	v_dual_mov_b32 v11, v9 :: v_dual_mov_b32 v10, v8
.LBB111_15:                             ; =>This Inner Loop Header: Depth=1
	v_ashrrev_i32_e32 v7, 31, v6
	s_delay_alu instid0(VALU_DEP_3) | instskip(SKIP_1) | instid1(VALU_DEP_3)
	v_subrev_nc_u32_e32 v13, 17, v12
	v_mov_b32_e32 v23, v14
	v_lshlrev_b64 v[15:16], 2, v[6:7]
	v_add_nc_u32_e32 v6, 4, v6
	s_delay_alu instid0(VALU_DEP_4) | instskip(NEXT) | instid1(VALU_DEP_3)
	v_lshlrev_b64 v[18:19], 3, v[13:14]
	v_add_co_u32 v15, vcc_lo, s6, v15
	s_delay_alu instid0(VALU_DEP_4) | instskip(NEXT) | instid1(VALU_DEP_3)
	v_add_co_ci_u32_e32 v16, vcc_lo, s7, v16, vcc_lo
	v_add_co_u32 v18, vcc_lo, s8, v18
	s_delay_alu instid0(VALU_DEP_4) | instskip(SKIP_2) | instid1(VALU_DEP_1)
	v_add_co_ci_u32_e32 v19, vcc_lo, s9, v19, vcc_lo
	global_load_b32 v7, v[15:16], off
	v_dual_mov_b32 v16, v14 :: v_dual_add_nc_u32 v15, -8, v12
	v_lshlrev_b64 v[15:16], 3, v[15:16]
	s_delay_alu instid0(VALU_DEP_1) | instskip(NEXT) | instid1(VALU_DEP_2)
	v_add_co_u32 v15, vcc_lo, s8, v15
	v_add_co_ci_u32_e32 v16, vcc_lo, s9, v16, vcc_lo
	s_waitcnt vmcnt(0)
	v_subrev_nc_u32_e32 v7, s12, v7
	s_delay_alu instid0(VALU_DEP_1) | instskip(NEXT) | instid1(VALU_DEP_1)
	v_lshl_add_u32 v22, v7, 3, v7
	v_lshlrev_b64 v[20:21], 3, v[22:23]
	v_add_nc_u32_e32 v13, 1, v22
	s_delay_alu instid0(VALU_DEP_1) | instskip(NEXT) | instid1(VALU_DEP_3)
	v_lshlrev_b64 v[25:26], 3, v[13:14]
	v_add_co_u32 v23, vcc_lo, s10, v20
	s_delay_alu instid0(VALU_DEP_4)
	v_add_co_ci_u32_e32 v24, vcc_lo, s11, v21, vcc_lo
	s_clause 0x1
	global_load_b128 v[18:21], v[18:19], off
	global_load_b64 v[15:16], v[15:16], off
	global_load_b64 v[23:24], v[23:24], off
	v_add_nc_u32_e32 v13, -7, v12
	v_add_co_u32 v25, vcc_lo, s10, v25
	v_add_co_ci_u32_e32 v26, vcc_lo, s11, v26, vcc_lo
	s_delay_alu instid0(VALU_DEP_3) | instskip(SKIP_1) | instid1(VALU_DEP_2)
	v_lshlrev_b64 v[27:28], 3, v[13:14]
	v_add_nc_u32_e32 v13, -15, v12
	v_add_co_u32 v27, vcc_lo, s8, v27
	s_delay_alu instid0(VALU_DEP_3) | instskip(SKIP_4) | instid1(VALU_DEP_1)
	v_add_co_ci_u32_e32 v28, vcc_lo, s9, v28, vcc_lo
	global_load_b64 v[25:26], v[25:26], off
	global_load_b64 v[27:28], v[27:28], off
	v_lshlrev_b64 v[29:30], 3, v[13:14]
	v_add_nc_u32_e32 v13, 2, v22
	v_lshlrev_b64 v[31:32], 3, v[13:14]
	v_add_nc_u32_e32 v13, -6, v12
	s_delay_alu instid0(VALU_DEP_4) | instskip(SKIP_1) | instid1(VALU_DEP_3)
	v_add_co_u32 v29, vcc_lo, s8, v29
	v_add_co_ci_u32_e32 v30, vcc_lo, s9, v30, vcc_lo
	v_lshlrev_b64 v[33:34], 3, v[13:14]
	v_add_co_u32 v31, vcc_lo, s10, v31
	v_add_co_ci_u32_e32 v32, vcc_lo, s11, v32, vcc_lo
	v_add_nc_u32_e32 v13, -14, v12
	s_delay_alu instid0(VALU_DEP_4)
	v_add_co_u32 v33, vcc_lo, s8, v33
	v_add_co_ci_u32_e32 v34, vcc_lo, s9, v34, vcc_lo
	global_load_b64 v[29:30], v[29:30], off
	global_load_b64 v[31:32], v[31:32], off
	global_load_b64 v[33:34], v[33:34], off
	v_lshlrev_b64 v[35:36], 3, v[13:14]
	v_add_nc_u32_e32 v13, 3, v22
	s_delay_alu instid0(VALU_DEP_1) | instskip(SKIP_1) | instid1(VALU_DEP_4)
	v_lshlrev_b64 v[37:38], 3, v[13:14]
	v_add_nc_u32_e32 v13, -5, v12
	v_add_co_u32 v35, vcc_lo, s8, v35
	v_add_co_ci_u32_e32 v36, vcc_lo, s9, v36, vcc_lo
	s_delay_alu instid0(VALU_DEP_3) | instskip(SKIP_3) | instid1(VALU_DEP_4)
	v_lshlrev_b64 v[39:40], 3, v[13:14]
	v_add_co_u32 v37, vcc_lo, s10, v37
	v_add_co_ci_u32_e32 v38, vcc_lo, s11, v38, vcc_lo
	v_add_nc_u32_e32 v13, -13, v12
	v_add_co_u32 v39, vcc_lo, s8, v39
	v_add_co_ci_u32_e32 v40, vcc_lo, s9, v40, vcc_lo
	global_load_b64 v[35:36], v[35:36], off
	global_load_b64 v[37:38], v[37:38], off
	global_load_b64 v[39:40], v[39:40], off
	v_lshlrev_b64 v[41:42], 3, v[13:14]
	v_add_nc_u32_e32 v13, 4, v22
	s_delay_alu instid0(VALU_DEP_1) | instskip(SKIP_1) | instid1(VALU_DEP_4)
	v_lshlrev_b64 v[43:44], 3, v[13:14]
	v_add_nc_u32_e32 v13, -4, v12
	v_add_co_u32 v41, vcc_lo, s8, v41
	v_add_co_ci_u32_e32 v42, vcc_lo, s9, v42, vcc_lo
	s_delay_alu instid0(VALU_DEP_3) | instskip(SKIP_3) | instid1(VALU_DEP_4)
	v_lshlrev_b64 v[45:46], 3, v[13:14]
	v_add_co_u32 v43, vcc_lo, s10, v43
	v_add_co_ci_u32_e32 v44, vcc_lo, s11, v44, vcc_lo
	v_add_nc_u32_e32 v13, -12, v12
	;; [unrolled: 17-line block ×4, first 2 shown]
	v_add_co_u32 v57, vcc_lo, s8, v57
	v_add_co_ci_u32_e32 v58, vcc_lo, s9, v58, vcc_lo
	global_load_b64 v[53:54], v[53:54], off
	global_load_b64 v[55:56], v[55:56], off
	;; [unrolled: 1-line block ×3, first 2 shown]
	v_lshlrev_b64 v[59:60], 3, v[13:14]
	v_add_nc_u32_e32 v13, 7, v22
	s_delay_alu instid0(VALU_DEP_1) | instskip(SKIP_1) | instid1(VALU_DEP_4)
	v_lshlrev_b64 v[61:62], 3, v[13:14]
	v_add_nc_u32_e32 v13, -1, v12
	v_add_co_u32 v59, vcc_lo, s8, v59
	v_add_co_ci_u32_e32 v60, vcc_lo, s9, v60, vcc_lo
	s_delay_alu instid0(VALU_DEP_3) | instskip(SKIP_3) | instid1(VALU_DEP_4)
	v_lshlrev_b64 v[63:64], 3, v[13:14]
	v_add_co_u32 v61, vcc_lo, s10, v61
	v_add_co_ci_u32_e32 v62, vcc_lo, s11, v62, vcc_lo
	v_mov_b32_e32 v13, v14
	v_add_co_u32 v63, vcc_lo, s8, v63
	v_add_co_ci_u32_e32 v64, vcc_lo, s9, v64, vcc_lo
	global_load_b64 v[59:60], v[59:60], off
	global_load_b64 v[61:62], v[61:62], off
	;; [unrolled: 1-line block ×3, first 2 shown]
	v_lshlrev_b64 v[65:66], 3, v[12:13]
	v_add_nc_u32_e32 v13, -9, v12
	v_add_nc_u32_e32 v12, 0x48, v12
	s_delay_alu instid0(VALU_DEP_2) | instskip(SKIP_3) | instid1(VALU_DEP_3)
	v_lshlrev_b64 v[67:68], 3, v[13:14]
	v_add_nc_u32_e32 v13, 8, v22
	v_add_co_u32 v65, vcc_lo, s8, v65
	v_add_co_ci_u32_e32 v66, vcc_lo, s9, v66, vcc_lo
	v_lshlrev_b64 v[69:70], 3, v[13:14]
	v_add_co_u32 v67, vcc_lo, s8, v67
	v_add_co_ci_u32_e32 v68, vcc_lo, s9, v68, vcc_lo
	s_delay_alu instid0(VALU_DEP_3) | instskip(NEXT) | instid1(VALU_DEP_4)
	v_add_co_u32 v69, vcc_lo, s10, v69
	v_add_co_ci_u32_e32 v70, vcc_lo, s11, v70, vcc_lo
	s_clause 0x1
	global_load_b64 v[65:66], v[65:66], off
	global_load_b64 v[67:68], v[67:68], off
	;; [unrolled: 1-line block ×3, first 2 shown]
	v_cmp_ge_i32_e32 vcc_lo, v6, v17
	s_or_b32 s2, vcc_lo, s2
	s_waitcnt vmcnt(23)
	v_fma_f64 v[7:8], v[18:19], v[23:24], v[8:9]
	v_fma_f64 v[9:10], v[15:16], v[23:24], v[10:11]
	s_waitcnt vmcnt(22)
	s_delay_alu instid0(VALU_DEP_2) | instskip(SKIP_1) | instid1(VALU_DEP_2)
	v_fma_f64 v[7:8], v[20:21], v[25:26], v[7:8]
	s_waitcnt vmcnt(21)
	v_fma_f64 v[9:10], v[27:28], v[25:26], v[9:10]
	s_waitcnt vmcnt(19)
	s_delay_alu instid0(VALU_DEP_2) | instskip(SKIP_1) | instid1(VALU_DEP_2)
	v_fma_f64 v[7:8], v[29:30], v[31:32], v[7:8]
	s_waitcnt vmcnt(18)
	;; [unrolled: 5-line block ×7, first 2 shown]
	v_fma_f64 v[10:11], v[63:64], v[61:62], v[9:10]
	s_waitcnt vmcnt(0)
	s_delay_alu instid0(VALU_DEP_2) | instskip(NEXT) | instid1(VALU_DEP_2)
	v_fma_f64 v[8:9], v[67:68], v[69:70], v[7:8]
	v_fma_f64 v[10:11], v[65:66], v[69:70], v[10:11]
	s_and_not1_b32 exec_lo, exec_lo, s2
	s_cbranch_execnz .LBB111_15
; %bb.16:
	s_or_b32 exec_lo, exec_lo, s2
.LBB111_17:
	s_delay_alu instid0(SALU_CYCLE_1)
	s_or_b32 exec_lo, exec_lo, s3
.LBB111_18:
	v_mbcnt_lo_u32_b32 v14, -1, 0
	s_delay_alu instid0(VALU_DEP_1) | instskip(NEXT) | instid1(VALU_DEP_1)
	v_xor_b32_e32 v6, 2, v14
	v_cmp_gt_i32_e32 vcc_lo, 32, v6
	v_cndmask_b32_e32 v6, v14, v6, vcc_lo
	s_delay_alu instid0(VALU_DEP_1)
	v_lshlrev_b32_e32 v13, 2, v6
	ds_bpermute_b32 v6, v13, v8
	ds_bpermute_b32 v7, v13, v9
	s_waitcnt lgkmcnt(0)
	v_add_f64 v[6:7], v[8:9], v[6:7]
	v_xor_b32_e32 v8, 1, v14
	s_delay_alu instid0(VALU_DEP_1)
	v_cmp_gt_i32_e32 vcc_lo, 32, v8
	v_cndmask_b32_e32 v8, v14, v8, vcc_lo
	ds_bpermute_b32 v12, v13, v10
	ds_bpermute_b32 v13, v13, v11
	v_cmp_eq_u32_e32 vcc_lo, 3, v0
	s_waitcnt lgkmcnt(0)
	v_add_f64 v[10:11], v[10:11], v[12:13]
	v_lshlrev_b32_e32 v13, 2, v8
	ds_bpermute_b32 v8, v13, v6
	ds_bpermute_b32 v9, v13, v7
	;; [unrolled: 1-line block ×4, first 2 shown]
	s_and_b32 exec_lo, exec_lo, vcc_lo
	s_cbranch_execz .LBB111_23
; %bb.19:
	s_waitcnt lgkmcnt(2)
	v_add_f64 v[8:9], v[6:7], v[8:9]
	s_waitcnt lgkmcnt(0)
	v_add_f64 v[6:7], v[10:11], v[12:13]
	s_load_b64 s[0:1], s[0:1], 0x38
	s_mov_b32 s2, exec_lo
	v_cmpx_eq_f64_e32 0, v[3:4]
	s_xor_b32 s2, exec_lo, s2
	s_cbranch_execz .LBB111_21
; %bb.20:
	s_delay_alu instid0(VALU_DEP_3) | instskip(NEXT) | instid1(VALU_DEP_3)
	v_mul_f64 v[8:9], v[1:2], v[8:9]
	v_mul_f64 v[10:11], v[1:2], v[6:7]
	v_lshlrev_b32_e32 v0, 1, v5
                                        ; implicit-def: $vgpr5
                                        ; implicit-def: $vgpr3_vgpr4
                                        ; implicit-def: $vgpr6_vgpr7
	s_delay_alu instid0(VALU_DEP_1) | instskip(NEXT) | instid1(VALU_DEP_1)
	v_ashrrev_i32_e32 v1, 31, v0
	v_lshlrev_b64 v[0:1], 3, v[0:1]
	s_waitcnt lgkmcnt(0)
	s_delay_alu instid0(VALU_DEP_1) | instskip(NEXT) | instid1(VALU_DEP_2)
	v_add_co_u32 v0, vcc_lo, s0, v0
	v_add_co_ci_u32_e32 v1, vcc_lo, s1, v1, vcc_lo
	global_store_b128 v[0:1], v[8:11], off
                                        ; implicit-def: $vgpr1_vgpr2
                                        ; implicit-def: $vgpr8_vgpr9
.LBB111_21:
	s_and_not1_saveexec_b32 s2, s2
	s_cbranch_execz .LBB111_23
; %bb.22:
	v_lshlrev_b32_e32 v10, 1, v5
	s_delay_alu instid0(VALU_DEP_4) | instskip(NEXT) | instid1(VALU_DEP_4)
	v_mul_f64 v[8:9], v[1:2], v[8:9]
	v_mul_f64 v[5:6], v[1:2], v[6:7]
	s_delay_alu instid0(VALU_DEP_3) | instskip(NEXT) | instid1(VALU_DEP_1)
	v_ashrrev_i32_e32 v11, 31, v10
	v_lshlrev_b64 v[10:11], 3, v[10:11]
	s_waitcnt lgkmcnt(0)
	s_delay_alu instid0(VALU_DEP_1) | instskip(NEXT) | instid1(VALU_DEP_2)
	v_add_co_u32 v14, vcc_lo, s0, v10
	v_add_co_ci_u32_e32 v15, vcc_lo, s1, v11, vcc_lo
	global_load_b128 v[10:13], v[14:15], off
	s_waitcnt vmcnt(0)
	v_fma_f64 v[0:1], v[3:4], v[10:11], v[8:9]
	v_fma_f64 v[2:3], v[3:4], v[12:13], v[5:6]
	global_store_b128 v[14:15], v[0:3], off
.LBB111_23:
	s_nop 0
	s_sendmsg sendmsg(MSG_DEALLOC_VGPRS)
	s_endpgm
	.section	.rodata,"a",@progbits
	.p2align	6, 0x0
	.amdhsa_kernel _ZN9rocsparseL19gebsrmvn_2xn_kernelILj128ELj9ELj4EdEEvi20rocsparse_direction_NS_24const_host_device_scalarIT2_EEPKiS6_PKS3_S8_S4_PS3_21rocsparse_index_base_b
		.amdhsa_group_segment_fixed_size 0
		.amdhsa_private_segment_fixed_size 0
		.amdhsa_kernarg_size 72
		.amdhsa_user_sgpr_count 15
		.amdhsa_user_sgpr_dispatch_ptr 0
		.amdhsa_user_sgpr_queue_ptr 0
		.amdhsa_user_sgpr_kernarg_segment_ptr 1
		.amdhsa_user_sgpr_dispatch_id 0
		.amdhsa_user_sgpr_private_segment_size 0
		.amdhsa_wavefront_size32 1
		.amdhsa_uses_dynamic_stack 0
		.amdhsa_enable_private_segment 0
		.amdhsa_system_sgpr_workgroup_id_x 1
		.amdhsa_system_sgpr_workgroup_id_y 0
		.amdhsa_system_sgpr_workgroup_id_z 0
		.amdhsa_system_sgpr_workgroup_info 0
		.amdhsa_system_vgpr_workitem_id 0
		.amdhsa_next_free_vgpr 72
		.amdhsa_next_free_sgpr 16
		.amdhsa_reserve_vcc 1
		.amdhsa_float_round_mode_32 0
		.amdhsa_float_round_mode_16_64 0
		.amdhsa_float_denorm_mode_32 3
		.amdhsa_float_denorm_mode_16_64 3
		.amdhsa_dx10_clamp 1
		.amdhsa_ieee_mode 1
		.amdhsa_fp16_overflow 0
		.amdhsa_workgroup_processor_mode 1
		.amdhsa_memory_ordered 1
		.amdhsa_forward_progress 0
		.amdhsa_shared_vgpr_count 0
		.amdhsa_exception_fp_ieee_invalid_op 0
		.amdhsa_exception_fp_denorm_src 0
		.amdhsa_exception_fp_ieee_div_zero 0
		.amdhsa_exception_fp_ieee_overflow 0
		.amdhsa_exception_fp_ieee_underflow 0
		.amdhsa_exception_fp_ieee_inexact 0
		.amdhsa_exception_int_div_zero 0
	.end_amdhsa_kernel
	.section	.text._ZN9rocsparseL19gebsrmvn_2xn_kernelILj128ELj9ELj4EdEEvi20rocsparse_direction_NS_24const_host_device_scalarIT2_EEPKiS6_PKS3_S8_S4_PS3_21rocsparse_index_base_b,"axG",@progbits,_ZN9rocsparseL19gebsrmvn_2xn_kernelILj128ELj9ELj4EdEEvi20rocsparse_direction_NS_24const_host_device_scalarIT2_EEPKiS6_PKS3_S8_S4_PS3_21rocsparse_index_base_b,comdat
.Lfunc_end111:
	.size	_ZN9rocsparseL19gebsrmvn_2xn_kernelILj128ELj9ELj4EdEEvi20rocsparse_direction_NS_24const_host_device_scalarIT2_EEPKiS6_PKS3_S8_S4_PS3_21rocsparse_index_base_b, .Lfunc_end111-_ZN9rocsparseL19gebsrmvn_2xn_kernelILj128ELj9ELj4EdEEvi20rocsparse_direction_NS_24const_host_device_scalarIT2_EEPKiS6_PKS3_S8_S4_PS3_21rocsparse_index_base_b
                                        ; -- End function
	.section	.AMDGPU.csdata,"",@progbits
; Kernel info:
; codeLenInByte = 3028
; NumSgprs: 18
; NumVgprs: 72
; ScratchSize: 0
; MemoryBound: 0
; FloatMode: 240
; IeeeMode: 1
; LDSByteSize: 0 bytes/workgroup (compile time only)
; SGPRBlocks: 2
; VGPRBlocks: 8
; NumSGPRsForWavesPerEU: 18
; NumVGPRsForWavesPerEU: 72
; Occupancy: 16
; WaveLimiterHint : 1
; COMPUTE_PGM_RSRC2:SCRATCH_EN: 0
; COMPUTE_PGM_RSRC2:USER_SGPR: 15
; COMPUTE_PGM_RSRC2:TRAP_HANDLER: 0
; COMPUTE_PGM_RSRC2:TGID_X_EN: 1
; COMPUTE_PGM_RSRC2:TGID_Y_EN: 0
; COMPUTE_PGM_RSRC2:TGID_Z_EN: 0
; COMPUTE_PGM_RSRC2:TIDIG_COMP_CNT: 0
	.section	.text._ZN9rocsparseL19gebsrmvn_2xn_kernelILj128ELj9ELj8EdEEvi20rocsparse_direction_NS_24const_host_device_scalarIT2_EEPKiS6_PKS3_S8_S4_PS3_21rocsparse_index_base_b,"axG",@progbits,_ZN9rocsparseL19gebsrmvn_2xn_kernelILj128ELj9ELj8EdEEvi20rocsparse_direction_NS_24const_host_device_scalarIT2_EEPKiS6_PKS3_S8_S4_PS3_21rocsparse_index_base_b,comdat
	.globl	_ZN9rocsparseL19gebsrmvn_2xn_kernelILj128ELj9ELj8EdEEvi20rocsparse_direction_NS_24const_host_device_scalarIT2_EEPKiS6_PKS3_S8_S4_PS3_21rocsparse_index_base_b ; -- Begin function _ZN9rocsparseL19gebsrmvn_2xn_kernelILj128ELj9ELj8EdEEvi20rocsparse_direction_NS_24const_host_device_scalarIT2_EEPKiS6_PKS3_S8_S4_PS3_21rocsparse_index_base_b
	.p2align	8
	.type	_ZN9rocsparseL19gebsrmvn_2xn_kernelILj128ELj9ELj8EdEEvi20rocsparse_direction_NS_24const_host_device_scalarIT2_EEPKiS6_PKS3_S8_S4_PS3_21rocsparse_index_base_b,@function
_ZN9rocsparseL19gebsrmvn_2xn_kernelILj128ELj9ELj8EdEEvi20rocsparse_direction_NS_24const_host_device_scalarIT2_EEPKiS6_PKS3_S8_S4_PS3_21rocsparse_index_base_b: ; @_ZN9rocsparseL19gebsrmvn_2xn_kernelILj128ELj9ELj8EdEEvi20rocsparse_direction_NS_24const_host_device_scalarIT2_EEPKiS6_PKS3_S8_S4_PS3_21rocsparse_index_base_b
; %bb.0:
	s_clause 0x2
	s_load_b64 s[12:13], s[0:1], 0x40
	s_load_b64 s[4:5], s[0:1], 0x8
	;; [unrolled: 1-line block ×3, first 2 shown]
	s_waitcnt lgkmcnt(0)
	s_bitcmp1_b32 s13, 0
	v_dual_mov_b32 v1, s4 :: v_dual_mov_b32 v2, s5
	s_cselect_b32 s6, -1, 0
	s_delay_alu instid0(SALU_CYCLE_1)
	s_and_b32 vcc_lo, exec_lo, s6
	s_xor_b32 s6, s6, -1
	s_cbranch_vccnz .LBB112_2
; %bb.1:
	v_dual_mov_b32 v1, s4 :: v_dual_mov_b32 v2, s5
	flat_load_b64 v[1:2], v[1:2]
.LBB112_2:
	v_dual_mov_b32 v4, s3 :: v_dual_mov_b32 v3, s2
	s_and_not1_b32 vcc_lo, exec_lo, s6
	s_cbranch_vccnz .LBB112_4
; %bb.3:
	v_dual_mov_b32 v4, s3 :: v_dual_mov_b32 v3, s2
	flat_load_b64 v[3:4], v[3:4]
.LBB112_4:
	s_waitcnt vmcnt(0) lgkmcnt(0)
	v_cmp_neq_f64_e32 vcc_lo, 0, v[1:2]
	v_cmp_neq_f64_e64 s2, 1.0, v[3:4]
	s_delay_alu instid0(VALU_DEP_1) | instskip(NEXT) | instid1(SALU_CYCLE_1)
	s_or_b32 s2, vcc_lo, s2
	s_and_saveexec_b32 s3, s2
	s_cbranch_execz .LBB112_23
; %bb.5:
	s_load_b64 s[2:3], s[0:1], 0x0
	v_lshrrev_b32_e32 v5, 3, v0
	s_delay_alu instid0(VALU_DEP_1) | instskip(SKIP_1) | instid1(VALU_DEP_1)
	v_lshl_or_b32 v5, s15, 4, v5
	s_waitcnt lgkmcnt(0)
	v_cmp_gt_i32_e32 vcc_lo, s2, v5
	s_and_b32 exec_lo, exec_lo, vcc_lo
	s_cbranch_execz .LBB112_23
; %bb.6:
	s_load_b256 s[4:11], s[0:1], 0x10
	v_ashrrev_i32_e32 v6, 31, v5
	v_and_b32_e32 v0, 7, v0
	s_cmp_lg_u32 s3, 0
	s_delay_alu instid0(VALU_DEP_2) | instskip(SKIP_1) | instid1(VALU_DEP_1)
	v_lshlrev_b64 v[6:7], 2, v[5:6]
	s_waitcnt lgkmcnt(0)
	v_add_co_u32 v6, vcc_lo, s4, v6
	s_delay_alu instid0(VALU_DEP_2) | instskip(SKIP_4) | instid1(VALU_DEP_2)
	v_add_co_ci_u32_e32 v7, vcc_lo, s5, v7, vcc_lo
	global_load_b64 v[6:7], v[6:7], off
	s_waitcnt vmcnt(0)
	v_subrev_nc_u32_e32 v6, s12, v6
	v_subrev_nc_u32_e32 v17, s12, v7
	v_add_nc_u32_e32 v6, v6, v0
	s_delay_alu instid0(VALU_DEP_1)
	v_cmp_lt_i32_e64 s2, v6, v17
	s_cbranch_scc0 .LBB112_12
; %bb.7:
	v_mov_b32_e32 v8, 0
	v_mov_b32_e32 v9, 0
	s_delay_alu instid0(VALU_DEP_1)
	v_dual_mov_b32 v11, v9 :: v_dual_mov_b32 v10, v8
	s_and_saveexec_b32 s3, s2
	s_cbranch_execz .LBB112_11
; %bb.8:
	v_dual_mov_b32 v8, 0 :: v_dual_mov_b32 v15, v6
	v_dual_mov_b32 v9, 0 :: v_dual_mov_b32 v14, 0
	v_mad_u64_u32 v[12:13], null, v6, 18, 16
	s_mov_b32 s4, 0
	s_delay_alu instid0(VALU_DEP_2)
	v_dual_mov_b32 v11, v9 :: v_dual_mov_b32 v10, v8
.LBB112_9:                              ; =>This Inner Loop Header: Depth=1
	v_ashrrev_i32_e32 v16, 31, v15
	s_delay_alu instid0(VALU_DEP_3) | instskip(SKIP_1) | instid1(VALU_DEP_3)
	v_add_nc_u32_e32 v13, -16, v12
	v_mov_b32_e32 v51, v14
	v_lshlrev_b64 v[18:19], 2, v[15:16]
	v_add_nc_u32_e32 v15, 8, v15
	s_delay_alu instid0(VALU_DEP_2) | instskip(NEXT) | instid1(VALU_DEP_3)
	v_add_co_u32 v18, vcc_lo, s6, v18
	v_add_co_ci_u32_e32 v19, vcc_lo, s7, v19, vcc_lo
	global_load_b32 v7, v[18:19], off
	v_lshlrev_b64 v[18:19], 3, v[13:14]
	v_add_nc_u32_e32 v13, -14, v12
	s_delay_alu instid0(VALU_DEP_2) | instskip(NEXT) | instid1(VALU_DEP_3)
	v_add_co_u32 v18, vcc_lo, s8, v18
	v_add_co_ci_u32_e32 v19, vcc_lo, s9, v19, vcc_lo
	s_waitcnt vmcnt(0)
	v_subrev_nc_u32_e32 v7, s12, v7
	s_delay_alu instid0(VALU_DEP_1) | instskip(NEXT) | instid1(VALU_DEP_1)
	v_lshl_add_u32 v50, v7, 3, v7
	v_lshlrev_b64 v[20:21], 3, v[50:51]
	s_delay_alu instid0(VALU_DEP_1) | instskip(NEXT) | instid1(VALU_DEP_2)
	v_add_co_u32 v22, vcc_lo, s10, v20
	v_add_co_ci_u32_e32 v23, vcc_lo, s11, v21, vcc_lo
	global_load_b128 v[18:21], v[18:19], off
	global_load_b64 v[54:55], v[22:23], off
	v_lshlrev_b64 v[22:23], 3, v[13:14]
	v_add_nc_u32_e32 v13, 1, v50
	s_delay_alu instid0(VALU_DEP_1) | instskip(NEXT) | instid1(VALU_DEP_3)
	v_lshlrev_b64 v[24:25], 3, v[13:14]
	v_add_co_u32 v22, vcc_lo, s8, v22
	s_delay_alu instid0(VALU_DEP_4) | instskip(SKIP_1) | instid1(VALU_DEP_4)
	v_add_co_ci_u32_e32 v23, vcc_lo, s9, v23, vcc_lo
	v_add_nc_u32_e32 v13, -12, v12
	v_add_co_u32 v26, vcc_lo, s10, v24
	v_add_co_ci_u32_e32 v27, vcc_lo, s11, v25, vcc_lo
	global_load_b128 v[22:25], v[22:23], off
	global_load_b64 v[56:57], v[26:27], off
	v_lshlrev_b64 v[26:27], 3, v[13:14]
	v_add_nc_u32_e32 v13, 2, v50
	s_delay_alu instid0(VALU_DEP_1) | instskip(NEXT) | instid1(VALU_DEP_3)
	v_lshlrev_b64 v[28:29], 3, v[13:14]
	v_add_co_u32 v26, vcc_lo, s8, v26
	s_delay_alu instid0(VALU_DEP_4) | instskip(SKIP_1) | instid1(VALU_DEP_4)
	v_add_co_ci_u32_e32 v27, vcc_lo, s9, v27, vcc_lo
	v_add_nc_u32_e32 v13, -10, v12
	;; [unrolled: 12-line block ×6, first 2 shown]
	v_add_co_u32 v46, vcc_lo, s10, v44
	v_add_co_ci_u32_e32 v47, vcc_lo, s11, v45, vcc_lo
	global_load_b128 v[42:45], v[42:43], off
	global_load_b64 v[66:67], v[46:47], off
	v_lshlrev_b64 v[46:47], 3, v[13:14]
	v_add_nc_u32_e32 v13, 7, v50
	s_delay_alu instid0(VALU_DEP_1) | instskip(NEXT) | instid1(VALU_DEP_3)
	v_lshlrev_b64 v[48:49], 3, v[13:14]
	v_add_co_u32 v46, vcc_lo, s8, v46
	s_delay_alu instid0(VALU_DEP_4) | instskip(SKIP_1) | instid1(VALU_DEP_4)
	v_add_co_ci_u32_e32 v47, vcc_lo, s9, v47, vcc_lo
	v_mov_b32_e32 v13, v14
	v_add_co_u32 v51, vcc_lo, s10, v48
	v_add_co_ci_u32_e32 v52, vcc_lo, s11, v49, vcc_lo
	global_load_b128 v[46:49], v[46:47], off
	global_load_b64 v[68:69], v[51:52], off
	v_lshlrev_b64 v[51:52], 3, v[12:13]
	v_add_nc_u32_e32 v12, 0x90, v12
	v_add_nc_u32_e32 v13, 8, v50
	s_delay_alu instid0(VALU_DEP_3) | instskip(NEXT) | instid1(VALU_DEP_2)
	v_add_co_u32 v50, vcc_lo, s8, v51
	v_lshlrev_b64 v[70:71], 3, v[13:14]
	v_add_co_ci_u32_e32 v51, vcc_lo, s9, v52, vcc_lo
	s_delay_alu instid0(VALU_DEP_2) | instskip(NEXT) | instid1(VALU_DEP_3)
	v_add_co_u32 v70, vcc_lo, s10, v70
	v_add_co_ci_u32_e32 v71, vcc_lo, s11, v71, vcc_lo
	global_load_b128 v[50:53], v[50:51], off
	global_load_b64 v[70:71], v[70:71], off
	v_cmp_ge_i32_e32 vcc_lo, v15, v17
	s_or_b32 s4, vcc_lo, s4
	s_waitcnt vmcnt(16)
	v_fma_f64 v[7:8], v[18:19], v[54:55], v[8:9]
	v_fma_f64 v[9:10], v[20:21], v[54:55], v[10:11]
	s_waitcnt vmcnt(14)
	s_delay_alu instid0(VALU_DEP_2) | instskip(NEXT) | instid1(VALU_DEP_2)
	v_fma_f64 v[7:8], v[22:23], v[56:57], v[7:8]
	v_fma_f64 v[9:10], v[24:25], v[56:57], v[9:10]
	s_waitcnt vmcnt(12)
	s_delay_alu instid0(VALU_DEP_2) | instskip(NEXT) | instid1(VALU_DEP_2)
	;; [unrolled: 4-line block ×8, first 2 shown]
	v_fma_f64 v[8:9], v[50:51], v[70:71], v[7:8]
	v_fma_f64 v[10:11], v[52:53], v[70:71], v[10:11]
	s_and_not1_b32 exec_lo, exec_lo, s4
	s_cbranch_execnz .LBB112_9
; %bb.10:
	s_or_b32 exec_lo, exec_lo, s4
.LBB112_11:
	s_delay_alu instid0(SALU_CYCLE_1)
	s_or_b32 exec_lo, exec_lo, s3
	s_cbranch_execz .LBB112_13
	s_branch .LBB112_18
.LBB112_12:
                                        ; implicit-def: $vgpr8_vgpr9
                                        ; implicit-def: $vgpr10_vgpr11
.LBB112_13:
	v_mov_b32_e32 v8, 0
	v_mov_b32_e32 v9, 0
	s_delay_alu instid0(VALU_DEP_1)
	v_dual_mov_b32 v11, v9 :: v_dual_mov_b32 v10, v8
	s_and_saveexec_b32 s3, s2
	s_cbranch_execz .LBB112_17
; %bb.14:
	v_mov_b32_e32 v8, 0
	v_dual_mov_b32 v9, 0 :: v_dual_mov_b32 v14, 0
	v_mad_u64_u32 v[12:13], null, v6, 18, 17
	s_mov_b32 s2, 0
	s_delay_alu instid0(VALU_DEP_2)
	v_dual_mov_b32 v11, v9 :: v_dual_mov_b32 v10, v8
.LBB112_15:                             ; =>This Inner Loop Header: Depth=1
	v_ashrrev_i32_e32 v7, 31, v6
	s_delay_alu instid0(VALU_DEP_3) | instskip(SKIP_1) | instid1(VALU_DEP_3)
	v_subrev_nc_u32_e32 v13, 17, v12
	v_mov_b32_e32 v23, v14
	v_lshlrev_b64 v[15:16], 2, v[6:7]
	v_add_nc_u32_e32 v6, 8, v6
	s_delay_alu instid0(VALU_DEP_4) | instskip(NEXT) | instid1(VALU_DEP_3)
	v_lshlrev_b64 v[18:19], 3, v[13:14]
	v_add_co_u32 v15, vcc_lo, s6, v15
	s_delay_alu instid0(VALU_DEP_4) | instskip(NEXT) | instid1(VALU_DEP_3)
	v_add_co_ci_u32_e32 v16, vcc_lo, s7, v16, vcc_lo
	v_add_co_u32 v18, vcc_lo, s8, v18
	s_delay_alu instid0(VALU_DEP_4) | instskip(SKIP_2) | instid1(VALU_DEP_1)
	v_add_co_ci_u32_e32 v19, vcc_lo, s9, v19, vcc_lo
	global_load_b32 v7, v[15:16], off
	v_dual_mov_b32 v16, v14 :: v_dual_add_nc_u32 v15, -8, v12
	v_lshlrev_b64 v[15:16], 3, v[15:16]
	s_delay_alu instid0(VALU_DEP_1) | instskip(NEXT) | instid1(VALU_DEP_2)
	v_add_co_u32 v15, vcc_lo, s8, v15
	v_add_co_ci_u32_e32 v16, vcc_lo, s9, v16, vcc_lo
	s_waitcnt vmcnt(0)
	v_subrev_nc_u32_e32 v7, s12, v7
	s_delay_alu instid0(VALU_DEP_1) | instskip(NEXT) | instid1(VALU_DEP_1)
	v_lshl_add_u32 v22, v7, 3, v7
	v_lshlrev_b64 v[20:21], 3, v[22:23]
	v_add_nc_u32_e32 v13, 1, v22
	s_delay_alu instid0(VALU_DEP_1) | instskip(NEXT) | instid1(VALU_DEP_3)
	v_lshlrev_b64 v[25:26], 3, v[13:14]
	v_add_co_u32 v23, vcc_lo, s10, v20
	s_delay_alu instid0(VALU_DEP_4)
	v_add_co_ci_u32_e32 v24, vcc_lo, s11, v21, vcc_lo
	s_clause 0x1
	global_load_b128 v[18:21], v[18:19], off
	global_load_b64 v[15:16], v[15:16], off
	global_load_b64 v[23:24], v[23:24], off
	v_add_nc_u32_e32 v13, -7, v12
	v_add_co_u32 v25, vcc_lo, s10, v25
	v_add_co_ci_u32_e32 v26, vcc_lo, s11, v26, vcc_lo
	s_delay_alu instid0(VALU_DEP_3) | instskip(SKIP_1) | instid1(VALU_DEP_2)
	v_lshlrev_b64 v[27:28], 3, v[13:14]
	v_add_nc_u32_e32 v13, -15, v12
	v_add_co_u32 v27, vcc_lo, s8, v27
	s_delay_alu instid0(VALU_DEP_3) | instskip(SKIP_4) | instid1(VALU_DEP_1)
	v_add_co_ci_u32_e32 v28, vcc_lo, s9, v28, vcc_lo
	global_load_b64 v[25:26], v[25:26], off
	global_load_b64 v[27:28], v[27:28], off
	v_lshlrev_b64 v[29:30], 3, v[13:14]
	v_add_nc_u32_e32 v13, 2, v22
	v_lshlrev_b64 v[31:32], 3, v[13:14]
	v_add_nc_u32_e32 v13, -6, v12
	s_delay_alu instid0(VALU_DEP_4) | instskip(SKIP_1) | instid1(VALU_DEP_3)
	v_add_co_u32 v29, vcc_lo, s8, v29
	v_add_co_ci_u32_e32 v30, vcc_lo, s9, v30, vcc_lo
	v_lshlrev_b64 v[33:34], 3, v[13:14]
	v_add_co_u32 v31, vcc_lo, s10, v31
	v_add_co_ci_u32_e32 v32, vcc_lo, s11, v32, vcc_lo
	v_add_nc_u32_e32 v13, -14, v12
	s_delay_alu instid0(VALU_DEP_4)
	v_add_co_u32 v33, vcc_lo, s8, v33
	v_add_co_ci_u32_e32 v34, vcc_lo, s9, v34, vcc_lo
	global_load_b64 v[29:30], v[29:30], off
	global_load_b64 v[31:32], v[31:32], off
	global_load_b64 v[33:34], v[33:34], off
	v_lshlrev_b64 v[35:36], 3, v[13:14]
	v_add_nc_u32_e32 v13, 3, v22
	s_delay_alu instid0(VALU_DEP_1) | instskip(SKIP_1) | instid1(VALU_DEP_4)
	v_lshlrev_b64 v[37:38], 3, v[13:14]
	v_add_nc_u32_e32 v13, -5, v12
	v_add_co_u32 v35, vcc_lo, s8, v35
	v_add_co_ci_u32_e32 v36, vcc_lo, s9, v36, vcc_lo
	s_delay_alu instid0(VALU_DEP_3) | instskip(SKIP_3) | instid1(VALU_DEP_4)
	v_lshlrev_b64 v[39:40], 3, v[13:14]
	v_add_co_u32 v37, vcc_lo, s10, v37
	v_add_co_ci_u32_e32 v38, vcc_lo, s11, v38, vcc_lo
	v_add_nc_u32_e32 v13, -13, v12
	v_add_co_u32 v39, vcc_lo, s8, v39
	v_add_co_ci_u32_e32 v40, vcc_lo, s9, v40, vcc_lo
	global_load_b64 v[35:36], v[35:36], off
	global_load_b64 v[37:38], v[37:38], off
	global_load_b64 v[39:40], v[39:40], off
	v_lshlrev_b64 v[41:42], 3, v[13:14]
	v_add_nc_u32_e32 v13, 4, v22
	s_delay_alu instid0(VALU_DEP_1) | instskip(SKIP_1) | instid1(VALU_DEP_4)
	v_lshlrev_b64 v[43:44], 3, v[13:14]
	v_add_nc_u32_e32 v13, -4, v12
	v_add_co_u32 v41, vcc_lo, s8, v41
	v_add_co_ci_u32_e32 v42, vcc_lo, s9, v42, vcc_lo
	s_delay_alu instid0(VALU_DEP_3) | instskip(SKIP_3) | instid1(VALU_DEP_4)
	v_lshlrev_b64 v[45:46], 3, v[13:14]
	v_add_co_u32 v43, vcc_lo, s10, v43
	v_add_co_ci_u32_e32 v44, vcc_lo, s11, v44, vcc_lo
	v_add_nc_u32_e32 v13, -12, v12
	;; [unrolled: 17-line block ×4, first 2 shown]
	v_add_co_u32 v57, vcc_lo, s8, v57
	v_add_co_ci_u32_e32 v58, vcc_lo, s9, v58, vcc_lo
	global_load_b64 v[53:54], v[53:54], off
	global_load_b64 v[55:56], v[55:56], off
	;; [unrolled: 1-line block ×3, first 2 shown]
	v_lshlrev_b64 v[59:60], 3, v[13:14]
	v_add_nc_u32_e32 v13, 7, v22
	s_delay_alu instid0(VALU_DEP_1) | instskip(SKIP_1) | instid1(VALU_DEP_4)
	v_lshlrev_b64 v[61:62], 3, v[13:14]
	v_add_nc_u32_e32 v13, -1, v12
	v_add_co_u32 v59, vcc_lo, s8, v59
	v_add_co_ci_u32_e32 v60, vcc_lo, s9, v60, vcc_lo
	s_delay_alu instid0(VALU_DEP_3) | instskip(SKIP_3) | instid1(VALU_DEP_4)
	v_lshlrev_b64 v[63:64], 3, v[13:14]
	v_add_co_u32 v61, vcc_lo, s10, v61
	v_add_co_ci_u32_e32 v62, vcc_lo, s11, v62, vcc_lo
	v_mov_b32_e32 v13, v14
	v_add_co_u32 v63, vcc_lo, s8, v63
	v_add_co_ci_u32_e32 v64, vcc_lo, s9, v64, vcc_lo
	global_load_b64 v[59:60], v[59:60], off
	global_load_b64 v[61:62], v[61:62], off
	;; [unrolled: 1-line block ×3, first 2 shown]
	v_lshlrev_b64 v[65:66], 3, v[12:13]
	v_add_nc_u32_e32 v13, -9, v12
	v_add_nc_u32_e32 v12, 0x90, v12
	s_delay_alu instid0(VALU_DEP_2) | instskip(SKIP_3) | instid1(VALU_DEP_3)
	v_lshlrev_b64 v[67:68], 3, v[13:14]
	v_add_nc_u32_e32 v13, 8, v22
	v_add_co_u32 v65, vcc_lo, s8, v65
	v_add_co_ci_u32_e32 v66, vcc_lo, s9, v66, vcc_lo
	v_lshlrev_b64 v[69:70], 3, v[13:14]
	v_add_co_u32 v67, vcc_lo, s8, v67
	v_add_co_ci_u32_e32 v68, vcc_lo, s9, v68, vcc_lo
	s_delay_alu instid0(VALU_DEP_3) | instskip(NEXT) | instid1(VALU_DEP_4)
	v_add_co_u32 v69, vcc_lo, s10, v69
	v_add_co_ci_u32_e32 v70, vcc_lo, s11, v70, vcc_lo
	s_clause 0x1
	global_load_b64 v[65:66], v[65:66], off
	global_load_b64 v[67:68], v[67:68], off
	global_load_b64 v[69:70], v[69:70], off
	v_cmp_ge_i32_e32 vcc_lo, v6, v17
	s_or_b32 s2, vcc_lo, s2
	s_waitcnt vmcnt(23)
	v_fma_f64 v[7:8], v[18:19], v[23:24], v[8:9]
	v_fma_f64 v[9:10], v[15:16], v[23:24], v[10:11]
	s_waitcnt vmcnt(22)
	s_delay_alu instid0(VALU_DEP_2) | instskip(SKIP_1) | instid1(VALU_DEP_2)
	v_fma_f64 v[7:8], v[20:21], v[25:26], v[7:8]
	s_waitcnt vmcnt(21)
	v_fma_f64 v[9:10], v[27:28], v[25:26], v[9:10]
	s_waitcnt vmcnt(19)
	s_delay_alu instid0(VALU_DEP_2) | instskip(SKIP_1) | instid1(VALU_DEP_2)
	v_fma_f64 v[7:8], v[29:30], v[31:32], v[7:8]
	s_waitcnt vmcnt(18)
	v_fma_f64 v[9:10], v[33:34], v[31:32], v[9:10]
	s_waitcnt vmcnt(16)
	s_delay_alu instid0(VALU_DEP_2) | instskip(SKIP_1) | instid1(VALU_DEP_2)
	v_fma_f64 v[7:8], v[35:36], v[37:38], v[7:8]
	s_waitcnt vmcnt(15)
	v_fma_f64 v[9:10], v[39:40], v[37:38], v[9:10]
	s_waitcnt vmcnt(13)
	s_delay_alu instid0(VALU_DEP_2) | instskip(SKIP_1) | instid1(VALU_DEP_2)
	v_fma_f64 v[7:8], v[41:42], v[43:44], v[7:8]
	s_waitcnt vmcnt(12)
	v_fma_f64 v[9:10], v[45:46], v[43:44], v[9:10]
	s_waitcnt vmcnt(10)
	s_delay_alu instid0(VALU_DEP_2) | instskip(SKIP_1) | instid1(VALU_DEP_2)
	v_fma_f64 v[7:8], v[47:48], v[49:50], v[7:8]
	s_waitcnt vmcnt(9)
	v_fma_f64 v[9:10], v[51:52], v[49:50], v[9:10]
	s_waitcnt vmcnt(7)
	s_delay_alu instid0(VALU_DEP_2) | instskip(SKIP_1) | instid1(VALU_DEP_2)
	v_fma_f64 v[7:8], v[53:54], v[55:56], v[7:8]
	s_waitcnt vmcnt(6)
	v_fma_f64 v[9:10], v[57:58], v[55:56], v[9:10]
	s_waitcnt vmcnt(4)
	s_delay_alu instid0(VALU_DEP_2) | instskip(SKIP_1) | instid1(VALU_DEP_2)
	v_fma_f64 v[7:8], v[59:60], v[61:62], v[7:8]
	s_waitcnt vmcnt(3)
	v_fma_f64 v[10:11], v[63:64], v[61:62], v[9:10]
	s_waitcnt vmcnt(0)
	s_delay_alu instid0(VALU_DEP_2) | instskip(NEXT) | instid1(VALU_DEP_2)
	v_fma_f64 v[8:9], v[67:68], v[69:70], v[7:8]
	v_fma_f64 v[10:11], v[65:66], v[69:70], v[10:11]
	s_and_not1_b32 exec_lo, exec_lo, s2
	s_cbranch_execnz .LBB112_15
; %bb.16:
	s_or_b32 exec_lo, exec_lo, s2
.LBB112_17:
	s_delay_alu instid0(SALU_CYCLE_1)
	s_or_b32 exec_lo, exec_lo, s3
.LBB112_18:
	v_mbcnt_lo_u32_b32 v14, -1, 0
	s_delay_alu instid0(VALU_DEP_1) | instskip(NEXT) | instid1(VALU_DEP_1)
	v_xor_b32_e32 v6, 4, v14
	v_cmp_gt_i32_e32 vcc_lo, 32, v6
	v_cndmask_b32_e32 v6, v14, v6, vcc_lo
	s_delay_alu instid0(VALU_DEP_1)
	v_lshlrev_b32_e32 v13, 2, v6
	ds_bpermute_b32 v6, v13, v8
	ds_bpermute_b32 v7, v13, v9
	;; [unrolled: 1-line block ×4, first 2 shown]
	s_waitcnt lgkmcnt(2)
	v_add_f64 v[6:7], v[8:9], v[6:7]
	s_waitcnt lgkmcnt(0)
	v_add_f64 v[8:9], v[10:11], v[12:13]
	v_xor_b32_e32 v10, 2, v14
	s_delay_alu instid0(VALU_DEP_1) | instskip(SKIP_1) | instid1(VALU_DEP_1)
	v_cmp_gt_i32_e32 vcc_lo, 32, v10
	v_cndmask_b32_e32 v10, v14, v10, vcc_lo
	v_lshlrev_b32_e32 v13, 2, v10
	ds_bpermute_b32 v10, v13, v6
	ds_bpermute_b32 v11, v13, v7
	;; [unrolled: 1-line block ×4, first 2 shown]
	s_waitcnt lgkmcnt(2)
	v_add_f64 v[6:7], v[6:7], v[10:11]
	s_waitcnt lgkmcnt(0)
	v_add_f64 v[10:11], v[8:9], v[12:13]
	v_xor_b32_e32 v8, 1, v14
	s_delay_alu instid0(VALU_DEP_1) | instskip(SKIP_2) | instid1(VALU_DEP_2)
	v_cmp_gt_i32_e32 vcc_lo, 32, v8
	v_cndmask_b32_e32 v8, v14, v8, vcc_lo
	v_cmp_eq_u32_e32 vcc_lo, 7, v0
	v_lshlrev_b32_e32 v13, 2, v8
	ds_bpermute_b32 v8, v13, v6
	ds_bpermute_b32 v9, v13, v7
	;; [unrolled: 1-line block ×4, first 2 shown]
	s_and_b32 exec_lo, exec_lo, vcc_lo
	s_cbranch_execz .LBB112_23
; %bb.19:
	s_waitcnt lgkmcnt(2)
	v_add_f64 v[8:9], v[6:7], v[8:9]
	s_waitcnt lgkmcnt(0)
	v_add_f64 v[6:7], v[10:11], v[12:13]
	s_load_b64 s[0:1], s[0:1], 0x38
	s_mov_b32 s2, exec_lo
	v_cmpx_eq_f64_e32 0, v[3:4]
	s_xor_b32 s2, exec_lo, s2
	s_cbranch_execz .LBB112_21
; %bb.20:
	s_delay_alu instid0(VALU_DEP_3) | instskip(NEXT) | instid1(VALU_DEP_3)
	v_mul_f64 v[8:9], v[1:2], v[8:9]
	v_mul_f64 v[10:11], v[1:2], v[6:7]
	v_lshlrev_b32_e32 v0, 1, v5
                                        ; implicit-def: $vgpr5
                                        ; implicit-def: $vgpr3_vgpr4
                                        ; implicit-def: $vgpr6_vgpr7
	s_delay_alu instid0(VALU_DEP_1) | instskip(NEXT) | instid1(VALU_DEP_1)
	v_ashrrev_i32_e32 v1, 31, v0
	v_lshlrev_b64 v[0:1], 3, v[0:1]
	s_waitcnt lgkmcnt(0)
	s_delay_alu instid0(VALU_DEP_1) | instskip(NEXT) | instid1(VALU_DEP_2)
	v_add_co_u32 v0, vcc_lo, s0, v0
	v_add_co_ci_u32_e32 v1, vcc_lo, s1, v1, vcc_lo
	global_store_b128 v[0:1], v[8:11], off
                                        ; implicit-def: $vgpr1_vgpr2
                                        ; implicit-def: $vgpr8_vgpr9
.LBB112_21:
	s_and_not1_saveexec_b32 s2, s2
	s_cbranch_execz .LBB112_23
; %bb.22:
	v_lshlrev_b32_e32 v10, 1, v5
	s_delay_alu instid0(VALU_DEP_4) | instskip(NEXT) | instid1(VALU_DEP_4)
	v_mul_f64 v[8:9], v[1:2], v[8:9]
	v_mul_f64 v[5:6], v[1:2], v[6:7]
	s_delay_alu instid0(VALU_DEP_3) | instskip(NEXT) | instid1(VALU_DEP_1)
	v_ashrrev_i32_e32 v11, 31, v10
	v_lshlrev_b64 v[10:11], 3, v[10:11]
	s_waitcnt lgkmcnt(0)
	s_delay_alu instid0(VALU_DEP_1) | instskip(NEXT) | instid1(VALU_DEP_2)
	v_add_co_u32 v14, vcc_lo, s0, v10
	v_add_co_ci_u32_e32 v15, vcc_lo, s1, v11, vcc_lo
	global_load_b128 v[10:13], v[14:15], off
	s_waitcnt vmcnt(0)
	v_fma_f64 v[0:1], v[3:4], v[10:11], v[8:9]
	v_fma_f64 v[2:3], v[3:4], v[12:13], v[5:6]
	global_store_b128 v[14:15], v[0:3], off
.LBB112_23:
	s_nop 0
	s_sendmsg sendmsg(MSG_DEALLOC_VGPRS)
	s_endpgm
	.section	.rodata,"a",@progbits
	.p2align	6, 0x0
	.amdhsa_kernel _ZN9rocsparseL19gebsrmvn_2xn_kernelILj128ELj9ELj8EdEEvi20rocsparse_direction_NS_24const_host_device_scalarIT2_EEPKiS6_PKS3_S8_S4_PS3_21rocsparse_index_base_b
		.amdhsa_group_segment_fixed_size 0
		.amdhsa_private_segment_fixed_size 0
		.amdhsa_kernarg_size 72
		.amdhsa_user_sgpr_count 15
		.amdhsa_user_sgpr_dispatch_ptr 0
		.amdhsa_user_sgpr_queue_ptr 0
		.amdhsa_user_sgpr_kernarg_segment_ptr 1
		.amdhsa_user_sgpr_dispatch_id 0
		.amdhsa_user_sgpr_private_segment_size 0
		.amdhsa_wavefront_size32 1
		.amdhsa_uses_dynamic_stack 0
		.amdhsa_enable_private_segment 0
		.amdhsa_system_sgpr_workgroup_id_x 1
		.amdhsa_system_sgpr_workgroup_id_y 0
		.amdhsa_system_sgpr_workgroup_id_z 0
		.amdhsa_system_sgpr_workgroup_info 0
		.amdhsa_system_vgpr_workitem_id 0
		.amdhsa_next_free_vgpr 72
		.amdhsa_next_free_sgpr 16
		.amdhsa_reserve_vcc 1
		.amdhsa_float_round_mode_32 0
		.amdhsa_float_round_mode_16_64 0
		.amdhsa_float_denorm_mode_32 3
		.amdhsa_float_denorm_mode_16_64 3
		.amdhsa_dx10_clamp 1
		.amdhsa_ieee_mode 1
		.amdhsa_fp16_overflow 0
		.amdhsa_workgroup_processor_mode 1
		.amdhsa_memory_ordered 1
		.amdhsa_forward_progress 0
		.amdhsa_shared_vgpr_count 0
		.amdhsa_exception_fp_ieee_invalid_op 0
		.amdhsa_exception_fp_denorm_src 0
		.amdhsa_exception_fp_ieee_div_zero 0
		.amdhsa_exception_fp_ieee_overflow 0
		.amdhsa_exception_fp_ieee_underflow 0
		.amdhsa_exception_fp_ieee_inexact 0
		.amdhsa_exception_int_div_zero 0
	.end_amdhsa_kernel
	.section	.text._ZN9rocsparseL19gebsrmvn_2xn_kernelILj128ELj9ELj8EdEEvi20rocsparse_direction_NS_24const_host_device_scalarIT2_EEPKiS6_PKS3_S8_S4_PS3_21rocsparse_index_base_b,"axG",@progbits,_ZN9rocsparseL19gebsrmvn_2xn_kernelILj128ELj9ELj8EdEEvi20rocsparse_direction_NS_24const_host_device_scalarIT2_EEPKiS6_PKS3_S8_S4_PS3_21rocsparse_index_base_b,comdat
.Lfunc_end112:
	.size	_ZN9rocsparseL19gebsrmvn_2xn_kernelILj128ELj9ELj8EdEEvi20rocsparse_direction_NS_24const_host_device_scalarIT2_EEPKiS6_PKS3_S8_S4_PS3_21rocsparse_index_base_b, .Lfunc_end112-_ZN9rocsparseL19gebsrmvn_2xn_kernelILj128ELj9ELj8EdEEvi20rocsparse_direction_NS_24const_host_device_scalarIT2_EEPKiS6_PKS3_S8_S4_PS3_21rocsparse_index_base_b
                                        ; -- End function
	.section	.AMDGPU.csdata,"",@progbits
; Kernel info:
; codeLenInByte = 3104
; NumSgprs: 18
; NumVgprs: 72
; ScratchSize: 0
; MemoryBound: 0
; FloatMode: 240
; IeeeMode: 1
; LDSByteSize: 0 bytes/workgroup (compile time only)
; SGPRBlocks: 2
; VGPRBlocks: 8
; NumSGPRsForWavesPerEU: 18
; NumVGPRsForWavesPerEU: 72
; Occupancy: 16
; WaveLimiterHint : 1
; COMPUTE_PGM_RSRC2:SCRATCH_EN: 0
; COMPUTE_PGM_RSRC2:USER_SGPR: 15
; COMPUTE_PGM_RSRC2:TRAP_HANDLER: 0
; COMPUTE_PGM_RSRC2:TGID_X_EN: 1
; COMPUTE_PGM_RSRC2:TGID_Y_EN: 0
; COMPUTE_PGM_RSRC2:TGID_Z_EN: 0
; COMPUTE_PGM_RSRC2:TIDIG_COMP_CNT: 0
	.section	.text._ZN9rocsparseL19gebsrmvn_2xn_kernelILj128ELj9ELj16EdEEvi20rocsparse_direction_NS_24const_host_device_scalarIT2_EEPKiS6_PKS3_S8_S4_PS3_21rocsparse_index_base_b,"axG",@progbits,_ZN9rocsparseL19gebsrmvn_2xn_kernelILj128ELj9ELj16EdEEvi20rocsparse_direction_NS_24const_host_device_scalarIT2_EEPKiS6_PKS3_S8_S4_PS3_21rocsparse_index_base_b,comdat
	.globl	_ZN9rocsparseL19gebsrmvn_2xn_kernelILj128ELj9ELj16EdEEvi20rocsparse_direction_NS_24const_host_device_scalarIT2_EEPKiS6_PKS3_S8_S4_PS3_21rocsparse_index_base_b ; -- Begin function _ZN9rocsparseL19gebsrmvn_2xn_kernelILj128ELj9ELj16EdEEvi20rocsparse_direction_NS_24const_host_device_scalarIT2_EEPKiS6_PKS3_S8_S4_PS3_21rocsparse_index_base_b
	.p2align	8
	.type	_ZN9rocsparseL19gebsrmvn_2xn_kernelILj128ELj9ELj16EdEEvi20rocsparse_direction_NS_24const_host_device_scalarIT2_EEPKiS6_PKS3_S8_S4_PS3_21rocsparse_index_base_b,@function
_ZN9rocsparseL19gebsrmvn_2xn_kernelILj128ELj9ELj16EdEEvi20rocsparse_direction_NS_24const_host_device_scalarIT2_EEPKiS6_PKS3_S8_S4_PS3_21rocsparse_index_base_b: ; @_ZN9rocsparseL19gebsrmvn_2xn_kernelILj128ELj9ELj16EdEEvi20rocsparse_direction_NS_24const_host_device_scalarIT2_EEPKiS6_PKS3_S8_S4_PS3_21rocsparse_index_base_b
; %bb.0:
	s_clause 0x2
	s_load_b64 s[12:13], s[0:1], 0x40
	s_load_b64 s[4:5], s[0:1], 0x8
	;; [unrolled: 1-line block ×3, first 2 shown]
	s_waitcnt lgkmcnt(0)
	s_bitcmp1_b32 s13, 0
	v_dual_mov_b32 v1, s4 :: v_dual_mov_b32 v2, s5
	s_cselect_b32 s6, -1, 0
	s_delay_alu instid0(SALU_CYCLE_1)
	s_and_b32 vcc_lo, exec_lo, s6
	s_xor_b32 s6, s6, -1
	s_cbranch_vccnz .LBB113_2
; %bb.1:
	v_dual_mov_b32 v1, s4 :: v_dual_mov_b32 v2, s5
	flat_load_b64 v[1:2], v[1:2]
.LBB113_2:
	v_dual_mov_b32 v4, s3 :: v_dual_mov_b32 v3, s2
	s_and_not1_b32 vcc_lo, exec_lo, s6
	s_cbranch_vccnz .LBB113_4
; %bb.3:
	v_dual_mov_b32 v4, s3 :: v_dual_mov_b32 v3, s2
	flat_load_b64 v[3:4], v[3:4]
.LBB113_4:
	s_waitcnt vmcnt(0) lgkmcnt(0)
	v_cmp_neq_f64_e32 vcc_lo, 0, v[1:2]
	v_cmp_neq_f64_e64 s2, 1.0, v[3:4]
	s_delay_alu instid0(VALU_DEP_1) | instskip(NEXT) | instid1(SALU_CYCLE_1)
	s_or_b32 s2, vcc_lo, s2
	s_and_saveexec_b32 s3, s2
	s_cbranch_execz .LBB113_23
; %bb.5:
	s_load_b64 s[2:3], s[0:1], 0x0
	v_lshrrev_b32_e32 v5, 4, v0
	s_delay_alu instid0(VALU_DEP_1) | instskip(SKIP_1) | instid1(VALU_DEP_1)
	v_lshl_or_b32 v5, s15, 3, v5
	s_waitcnt lgkmcnt(0)
	v_cmp_gt_i32_e32 vcc_lo, s2, v5
	s_and_b32 exec_lo, exec_lo, vcc_lo
	s_cbranch_execz .LBB113_23
; %bb.6:
	s_load_b256 s[4:11], s[0:1], 0x10
	v_ashrrev_i32_e32 v6, 31, v5
	v_and_b32_e32 v0, 15, v0
	s_cmp_lg_u32 s3, 0
	s_delay_alu instid0(VALU_DEP_2) | instskip(SKIP_1) | instid1(VALU_DEP_1)
	v_lshlrev_b64 v[6:7], 2, v[5:6]
	s_waitcnt lgkmcnt(0)
	v_add_co_u32 v6, vcc_lo, s4, v6
	s_delay_alu instid0(VALU_DEP_2) | instskip(SKIP_4) | instid1(VALU_DEP_2)
	v_add_co_ci_u32_e32 v7, vcc_lo, s5, v7, vcc_lo
	global_load_b64 v[6:7], v[6:7], off
	s_waitcnt vmcnt(0)
	v_subrev_nc_u32_e32 v6, s12, v6
	v_subrev_nc_u32_e32 v17, s12, v7
	v_add_nc_u32_e32 v8, v6, v0
	s_delay_alu instid0(VALU_DEP_1)
	v_cmp_lt_i32_e64 s2, v8, v17
	s_cbranch_scc0 .LBB113_12
; %bb.7:
	v_mov_b32_e32 v6, 0
	v_mov_b32_e32 v7, 0
	s_delay_alu instid0(VALU_DEP_1)
	v_dual_mov_b32 v11, v7 :: v_dual_mov_b32 v10, v6
	s_and_saveexec_b32 s3, s2
	s_cbranch_execz .LBB113_11
; %bb.8:
	v_dual_mov_b32 v6, 0 :: v_dual_mov_b32 v15, v8
	v_dual_mov_b32 v7, 0 :: v_dual_mov_b32 v14, 0
	v_mad_u64_u32 v[12:13], null, v8, 18, 16
	s_mov_b32 s4, 0
	s_delay_alu instid0(VALU_DEP_2)
	v_dual_mov_b32 v11, v7 :: v_dual_mov_b32 v10, v6
.LBB113_9:                              ; =>This Inner Loop Header: Depth=1
	v_ashrrev_i32_e32 v16, 31, v15
	s_delay_alu instid0(VALU_DEP_3) | instskip(SKIP_1) | instid1(VALU_DEP_3)
	v_add_nc_u32_e32 v13, -16, v12
	v_mov_b32_e32 v51, v14
	v_lshlrev_b64 v[18:19], 2, v[15:16]
	v_add_nc_u32_e32 v15, 16, v15
	s_delay_alu instid0(VALU_DEP_2) | instskip(NEXT) | instid1(VALU_DEP_3)
	v_add_co_u32 v18, vcc_lo, s6, v18
	v_add_co_ci_u32_e32 v19, vcc_lo, s7, v19, vcc_lo
	global_load_b32 v9, v[18:19], off
	v_lshlrev_b64 v[18:19], 3, v[13:14]
	v_add_nc_u32_e32 v13, -14, v12
	s_delay_alu instid0(VALU_DEP_2) | instskip(NEXT) | instid1(VALU_DEP_3)
	v_add_co_u32 v18, vcc_lo, s8, v18
	v_add_co_ci_u32_e32 v19, vcc_lo, s9, v19, vcc_lo
	s_waitcnt vmcnt(0)
	v_subrev_nc_u32_e32 v9, s12, v9
	s_delay_alu instid0(VALU_DEP_1) | instskip(NEXT) | instid1(VALU_DEP_1)
	v_lshl_add_u32 v50, v9, 3, v9
	v_lshlrev_b64 v[20:21], 3, v[50:51]
	s_delay_alu instid0(VALU_DEP_1) | instskip(NEXT) | instid1(VALU_DEP_2)
	v_add_co_u32 v22, vcc_lo, s10, v20
	v_add_co_ci_u32_e32 v23, vcc_lo, s11, v21, vcc_lo
	global_load_b128 v[18:21], v[18:19], off
	global_load_b64 v[54:55], v[22:23], off
	v_lshlrev_b64 v[22:23], 3, v[13:14]
	v_add_nc_u32_e32 v13, 1, v50
	s_delay_alu instid0(VALU_DEP_1) | instskip(NEXT) | instid1(VALU_DEP_3)
	v_lshlrev_b64 v[24:25], 3, v[13:14]
	v_add_co_u32 v22, vcc_lo, s8, v22
	s_delay_alu instid0(VALU_DEP_4) | instskip(SKIP_1) | instid1(VALU_DEP_4)
	v_add_co_ci_u32_e32 v23, vcc_lo, s9, v23, vcc_lo
	v_add_nc_u32_e32 v13, -12, v12
	v_add_co_u32 v26, vcc_lo, s10, v24
	v_add_co_ci_u32_e32 v27, vcc_lo, s11, v25, vcc_lo
	global_load_b128 v[22:25], v[22:23], off
	global_load_b64 v[56:57], v[26:27], off
	v_lshlrev_b64 v[26:27], 3, v[13:14]
	v_add_nc_u32_e32 v13, 2, v50
	s_delay_alu instid0(VALU_DEP_1) | instskip(NEXT) | instid1(VALU_DEP_3)
	v_lshlrev_b64 v[28:29], 3, v[13:14]
	v_add_co_u32 v26, vcc_lo, s8, v26
	s_delay_alu instid0(VALU_DEP_4) | instskip(SKIP_1) | instid1(VALU_DEP_4)
	v_add_co_ci_u32_e32 v27, vcc_lo, s9, v27, vcc_lo
	v_add_nc_u32_e32 v13, -10, v12
	;; [unrolled: 12-line block ×6, first 2 shown]
	v_add_co_u32 v46, vcc_lo, s10, v44
	v_add_co_ci_u32_e32 v47, vcc_lo, s11, v45, vcc_lo
	global_load_b128 v[42:45], v[42:43], off
	global_load_b64 v[66:67], v[46:47], off
	v_lshlrev_b64 v[46:47], 3, v[13:14]
	v_add_nc_u32_e32 v13, 7, v50
	s_delay_alu instid0(VALU_DEP_1) | instskip(NEXT) | instid1(VALU_DEP_3)
	v_lshlrev_b64 v[48:49], 3, v[13:14]
	v_add_co_u32 v46, vcc_lo, s8, v46
	s_delay_alu instid0(VALU_DEP_4) | instskip(SKIP_1) | instid1(VALU_DEP_4)
	v_add_co_ci_u32_e32 v47, vcc_lo, s9, v47, vcc_lo
	v_mov_b32_e32 v13, v14
	v_add_co_u32 v51, vcc_lo, s10, v48
	v_add_co_ci_u32_e32 v52, vcc_lo, s11, v49, vcc_lo
	global_load_b128 v[46:49], v[46:47], off
	global_load_b64 v[68:69], v[51:52], off
	v_lshlrev_b64 v[51:52], 3, v[12:13]
	v_add_nc_u32_e32 v12, 0x120, v12
	v_add_nc_u32_e32 v13, 8, v50
	s_delay_alu instid0(VALU_DEP_3) | instskip(NEXT) | instid1(VALU_DEP_2)
	v_add_co_u32 v50, vcc_lo, s8, v51
	v_lshlrev_b64 v[70:71], 3, v[13:14]
	v_add_co_ci_u32_e32 v51, vcc_lo, s9, v52, vcc_lo
	s_delay_alu instid0(VALU_DEP_2) | instskip(NEXT) | instid1(VALU_DEP_3)
	v_add_co_u32 v70, vcc_lo, s10, v70
	v_add_co_ci_u32_e32 v71, vcc_lo, s11, v71, vcc_lo
	global_load_b128 v[50:53], v[50:51], off
	global_load_b64 v[70:71], v[70:71], off
	v_cmp_ge_i32_e32 vcc_lo, v15, v17
	s_or_b32 s4, vcc_lo, s4
	s_waitcnt vmcnt(16)
	v_fma_f64 v[6:7], v[18:19], v[54:55], v[6:7]
	v_fma_f64 v[9:10], v[20:21], v[54:55], v[10:11]
	s_waitcnt vmcnt(14)
	s_delay_alu instid0(VALU_DEP_2) | instskip(NEXT) | instid1(VALU_DEP_2)
	v_fma_f64 v[6:7], v[22:23], v[56:57], v[6:7]
	v_fma_f64 v[9:10], v[24:25], v[56:57], v[9:10]
	s_waitcnt vmcnt(12)
	s_delay_alu instid0(VALU_DEP_2) | instskip(NEXT) | instid1(VALU_DEP_2)
	;; [unrolled: 4-line block ×8, first 2 shown]
	v_fma_f64 v[6:7], v[50:51], v[70:71], v[6:7]
	v_fma_f64 v[10:11], v[52:53], v[70:71], v[9:10]
	s_and_not1_b32 exec_lo, exec_lo, s4
	s_cbranch_execnz .LBB113_9
; %bb.10:
	s_or_b32 exec_lo, exec_lo, s4
.LBB113_11:
	s_delay_alu instid0(SALU_CYCLE_1)
	s_or_b32 exec_lo, exec_lo, s3
	s_cbranch_execz .LBB113_13
	s_branch .LBB113_18
.LBB113_12:
                                        ; implicit-def: $vgpr6_vgpr7
                                        ; implicit-def: $vgpr10_vgpr11
.LBB113_13:
	v_mov_b32_e32 v6, 0
	v_mov_b32_e32 v7, 0
	s_delay_alu instid0(VALU_DEP_1)
	v_dual_mov_b32 v11, v7 :: v_dual_mov_b32 v10, v6
	s_and_saveexec_b32 s3, s2
	s_cbranch_execz .LBB113_17
; %bb.14:
	v_mov_b32_e32 v6, 0
	v_dual_mov_b32 v7, 0 :: v_dual_mov_b32 v14, 0
	v_mad_u64_u32 v[12:13], null, v8, 18, 17
	s_mov_b32 s2, 0
	s_delay_alu instid0(VALU_DEP_2)
	v_dual_mov_b32 v11, v7 :: v_dual_mov_b32 v10, v6
.LBB113_15:                             ; =>This Inner Loop Header: Depth=1
	v_ashrrev_i32_e32 v9, 31, v8
	s_delay_alu instid0(VALU_DEP_3) | instskip(SKIP_1) | instid1(VALU_DEP_3)
	v_subrev_nc_u32_e32 v13, 17, v12
	v_mov_b32_e32 v23, v14
	v_lshlrev_b64 v[15:16], 2, v[8:9]
	v_add_nc_u32_e32 v8, 16, v8
	s_delay_alu instid0(VALU_DEP_4) | instskip(NEXT) | instid1(VALU_DEP_3)
	v_lshlrev_b64 v[18:19], 3, v[13:14]
	v_add_co_u32 v15, vcc_lo, s6, v15
	s_delay_alu instid0(VALU_DEP_4) | instskip(NEXT) | instid1(VALU_DEP_3)
	v_add_co_ci_u32_e32 v16, vcc_lo, s7, v16, vcc_lo
	v_add_co_u32 v18, vcc_lo, s8, v18
	s_delay_alu instid0(VALU_DEP_4) | instskip(SKIP_2) | instid1(VALU_DEP_1)
	v_add_co_ci_u32_e32 v19, vcc_lo, s9, v19, vcc_lo
	global_load_b32 v9, v[15:16], off
	v_dual_mov_b32 v16, v14 :: v_dual_add_nc_u32 v15, -8, v12
	v_lshlrev_b64 v[15:16], 3, v[15:16]
	s_delay_alu instid0(VALU_DEP_1) | instskip(NEXT) | instid1(VALU_DEP_2)
	v_add_co_u32 v15, vcc_lo, s8, v15
	v_add_co_ci_u32_e32 v16, vcc_lo, s9, v16, vcc_lo
	s_waitcnt vmcnt(0)
	v_subrev_nc_u32_e32 v9, s12, v9
	s_delay_alu instid0(VALU_DEP_1) | instskip(NEXT) | instid1(VALU_DEP_1)
	v_lshl_add_u32 v22, v9, 3, v9
	v_lshlrev_b64 v[20:21], 3, v[22:23]
	v_add_nc_u32_e32 v13, 1, v22
	s_delay_alu instid0(VALU_DEP_1) | instskip(NEXT) | instid1(VALU_DEP_3)
	v_lshlrev_b64 v[25:26], 3, v[13:14]
	v_add_co_u32 v23, vcc_lo, s10, v20
	s_delay_alu instid0(VALU_DEP_4)
	v_add_co_ci_u32_e32 v24, vcc_lo, s11, v21, vcc_lo
	s_clause 0x1
	global_load_b128 v[18:21], v[18:19], off
	global_load_b64 v[15:16], v[15:16], off
	global_load_b64 v[23:24], v[23:24], off
	v_add_nc_u32_e32 v13, -7, v12
	v_add_co_u32 v25, vcc_lo, s10, v25
	v_add_co_ci_u32_e32 v26, vcc_lo, s11, v26, vcc_lo
	s_delay_alu instid0(VALU_DEP_3) | instskip(SKIP_1) | instid1(VALU_DEP_2)
	v_lshlrev_b64 v[27:28], 3, v[13:14]
	v_add_nc_u32_e32 v13, -15, v12
	v_add_co_u32 v27, vcc_lo, s8, v27
	s_delay_alu instid0(VALU_DEP_3) | instskip(SKIP_4) | instid1(VALU_DEP_1)
	v_add_co_ci_u32_e32 v28, vcc_lo, s9, v28, vcc_lo
	global_load_b64 v[25:26], v[25:26], off
	global_load_b64 v[27:28], v[27:28], off
	v_lshlrev_b64 v[29:30], 3, v[13:14]
	v_add_nc_u32_e32 v13, 2, v22
	v_lshlrev_b64 v[31:32], 3, v[13:14]
	v_add_nc_u32_e32 v13, -6, v12
	s_delay_alu instid0(VALU_DEP_4) | instskip(SKIP_1) | instid1(VALU_DEP_3)
	v_add_co_u32 v29, vcc_lo, s8, v29
	v_add_co_ci_u32_e32 v30, vcc_lo, s9, v30, vcc_lo
	v_lshlrev_b64 v[33:34], 3, v[13:14]
	v_add_co_u32 v31, vcc_lo, s10, v31
	v_add_co_ci_u32_e32 v32, vcc_lo, s11, v32, vcc_lo
	v_add_nc_u32_e32 v13, -14, v12
	s_delay_alu instid0(VALU_DEP_4)
	v_add_co_u32 v33, vcc_lo, s8, v33
	v_add_co_ci_u32_e32 v34, vcc_lo, s9, v34, vcc_lo
	global_load_b64 v[29:30], v[29:30], off
	global_load_b64 v[31:32], v[31:32], off
	global_load_b64 v[33:34], v[33:34], off
	v_lshlrev_b64 v[35:36], 3, v[13:14]
	v_add_nc_u32_e32 v13, 3, v22
	s_delay_alu instid0(VALU_DEP_1) | instskip(SKIP_1) | instid1(VALU_DEP_4)
	v_lshlrev_b64 v[37:38], 3, v[13:14]
	v_add_nc_u32_e32 v13, -5, v12
	v_add_co_u32 v35, vcc_lo, s8, v35
	v_add_co_ci_u32_e32 v36, vcc_lo, s9, v36, vcc_lo
	s_delay_alu instid0(VALU_DEP_3) | instskip(SKIP_3) | instid1(VALU_DEP_4)
	v_lshlrev_b64 v[39:40], 3, v[13:14]
	v_add_co_u32 v37, vcc_lo, s10, v37
	v_add_co_ci_u32_e32 v38, vcc_lo, s11, v38, vcc_lo
	v_add_nc_u32_e32 v13, -13, v12
	v_add_co_u32 v39, vcc_lo, s8, v39
	v_add_co_ci_u32_e32 v40, vcc_lo, s9, v40, vcc_lo
	global_load_b64 v[35:36], v[35:36], off
	global_load_b64 v[37:38], v[37:38], off
	global_load_b64 v[39:40], v[39:40], off
	v_lshlrev_b64 v[41:42], 3, v[13:14]
	v_add_nc_u32_e32 v13, 4, v22
	s_delay_alu instid0(VALU_DEP_1) | instskip(SKIP_1) | instid1(VALU_DEP_4)
	v_lshlrev_b64 v[43:44], 3, v[13:14]
	v_add_nc_u32_e32 v13, -4, v12
	v_add_co_u32 v41, vcc_lo, s8, v41
	v_add_co_ci_u32_e32 v42, vcc_lo, s9, v42, vcc_lo
	s_delay_alu instid0(VALU_DEP_3) | instskip(SKIP_3) | instid1(VALU_DEP_4)
	v_lshlrev_b64 v[45:46], 3, v[13:14]
	v_add_co_u32 v43, vcc_lo, s10, v43
	v_add_co_ci_u32_e32 v44, vcc_lo, s11, v44, vcc_lo
	v_add_nc_u32_e32 v13, -12, v12
	v_add_co_u32 v45, vcc_lo, s8, v45
	v_add_co_ci_u32_e32 v46, vcc_lo, s9, v46, vcc_lo
	global_load_b64 v[41:42], v[41:42], off
	global_load_b64 v[43:44], v[43:44], off
	global_load_b64 v[45:46], v[45:46], off
	v_lshlrev_b64 v[47:48], 3, v[13:14]
	v_add_nc_u32_e32 v13, 5, v22
	s_delay_alu instid0(VALU_DEP_1) | instskip(SKIP_1) | instid1(VALU_DEP_4)
	v_lshlrev_b64 v[49:50], 3, v[13:14]
	v_add_nc_u32_e32 v13, -3, v12
	v_add_co_u32 v47, vcc_lo, s8, v47
	v_add_co_ci_u32_e32 v48, vcc_lo, s9, v48, vcc_lo
	s_delay_alu instid0(VALU_DEP_3) | instskip(SKIP_3) | instid1(VALU_DEP_4)
	v_lshlrev_b64 v[51:52], 3, v[13:14]
	v_add_co_u32 v49, vcc_lo, s10, v49
	v_add_co_ci_u32_e32 v50, vcc_lo, s11, v50, vcc_lo
	v_add_nc_u32_e32 v13, -11, v12
	v_add_co_u32 v51, vcc_lo, s8, v51
	v_add_co_ci_u32_e32 v52, vcc_lo, s9, v52, vcc_lo
	global_load_b64 v[47:48], v[47:48], off
	global_load_b64 v[49:50], v[49:50], off
	global_load_b64 v[51:52], v[51:52], off
	v_lshlrev_b64 v[53:54], 3, v[13:14]
	v_add_nc_u32_e32 v13, 6, v22
	s_delay_alu instid0(VALU_DEP_1) | instskip(SKIP_1) | instid1(VALU_DEP_4)
	v_lshlrev_b64 v[55:56], 3, v[13:14]
	v_add_nc_u32_e32 v13, -2, v12
	v_add_co_u32 v53, vcc_lo, s8, v53
	v_add_co_ci_u32_e32 v54, vcc_lo, s9, v54, vcc_lo
	s_delay_alu instid0(VALU_DEP_3) | instskip(SKIP_3) | instid1(VALU_DEP_4)
	v_lshlrev_b64 v[57:58], 3, v[13:14]
	v_add_co_u32 v55, vcc_lo, s10, v55
	v_add_co_ci_u32_e32 v56, vcc_lo, s11, v56, vcc_lo
	v_add_nc_u32_e32 v13, -10, v12
	v_add_co_u32 v57, vcc_lo, s8, v57
	v_add_co_ci_u32_e32 v58, vcc_lo, s9, v58, vcc_lo
	global_load_b64 v[53:54], v[53:54], off
	global_load_b64 v[55:56], v[55:56], off
	;; [unrolled: 1-line block ×3, first 2 shown]
	v_lshlrev_b64 v[59:60], 3, v[13:14]
	v_add_nc_u32_e32 v13, 7, v22
	s_delay_alu instid0(VALU_DEP_1) | instskip(SKIP_1) | instid1(VALU_DEP_4)
	v_lshlrev_b64 v[61:62], 3, v[13:14]
	v_add_nc_u32_e32 v13, -1, v12
	v_add_co_u32 v59, vcc_lo, s8, v59
	v_add_co_ci_u32_e32 v60, vcc_lo, s9, v60, vcc_lo
	s_delay_alu instid0(VALU_DEP_3) | instskip(SKIP_3) | instid1(VALU_DEP_4)
	v_lshlrev_b64 v[63:64], 3, v[13:14]
	v_add_co_u32 v61, vcc_lo, s10, v61
	v_add_co_ci_u32_e32 v62, vcc_lo, s11, v62, vcc_lo
	v_mov_b32_e32 v13, v14
	v_add_co_u32 v63, vcc_lo, s8, v63
	v_add_co_ci_u32_e32 v64, vcc_lo, s9, v64, vcc_lo
	global_load_b64 v[59:60], v[59:60], off
	global_load_b64 v[61:62], v[61:62], off
	;; [unrolled: 1-line block ×3, first 2 shown]
	v_lshlrev_b64 v[65:66], 3, v[12:13]
	v_add_nc_u32_e32 v13, -9, v12
	v_add_nc_u32_e32 v12, 0x120, v12
	s_delay_alu instid0(VALU_DEP_2) | instskip(SKIP_3) | instid1(VALU_DEP_3)
	v_lshlrev_b64 v[67:68], 3, v[13:14]
	v_add_nc_u32_e32 v13, 8, v22
	v_add_co_u32 v65, vcc_lo, s8, v65
	v_add_co_ci_u32_e32 v66, vcc_lo, s9, v66, vcc_lo
	v_lshlrev_b64 v[69:70], 3, v[13:14]
	v_add_co_u32 v67, vcc_lo, s8, v67
	v_add_co_ci_u32_e32 v68, vcc_lo, s9, v68, vcc_lo
	s_delay_alu instid0(VALU_DEP_3) | instskip(NEXT) | instid1(VALU_DEP_4)
	v_add_co_u32 v69, vcc_lo, s10, v69
	v_add_co_ci_u32_e32 v70, vcc_lo, s11, v70, vcc_lo
	s_clause 0x1
	global_load_b64 v[65:66], v[65:66], off
	global_load_b64 v[67:68], v[67:68], off
	;; [unrolled: 1-line block ×3, first 2 shown]
	v_cmp_ge_i32_e32 vcc_lo, v8, v17
	s_or_b32 s2, vcc_lo, s2
	s_waitcnt vmcnt(23)
	v_fma_f64 v[6:7], v[18:19], v[23:24], v[6:7]
	v_fma_f64 v[9:10], v[15:16], v[23:24], v[10:11]
	s_waitcnt vmcnt(22)
	s_delay_alu instid0(VALU_DEP_2) | instskip(SKIP_1) | instid1(VALU_DEP_2)
	v_fma_f64 v[6:7], v[20:21], v[25:26], v[6:7]
	s_waitcnt vmcnt(21)
	v_fma_f64 v[9:10], v[27:28], v[25:26], v[9:10]
	s_waitcnt vmcnt(19)
	s_delay_alu instid0(VALU_DEP_2) | instskip(SKIP_1) | instid1(VALU_DEP_2)
	v_fma_f64 v[6:7], v[29:30], v[31:32], v[6:7]
	s_waitcnt vmcnt(18)
	;; [unrolled: 5-line block ×7, first 2 shown]
	v_fma_f64 v[9:10], v[63:64], v[61:62], v[9:10]
	s_waitcnt vmcnt(0)
	s_delay_alu instid0(VALU_DEP_2) | instskip(NEXT) | instid1(VALU_DEP_2)
	v_fma_f64 v[6:7], v[67:68], v[69:70], v[6:7]
	v_fma_f64 v[10:11], v[65:66], v[69:70], v[9:10]
	s_and_not1_b32 exec_lo, exec_lo, s2
	s_cbranch_execnz .LBB113_15
; %bb.16:
	s_or_b32 exec_lo, exec_lo, s2
.LBB113_17:
	s_delay_alu instid0(SALU_CYCLE_1)
	s_or_b32 exec_lo, exec_lo, s3
.LBB113_18:
	v_mbcnt_lo_u32_b32 v14, -1, 0
	s_delay_alu instid0(VALU_DEP_1) | instskip(NEXT) | instid1(VALU_DEP_1)
	v_xor_b32_e32 v8, 8, v14
	v_cmp_gt_i32_e32 vcc_lo, 32, v8
	v_cndmask_b32_e32 v8, v14, v8, vcc_lo
	s_delay_alu instid0(VALU_DEP_1)
	v_lshlrev_b32_e32 v13, 2, v8
	ds_bpermute_b32 v8, v13, v6
	ds_bpermute_b32 v9, v13, v7
	;; [unrolled: 1-line block ×4, first 2 shown]
	s_waitcnt lgkmcnt(2)
	v_add_f64 v[6:7], v[6:7], v[8:9]
	s_waitcnt lgkmcnt(0)
	v_add_f64 v[8:9], v[10:11], v[12:13]
	v_xor_b32_e32 v10, 4, v14
	s_delay_alu instid0(VALU_DEP_1) | instskip(SKIP_1) | instid1(VALU_DEP_1)
	v_cmp_gt_i32_e32 vcc_lo, 32, v10
	v_cndmask_b32_e32 v10, v14, v10, vcc_lo
	v_lshlrev_b32_e32 v13, 2, v10
	ds_bpermute_b32 v10, v13, v6
	ds_bpermute_b32 v11, v13, v7
	;; [unrolled: 1-line block ×4, first 2 shown]
	s_waitcnt lgkmcnt(2)
	v_add_f64 v[6:7], v[6:7], v[10:11]
	v_xor_b32_e32 v10, 2, v14
	s_waitcnt lgkmcnt(0)
	v_add_f64 v[8:9], v[8:9], v[12:13]
	s_delay_alu instid0(VALU_DEP_2) | instskip(SKIP_1) | instid1(VALU_DEP_1)
	v_cmp_gt_i32_e32 vcc_lo, 32, v10
	v_cndmask_b32_e32 v10, v14, v10, vcc_lo
	v_lshlrev_b32_e32 v13, 2, v10
	ds_bpermute_b32 v10, v13, v6
	ds_bpermute_b32 v11, v13, v7
	;; [unrolled: 1-line block ×4, first 2 shown]
	s_waitcnt lgkmcnt(2)
	v_add_f64 v[6:7], v[6:7], v[10:11]
	s_waitcnt lgkmcnt(0)
	v_add_f64 v[10:11], v[8:9], v[12:13]
	v_xor_b32_e32 v8, 1, v14
	s_delay_alu instid0(VALU_DEP_1) | instskip(SKIP_2) | instid1(VALU_DEP_2)
	v_cmp_gt_i32_e32 vcc_lo, 32, v8
	v_cndmask_b32_e32 v8, v14, v8, vcc_lo
	v_cmp_eq_u32_e32 vcc_lo, 15, v0
	v_lshlrev_b32_e32 v13, 2, v8
	ds_bpermute_b32 v8, v13, v6
	ds_bpermute_b32 v9, v13, v7
	;; [unrolled: 1-line block ×4, first 2 shown]
	s_and_b32 exec_lo, exec_lo, vcc_lo
	s_cbranch_execz .LBB113_23
; %bb.19:
	s_waitcnt lgkmcnt(2)
	v_add_f64 v[8:9], v[6:7], v[8:9]
	s_waitcnt lgkmcnt(0)
	v_add_f64 v[6:7], v[10:11], v[12:13]
	s_load_b64 s[0:1], s[0:1], 0x38
	s_mov_b32 s2, exec_lo
	v_cmpx_eq_f64_e32 0, v[3:4]
	s_xor_b32 s2, exec_lo, s2
	s_cbranch_execz .LBB113_21
; %bb.20:
	s_delay_alu instid0(VALU_DEP_3) | instskip(NEXT) | instid1(VALU_DEP_3)
	v_mul_f64 v[8:9], v[1:2], v[8:9]
	v_mul_f64 v[10:11], v[1:2], v[6:7]
	v_lshlrev_b32_e32 v0, 1, v5
                                        ; implicit-def: $vgpr5
                                        ; implicit-def: $vgpr3_vgpr4
                                        ; implicit-def: $vgpr6_vgpr7
	s_delay_alu instid0(VALU_DEP_1) | instskip(NEXT) | instid1(VALU_DEP_1)
	v_ashrrev_i32_e32 v1, 31, v0
	v_lshlrev_b64 v[0:1], 3, v[0:1]
	s_waitcnt lgkmcnt(0)
	s_delay_alu instid0(VALU_DEP_1) | instskip(NEXT) | instid1(VALU_DEP_2)
	v_add_co_u32 v0, vcc_lo, s0, v0
	v_add_co_ci_u32_e32 v1, vcc_lo, s1, v1, vcc_lo
	global_store_b128 v[0:1], v[8:11], off
                                        ; implicit-def: $vgpr1_vgpr2
                                        ; implicit-def: $vgpr8_vgpr9
.LBB113_21:
	s_and_not1_saveexec_b32 s2, s2
	s_cbranch_execz .LBB113_23
; %bb.22:
	v_lshlrev_b32_e32 v10, 1, v5
	s_delay_alu instid0(VALU_DEP_4) | instskip(NEXT) | instid1(VALU_DEP_4)
	v_mul_f64 v[8:9], v[1:2], v[8:9]
	v_mul_f64 v[5:6], v[1:2], v[6:7]
	s_delay_alu instid0(VALU_DEP_3) | instskip(NEXT) | instid1(VALU_DEP_1)
	v_ashrrev_i32_e32 v11, 31, v10
	v_lshlrev_b64 v[10:11], 3, v[10:11]
	s_waitcnt lgkmcnt(0)
	s_delay_alu instid0(VALU_DEP_1) | instskip(NEXT) | instid1(VALU_DEP_2)
	v_add_co_u32 v14, vcc_lo, s0, v10
	v_add_co_ci_u32_e32 v15, vcc_lo, s1, v11, vcc_lo
	global_load_b128 v[10:13], v[14:15], off
	s_waitcnt vmcnt(0)
	v_fma_f64 v[0:1], v[3:4], v[10:11], v[8:9]
	v_fma_f64 v[2:3], v[3:4], v[12:13], v[5:6]
	global_store_b128 v[14:15], v[0:3], off
.LBB113_23:
	s_nop 0
	s_sendmsg sendmsg(MSG_DEALLOC_VGPRS)
	s_endpgm
	.section	.rodata,"a",@progbits
	.p2align	6, 0x0
	.amdhsa_kernel _ZN9rocsparseL19gebsrmvn_2xn_kernelILj128ELj9ELj16EdEEvi20rocsparse_direction_NS_24const_host_device_scalarIT2_EEPKiS6_PKS3_S8_S4_PS3_21rocsparse_index_base_b
		.amdhsa_group_segment_fixed_size 0
		.amdhsa_private_segment_fixed_size 0
		.amdhsa_kernarg_size 72
		.amdhsa_user_sgpr_count 15
		.amdhsa_user_sgpr_dispatch_ptr 0
		.amdhsa_user_sgpr_queue_ptr 0
		.amdhsa_user_sgpr_kernarg_segment_ptr 1
		.amdhsa_user_sgpr_dispatch_id 0
		.amdhsa_user_sgpr_private_segment_size 0
		.amdhsa_wavefront_size32 1
		.amdhsa_uses_dynamic_stack 0
		.amdhsa_enable_private_segment 0
		.amdhsa_system_sgpr_workgroup_id_x 1
		.amdhsa_system_sgpr_workgroup_id_y 0
		.amdhsa_system_sgpr_workgroup_id_z 0
		.amdhsa_system_sgpr_workgroup_info 0
		.amdhsa_system_vgpr_workitem_id 0
		.amdhsa_next_free_vgpr 72
		.amdhsa_next_free_sgpr 16
		.amdhsa_reserve_vcc 1
		.amdhsa_float_round_mode_32 0
		.amdhsa_float_round_mode_16_64 0
		.amdhsa_float_denorm_mode_32 3
		.amdhsa_float_denorm_mode_16_64 3
		.amdhsa_dx10_clamp 1
		.amdhsa_ieee_mode 1
		.amdhsa_fp16_overflow 0
		.amdhsa_workgroup_processor_mode 1
		.amdhsa_memory_ordered 1
		.amdhsa_forward_progress 0
		.amdhsa_shared_vgpr_count 0
		.amdhsa_exception_fp_ieee_invalid_op 0
		.amdhsa_exception_fp_denorm_src 0
		.amdhsa_exception_fp_ieee_div_zero 0
		.amdhsa_exception_fp_ieee_overflow 0
		.amdhsa_exception_fp_ieee_underflow 0
		.amdhsa_exception_fp_ieee_inexact 0
		.amdhsa_exception_int_div_zero 0
	.end_amdhsa_kernel
	.section	.text._ZN9rocsparseL19gebsrmvn_2xn_kernelILj128ELj9ELj16EdEEvi20rocsparse_direction_NS_24const_host_device_scalarIT2_EEPKiS6_PKS3_S8_S4_PS3_21rocsparse_index_base_b,"axG",@progbits,_ZN9rocsparseL19gebsrmvn_2xn_kernelILj128ELj9ELj16EdEEvi20rocsparse_direction_NS_24const_host_device_scalarIT2_EEPKiS6_PKS3_S8_S4_PS3_21rocsparse_index_base_b,comdat
.Lfunc_end113:
	.size	_ZN9rocsparseL19gebsrmvn_2xn_kernelILj128ELj9ELj16EdEEvi20rocsparse_direction_NS_24const_host_device_scalarIT2_EEPKiS6_PKS3_S8_S4_PS3_21rocsparse_index_base_b, .Lfunc_end113-_ZN9rocsparseL19gebsrmvn_2xn_kernelILj128ELj9ELj16EdEEvi20rocsparse_direction_NS_24const_host_device_scalarIT2_EEPKiS6_PKS3_S8_S4_PS3_21rocsparse_index_base_b
                                        ; -- End function
	.section	.AMDGPU.csdata,"",@progbits
; Kernel info:
; codeLenInByte = 3180
; NumSgprs: 18
; NumVgprs: 72
; ScratchSize: 0
; MemoryBound: 0
; FloatMode: 240
; IeeeMode: 1
; LDSByteSize: 0 bytes/workgroup (compile time only)
; SGPRBlocks: 2
; VGPRBlocks: 8
; NumSGPRsForWavesPerEU: 18
; NumVGPRsForWavesPerEU: 72
; Occupancy: 16
; WaveLimiterHint : 1
; COMPUTE_PGM_RSRC2:SCRATCH_EN: 0
; COMPUTE_PGM_RSRC2:USER_SGPR: 15
; COMPUTE_PGM_RSRC2:TRAP_HANDLER: 0
; COMPUTE_PGM_RSRC2:TGID_X_EN: 1
; COMPUTE_PGM_RSRC2:TGID_Y_EN: 0
; COMPUTE_PGM_RSRC2:TGID_Z_EN: 0
; COMPUTE_PGM_RSRC2:TIDIG_COMP_CNT: 0
	.section	.text._ZN9rocsparseL19gebsrmvn_2xn_kernelILj128ELj9ELj32EdEEvi20rocsparse_direction_NS_24const_host_device_scalarIT2_EEPKiS6_PKS3_S8_S4_PS3_21rocsparse_index_base_b,"axG",@progbits,_ZN9rocsparseL19gebsrmvn_2xn_kernelILj128ELj9ELj32EdEEvi20rocsparse_direction_NS_24const_host_device_scalarIT2_EEPKiS6_PKS3_S8_S4_PS3_21rocsparse_index_base_b,comdat
	.globl	_ZN9rocsparseL19gebsrmvn_2xn_kernelILj128ELj9ELj32EdEEvi20rocsparse_direction_NS_24const_host_device_scalarIT2_EEPKiS6_PKS3_S8_S4_PS3_21rocsparse_index_base_b ; -- Begin function _ZN9rocsparseL19gebsrmvn_2xn_kernelILj128ELj9ELj32EdEEvi20rocsparse_direction_NS_24const_host_device_scalarIT2_EEPKiS6_PKS3_S8_S4_PS3_21rocsparse_index_base_b
	.p2align	8
	.type	_ZN9rocsparseL19gebsrmvn_2xn_kernelILj128ELj9ELj32EdEEvi20rocsparse_direction_NS_24const_host_device_scalarIT2_EEPKiS6_PKS3_S8_S4_PS3_21rocsparse_index_base_b,@function
_ZN9rocsparseL19gebsrmvn_2xn_kernelILj128ELj9ELj32EdEEvi20rocsparse_direction_NS_24const_host_device_scalarIT2_EEPKiS6_PKS3_S8_S4_PS3_21rocsparse_index_base_b: ; @_ZN9rocsparseL19gebsrmvn_2xn_kernelILj128ELj9ELj32EdEEvi20rocsparse_direction_NS_24const_host_device_scalarIT2_EEPKiS6_PKS3_S8_S4_PS3_21rocsparse_index_base_b
; %bb.0:
	s_clause 0x2
	s_load_b64 s[12:13], s[0:1], 0x40
	s_load_b64 s[4:5], s[0:1], 0x8
	s_load_b64 s[2:3], s[0:1], 0x30
	s_waitcnt lgkmcnt(0)
	s_bitcmp1_b32 s13, 0
	v_dual_mov_b32 v1, s4 :: v_dual_mov_b32 v2, s5
	s_cselect_b32 s6, -1, 0
	s_delay_alu instid0(SALU_CYCLE_1)
	s_and_b32 vcc_lo, exec_lo, s6
	s_xor_b32 s6, s6, -1
	s_cbranch_vccnz .LBB114_2
; %bb.1:
	v_dual_mov_b32 v1, s4 :: v_dual_mov_b32 v2, s5
	flat_load_b64 v[1:2], v[1:2]
.LBB114_2:
	v_dual_mov_b32 v4, s3 :: v_dual_mov_b32 v3, s2
	s_and_not1_b32 vcc_lo, exec_lo, s6
	s_cbranch_vccnz .LBB114_4
; %bb.3:
	v_dual_mov_b32 v4, s3 :: v_dual_mov_b32 v3, s2
	flat_load_b64 v[3:4], v[3:4]
.LBB114_4:
	s_waitcnt vmcnt(0) lgkmcnt(0)
	v_cmp_neq_f64_e32 vcc_lo, 0, v[1:2]
	v_cmp_neq_f64_e64 s2, 1.0, v[3:4]
	s_delay_alu instid0(VALU_DEP_1) | instskip(NEXT) | instid1(SALU_CYCLE_1)
	s_or_b32 s2, vcc_lo, s2
	s_and_saveexec_b32 s3, s2
	s_cbranch_execz .LBB114_23
; %bb.5:
	s_load_b64 s[2:3], s[0:1], 0x0
	v_lshrrev_b32_e32 v5, 5, v0
	s_delay_alu instid0(VALU_DEP_1) | instskip(SKIP_1) | instid1(VALU_DEP_1)
	v_lshl_or_b32 v5, s15, 2, v5
	s_waitcnt lgkmcnt(0)
	v_cmp_gt_i32_e32 vcc_lo, s2, v5
	s_and_b32 exec_lo, exec_lo, vcc_lo
	s_cbranch_execz .LBB114_23
; %bb.6:
	s_load_b256 s[4:11], s[0:1], 0x10
	v_ashrrev_i32_e32 v6, 31, v5
	v_and_b32_e32 v0, 31, v0
	s_cmp_lg_u32 s3, 0
	s_delay_alu instid0(VALU_DEP_2) | instskip(SKIP_1) | instid1(VALU_DEP_1)
	v_lshlrev_b64 v[6:7], 2, v[5:6]
	s_waitcnt lgkmcnt(0)
	v_add_co_u32 v6, vcc_lo, s4, v6
	s_delay_alu instid0(VALU_DEP_2) | instskip(SKIP_4) | instid1(VALU_DEP_2)
	v_add_co_ci_u32_e32 v7, vcc_lo, s5, v7, vcc_lo
	global_load_b64 v[6:7], v[6:7], off
	s_waitcnt vmcnt(0)
	v_subrev_nc_u32_e32 v6, s12, v6
	v_subrev_nc_u32_e32 v17, s12, v7
	v_add_nc_u32_e32 v8, v6, v0
	s_delay_alu instid0(VALU_DEP_1)
	v_cmp_lt_i32_e64 s2, v8, v17
	s_cbranch_scc0 .LBB114_12
; %bb.7:
	v_mov_b32_e32 v6, 0
	v_mov_b32_e32 v7, 0
	s_delay_alu instid0(VALU_DEP_1)
	v_dual_mov_b32 v11, v7 :: v_dual_mov_b32 v10, v6
	s_and_saveexec_b32 s3, s2
	s_cbranch_execz .LBB114_11
; %bb.8:
	v_dual_mov_b32 v6, 0 :: v_dual_mov_b32 v15, v8
	v_dual_mov_b32 v7, 0 :: v_dual_mov_b32 v14, 0
	v_mad_u64_u32 v[12:13], null, v8, 18, 16
	s_mov_b32 s4, 0
	s_delay_alu instid0(VALU_DEP_2)
	v_dual_mov_b32 v11, v7 :: v_dual_mov_b32 v10, v6
.LBB114_9:                              ; =>This Inner Loop Header: Depth=1
	v_ashrrev_i32_e32 v16, 31, v15
	s_delay_alu instid0(VALU_DEP_3) | instskip(SKIP_1) | instid1(VALU_DEP_3)
	v_add_nc_u32_e32 v13, -16, v12
	v_mov_b32_e32 v51, v14
	v_lshlrev_b64 v[18:19], 2, v[15:16]
	v_add_nc_u32_e32 v15, 32, v15
	s_delay_alu instid0(VALU_DEP_2) | instskip(NEXT) | instid1(VALU_DEP_3)
	v_add_co_u32 v18, vcc_lo, s6, v18
	v_add_co_ci_u32_e32 v19, vcc_lo, s7, v19, vcc_lo
	global_load_b32 v9, v[18:19], off
	v_lshlrev_b64 v[18:19], 3, v[13:14]
	v_add_nc_u32_e32 v13, -14, v12
	s_delay_alu instid0(VALU_DEP_2) | instskip(NEXT) | instid1(VALU_DEP_3)
	v_add_co_u32 v18, vcc_lo, s8, v18
	v_add_co_ci_u32_e32 v19, vcc_lo, s9, v19, vcc_lo
	s_waitcnt vmcnt(0)
	v_subrev_nc_u32_e32 v9, s12, v9
	s_delay_alu instid0(VALU_DEP_1) | instskip(NEXT) | instid1(VALU_DEP_1)
	v_lshl_add_u32 v50, v9, 3, v9
	v_lshlrev_b64 v[20:21], 3, v[50:51]
	s_delay_alu instid0(VALU_DEP_1) | instskip(NEXT) | instid1(VALU_DEP_2)
	v_add_co_u32 v22, vcc_lo, s10, v20
	v_add_co_ci_u32_e32 v23, vcc_lo, s11, v21, vcc_lo
	global_load_b128 v[18:21], v[18:19], off
	global_load_b64 v[54:55], v[22:23], off
	v_lshlrev_b64 v[22:23], 3, v[13:14]
	v_add_nc_u32_e32 v13, 1, v50
	s_delay_alu instid0(VALU_DEP_1) | instskip(NEXT) | instid1(VALU_DEP_3)
	v_lshlrev_b64 v[24:25], 3, v[13:14]
	v_add_co_u32 v22, vcc_lo, s8, v22
	s_delay_alu instid0(VALU_DEP_4) | instskip(SKIP_1) | instid1(VALU_DEP_4)
	v_add_co_ci_u32_e32 v23, vcc_lo, s9, v23, vcc_lo
	v_add_nc_u32_e32 v13, -12, v12
	v_add_co_u32 v26, vcc_lo, s10, v24
	v_add_co_ci_u32_e32 v27, vcc_lo, s11, v25, vcc_lo
	global_load_b128 v[22:25], v[22:23], off
	global_load_b64 v[56:57], v[26:27], off
	v_lshlrev_b64 v[26:27], 3, v[13:14]
	v_add_nc_u32_e32 v13, 2, v50
	s_delay_alu instid0(VALU_DEP_1) | instskip(NEXT) | instid1(VALU_DEP_3)
	v_lshlrev_b64 v[28:29], 3, v[13:14]
	v_add_co_u32 v26, vcc_lo, s8, v26
	s_delay_alu instid0(VALU_DEP_4) | instskip(SKIP_1) | instid1(VALU_DEP_4)
	v_add_co_ci_u32_e32 v27, vcc_lo, s9, v27, vcc_lo
	v_add_nc_u32_e32 v13, -10, v12
	v_add_co_u32 v30, vcc_lo, s10, v28
	v_add_co_ci_u32_e32 v31, vcc_lo, s11, v29, vcc_lo
	global_load_b128 v[26:29], v[26:27], off
	global_load_b64 v[58:59], v[30:31], off
	v_lshlrev_b64 v[30:31], 3, v[13:14]
	v_add_nc_u32_e32 v13, 3, v50
	s_delay_alu instid0(VALU_DEP_1) | instskip(NEXT) | instid1(VALU_DEP_3)
	v_lshlrev_b64 v[32:33], 3, v[13:14]
	v_add_co_u32 v30, vcc_lo, s8, v30
	s_delay_alu instid0(VALU_DEP_4) | instskip(SKIP_1) | instid1(VALU_DEP_4)
	v_add_co_ci_u32_e32 v31, vcc_lo, s9, v31, vcc_lo
	v_add_nc_u32_e32 v13, -8, v12
	v_add_co_u32 v34, vcc_lo, s10, v32
	v_add_co_ci_u32_e32 v35, vcc_lo, s11, v33, vcc_lo
	global_load_b128 v[30:33], v[30:31], off
	global_load_b64 v[60:61], v[34:35], off
	v_lshlrev_b64 v[34:35], 3, v[13:14]
	v_add_nc_u32_e32 v13, 4, v50
	s_delay_alu instid0(VALU_DEP_1) | instskip(NEXT) | instid1(VALU_DEP_3)
	v_lshlrev_b64 v[36:37], 3, v[13:14]
	v_add_co_u32 v34, vcc_lo, s8, v34
	s_delay_alu instid0(VALU_DEP_4) | instskip(SKIP_1) | instid1(VALU_DEP_4)
	v_add_co_ci_u32_e32 v35, vcc_lo, s9, v35, vcc_lo
	v_add_nc_u32_e32 v13, -6, v12
	v_add_co_u32 v38, vcc_lo, s10, v36
	v_add_co_ci_u32_e32 v39, vcc_lo, s11, v37, vcc_lo
	global_load_b128 v[34:37], v[34:35], off
	global_load_b64 v[62:63], v[38:39], off
	v_lshlrev_b64 v[38:39], 3, v[13:14]
	v_add_nc_u32_e32 v13, 5, v50
	s_delay_alu instid0(VALU_DEP_1) | instskip(NEXT) | instid1(VALU_DEP_3)
	v_lshlrev_b64 v[40:41], 3, v[13:14]
	v_add_co_u32 v38, vcc_lo, s8, v38
	s_delay_alu instid0(VALU_DEP_4) | instskip(SKIP_1) | instid1(VALU_DEP_4)
	v_add_co_ci_u32_e32 v39, vcc_lo, s9, v39, vcc_lo
	v_add_nc_u32_e32 v13, -4, v12
	v_add_co_u32 v42, vcc_lo, s10, v40
	v_add_co_ci_u32_e32 v43, vcc_lo, s11, v41, vcc_lo
	global_load_b128 v[38:41], v[38:39], off
	global_load_b64 v[64:65], v[42:43], off
	v_lshlrev_b64 v[42:43], 3, v[13:14]
	v_add_nc_u32_e32 v13, 6, v50
	s_delay_alu instid0(VALU_DEP_1) | instskip(NEXT) | instid1(VALU_DEP_3)
	v_lshlrev_b64 v[44:45], 3, v[13:14]
	v_add_co_u32 v42, vcc_lo, s8, v42
	s_delay_alu instid0(VALU_DEP_4) | instskip(SKIP_1) | instid1(VALU_DEP_4)
	v_add_co_ci_u32_e32 v43, vcc_lo, s9, v43, vcc_lo
	v_add_nc_u32_e32 v13, -2, v12
	v_add_co_u32 v46, vcc_lo, s10, v44
	v_add_co_ci_u32_e32 v47, vcc_lo, s11, v45, vcc_lo
	global_load_b128 v[42:45], v[42:43], off
	global_load_b64 v[66:67], v[46:47], off
	v_lshlrev_b64 v[46:47], 3, v[13:14]
	v_add_nc_u32_e32 v13, 7, v50
	s_delay_alu instid0(VALU_DEP_1) | instskip(NEXT) | instid1(VALU_DEP_3)
	v_lshlrev_b64 v[48:49], 3, v[13:14]
	v_add_co_u32 v46, vcc_lo, s8, v46
	s_delay_alu instid0(VALU_DEP_4) | instskip(SKIP_1) | instid1(VALU_DEP_4)
	v_add_co_ci_u32_e32 v47, vcc_lo, s9, v47, vcc_lo
	v_mov_b32_e32 v13, v14
	v_add_co_u32 v51, vcc_lo, s10, v48
	v_add_co_ci_u32_e32 v52, vcc_lo, s11, v49, vcc_lo
	global_load_b128 v[46:49], v[46:47], off
	global_load_b64 v[68:69], v[51:52], off
	v_lshlrev_b64 v[51:52], 3, v[12:13]
	v_add_nc_u32_e32 v12, 0x240, v12
	v_add_nc_u32_e32 v13, 8, v50
	s_delay_alu instid0(VALU_DEP_3) | instskip(NEXT) | instid1(VALU_DEP_2)
	v_add_co_u32 v50, vcc_lo, s8, v51
	v_lshlrev_b64 v[70:71], 3, v[13:14]
	v_add_co_ci_u32_e32 v51, vcc_lo, s9, v52, vcc_lo
	s_delay_alu instid0(VALU_DEP_2) | instskip(NEXT) | instid1(VALU_DEP_3)
	v_add_co_u32 v70, vcc_lo, s10, v70
	v_add_co_ci_u32_e32 v71, vcc_lo, s11, v71, vcc_lo
	global_load_b128 v[50:53], v[50:51], off
	global_load_b64 v[70:71], v[70:71], off
	v_cmp_ge_i32_e32 vcc_lo, v15, v17
	s_or_b32 s4, vcc_lo, s4
	s_waitcnt vmcnt(16)
	v_fma_f64 v[6:7], v[18:19], v[54:55], v[6:7]
	v_fma_f64 v[9:10], v[20:21], v[54:55], v[10:11]
	s_waitcnt vmcnt(14)
	s_delay_alu instid0(VALU_DEP_2) | instskip(NEXT) | instid1(VALU_DEP_2)
	v_fma_f64 v[6:7], v[22:23], v[56:57], v[6:7]
	v_fma_f64 v[9:10], v[24:25], v[56:57], v[9:10]
	s_waitcnt vmcnt(12)
	s_delay_alu instid0(VALU_DEP_2) | instskip(NEXT) | instid1(VALU_DEP_2)
	;; [unrolled: 4-line block ×8, first 2 shown]
	v_fma_f64 v[6:7], v[50:51], v[70:71], v[6:7]
	v_fma_f64 v[10:11], v[52:53], v[70:71], v[9:10]
	s_and_not1_b32 exec_lo, exec_lo, s4
	s_cbranch_execnz .LBB114_9
; %bb.10:
	s_or_b32 exec_lo, exec_lo, s4
.LBB114_11:
	s_delay_alu instid0(SALU_CYCLE_1)
	s_or_b32 exec_lo, exec_lo, s3
	s_cbranch_execz .LBB114_13
	s_branch .LBB114_18
.LBB114_12:
                                        ; implicit-def: $vgpr6_vgpr7
                                        ; implicit-def: $vgpr10_vgpr11
.LBB114_13:
	v_mov_b32_e32 v6, 0
	v_mov_b32_e32 v7, 0
	s_delay_alu instid0(VALU_DEP_1)
	v_dual_mov_b32 v11, v7 :: v_dual_mov_b32 v10, v6
	s_and_saveexec_b32 s3, s2
	s_cbranch_execz .LBB114_17
; %bb.14:
	v_mov_b32_e32 v6, 0
	v_dual_mov_b32 v7, 0 :: v_dual_mov_b32 v14, 0
	v_mad_u64_u32 v[12:13], null, v8, 18, 17
	s_mov_b32 s2, 0
	s_delay_alu instid0(VALU_DEP_2)
	v_dual_mov_b32 v11, v7 :: v_dual_mov_b32 v10, v6
.LBB114_15:                             ; =>This Inner Loop Header: Depth=1
	v_ashrrev_i32_e32 v9, 31, v8
	s_delay_alu instid0(VALU_DEP_3) | instskip(SKIP_1) | instid1(VALU_DEP_3)
	v_subrev_nc_u32_e32 v13, 17, v12
	v_mov_b32_e32 v23, v14
	v_lshlrev_b64 v[15:16], 2, v[8:9]
	v_add_nc_u32_e32 v8, 32, v8
	s_delay_alu instid0(VALU_DEP_4) | instskip(NEXT) | instid1(VALU_DEP_3)
	v_lshlrev_b64 v[18:19], 3, v[13:14]
	v_add_co_u32 v15, vcc_lo, s6, v15
	s_delay_alu instid0(VALU_DEP_4) | instskip(NEXT) | instid1(VALU_DEP_3)
	v_add_co_ci_u32_e32 v16, vcc_lo, s7, v16, vcc_lo
	v_add_co_u32 v18, vcc_lo, s8, v18
	s_delay_alu instid0(VALU_DEP_4) | instskip(SKIP_2) | instid1(VALU_DEP_1)
	v_add_co_ci_u32_e32 v19, vcc_lo, s9, v19, vcc_lo
	global_load_b32 v9, v[15:16], off
	v_dual_mov_b32 v16, v14 :: v_dual_add_nc_u32 v15, -8, v12
	v_lshlrev_b64 v[15:16], 3, v[15:16]
	s_delay_alu instid0(VALU_DEP_1) | instskip(NEXT) | instid1(VALU_DEP_2)
	v_add_co_u32 v15, vcc_lo, s8, v15
	v_add_co_ci_u32_e32 v16, vcc_lo, s9, v16, vcc_lo
	s_waitcnt vmcnt(0)
	v_subrev_nc_u32_e32 v9, s12, v9
	s_delay_alu instid0(VALU_DEP_1) | instskip(NEXT) | instid1(VALU_DEP_1)
	v_lshl_add_u32 v22, v9, 3, v9
	v_lshlrev_b64 v[20:21], 3, v[22:23]
	v_add_nc_u32_e32 v13, 1, v22
	s_delay_alu instid0(VALU_DEP_1) | instskip(NEXT) | instid1(VALU_DEP_3)
	v_lshlrev_b64 v[25:26], 3, v[13:14]
	v_add_co_u32 v23, vcc_lo, s10, v20
	s_delay_alu instid0(VALU_DEP_4)
	v_add_co_ci_u32_e32 v24, vcc_lo, s11, v21, vcc_lo
	s_clause 0x1
	global_load_b128 v[18:21], v[18:19], off
	global_load_b64 v[15:16], v[15:16], off
	global_load_b64 v[23:24], v[23:24], off
	v_add_nc_u32_e32 v13, -7, v12
	v_add_co_u32 v25, vcc_lo, s10, v25
	v_add_co_ci_u32_e32 v26, vcc_lo, s11, v26, vcc_lo
	s_delay_alu instid0(VALU_DEP_3) | instskip(SKIP_1) | instid1(VALU_DEP_2)
	v_lshlrev_b64 v[27:28], 3, v[13:14]
	v_add_nc_u32_e32 v13, -15, v12
	v_add_co_u32 v27, vcc_lo, s8, v27
	s_delay_alu instid0(VALU_DEP_3) | instskip(SKIP_4) | instid1(VALU_DEP_1)
	v_add_co_ci_u32_e32 v28, vcc_lo, s9, v28, vcc_lo
	global_load_b64 v[25:26], v[25:26], off
	global_load_b64 v[27:28], v[27:28], off
	v_lshlrev_b64 v[29:30], 3, v[13:14]
	v_add_nc_u32_e32 v13, 2, v22
	v_lshlrev_b64 v[31:32], 3, v[13:14]
	v_add_nc_u32_e32 v13, -6, v12
	s_delay_alu instid0(VALU_DEP_4) | instskip(SKIP_1) | instid1(VALU_DEP_3)
	v_add_co_u32 v29, vcc_lo, s8, v29
	v_add_co_ci_u32_e32 v30, vcc_lo, s9, v30, vcc_lo
	v_lshlrev_b64 v[33:34], 3, v[13:14]
	v_add_co_u32 v31, vcc_lo, s10, v31
	v_add_co_ci_u32_e32 v32, vcc_lo, s11, v32, vcc_lo
	v_add_nc_u32_e32 v13, -14, v12
	s_delay_alu instid0(VALU_DEP_4)
	v_add_co_u32 v33, vcc_lo, s8, v33
	v_add_co_ci_u32_e32 v34, vcc_lo, s9, v34, vcc_lo
	global_load_b64 v[29:30], v[29:30], off
	global_load_b64 v[31:32], v[31:32], off
	global_load_b64 v[33:34], v[33:34], off
	v_lshlrev_b64 v[35:36], 3, v[13:14]
	v_add_nc_u32_e32 v13, 3, v22
	s_delay_alu instid0(VALU_DEP_1) | instskip(SKIP_1) | instid1(VALU_DEP_4)
	v_lshlrev_b64 v[37:38], 3, v[13:14]
	v_add_nc_u32_e32 v13, -5, v12
	v_add_co_u32 v35, vcc_lo, s8, v35
	v_add_co_ci_u32_e32 v36, vcc_lo, s9, v36, vcc_lo
	s_delay_alu instid0(VALU_DEP_3) | instskip(SKIP_3) | instid1(VALU_DEP_4)
	v_lshlrev_b64 v[39:40], 3, v[13:14]
	v_add_co_u32 v37, vcc_lo, s10, v37
	v_add_co_ci_u32_e32 v38, vcc_lo, s11, v38, vcc_lo
	v_add_nc_u32_e32 v13, -13, v12
	v_add_co_u32 v39, vcc_lo, s8, v39
	v_add_co_ci_u32_e32 v40, vcc_lo, s9, v40, vcc_lo
	global_load_b64 v[35:36], v[35:36], off
	global_load_b64 v[37:38], v[37:38], off
	global_load_b64 v[39:40], v[39:40], off
	v_lshlrev_b64 v[41:42], 3, v[13:14]
	v_add_nc_u32_e32 v13, 4, v22
	s_delay_alu instid0(VALU_DEP_1) | instskip(SKIP_1) | instid1(VALU_DEP_4)
	v_lshlrev_b64 v[43:44], 3, v[13:14]
	v_add_nc_u32_e32 v13, -4, v12
	v_add_co_u32 v41, vcc_lo, s8, v41
	v_add_co_ci_u32_e32 v42, vcc_lo, s9, v42, vcc_lo
	s_delay_alu instid0(VALU_DEP_3) | instskip(SKIP_3) | instid1(VALU_DEP_4)
	v_lshlrev_b64 v[45:46], 3, v[13:14]
	v_add_co_u32 v43, vcc_lo, s10, v43
	v_add_co_ci_u32_e32 v44, vcc_lo, s11, v44, vcc_lo
	v_add_nc_u32_e32 v13, -12, v12
	;; [unrolled: 17-line block ×4, first 2 shown]
	v_add_co_u32 v57, vcc_lo, s8, v57
	v_add_co_ci_u32_e32 v58, vcc_lo, s9, v58, vcc_lo
	global_load_b64 v[53:54], v[53:54], off
	global_load_b64 v[55:56], v[55:56], off
	;; [unrolled: 1-line block ×3, first 2 shown]
	v_lshlrev_b64 v[59:60], 3, v[13:14]
	v_add_nc_u32_e32 v13, 7, v22
	s_delay_alu instid0(VALU_DEP_1) | instskip(SKIP_1) | instid1(VALU_DEP_4)
	v_lshlrev_b64 v[61:62], 3, v[13:14]
	v_add_nc_u32_e32 v13, -1, v12
	v_add_co_u32 v59, vcc_lo, s8, v59
	v_add_co_ci_u32_e32 v60, vcc_lo, s9, v60, vcc_lo
	s_delay_alu instid0(VALU_DEP_3) | instskip(SKIP_3) | instid1(VALU_DEP_4)
	v_lshlrev_b64 v[63:64], 3, v[13:14]
	v_add_co_u32 v61, vcc_lo, s10, v61
	v_add_co_ci_u32_e32 v62, vcc_lo, s11, v62, vcc_lo
	v_mov_b32_e32 v13, v14
	v_add_co_u32 v63, vcc_lo, s8, v63
	v_add_co_ci_u32_e32 v64, vcc_lo, s9, v64, vcc_lo
	global_load_b64 v[59:60], v[59:60], off
	global_load_b64 v[61:62], v[61:62], off
	;; [unrolled: 1-line block ×3, first 2 shown]
	v_lshlrev_b64 v[65:66], 3, v[12:13]
	v_add_nc_u32_e32 v13, -9, v12
	v_add_nc_u32_e32 v12, 0x240, v12
	s_delay_alu instid0(VALU_DEP_2) | instskip(SKIP_3) | instid1(VALU_DEP_3)
	v_lshlrev_b64 v[67:68], 3, v[13:14]
	v_add_nc_u32_e32 v13, 8, v22
	v_add_co_u32 v65, vcc_lo, s8, v65
	v_add_co_ci_u32_e32 v66, vcc_lo, s9, v66, vcc_lo
	v_lshlrev_b64 v[69:70], 3, v[13:14]
	v_add_co_u32 v67, vcc_lo, s8, v67
	v_add_co_ci_u32_e32 v68, vcc_lo, s9, v68, vcc_lo
	s_delay_alu instid0(VALU_DEP_3) | instskip(NEXT) | instid1(VALU_DEP_4)
	v_add_co_u32 v69, vcc_lo, s10, v69
	v_add_co_ci_u32_e32 v70, vcc_lo, s11, v70, vcc_lo
	s_clause 0x1
	global_load_b64 v[65:66], v[65:66], off
	global_load_b64 v[67:68], v[67:68], off
	;; [unrolled: 1-line block ×3, first 2 shown]
	v_cmp_ge_i32_e32 vcc_lo, v8, v17
	s_or_b32 s2, vcc_lo, s2
	s_waitcnt vmcnt(23)
	v_fma_f64 v[6:7], v[18:19], v[23:24], v[6:7]
	v_fma_f64 v[9:10], v[15:16], v[23:24], v[10:11]
	s_waitcnt vmcnt(22)
	s_delay_alu instid0(VALU_DEP_2) | instskip(SKIP_1) | instid1(VALU_DEP_2)
	v_fma_f64 v[6:7], v[20:21], v[25:26], v[6:7]
	s_waitcnt vmcnt(21)
	v_fma_f64 v[9:10], v[27:28], v[25:26], v[9:10]
	s_waitcnt vmcnt(19)
	s_delay_alu instid0(VALU_DEP_2) | instskip(SKIP_1) | instid1(VALU_DEP_2)
	v_fma_f64 v[6:7], v[29:30], v[31:32], v[6:7]
	s_waitcnt vmcnt(18)
	;; [unrolled: 5-line block ×7, first 2 shown]
	v_fma_f64 v[9:10], v[63:64], v[61:62], v[9:10]
	s_waitcnt vmcnt(0)
	s_delay_alu instid0(VALU_DEP_2) | instskip(NEXT) | instid1(VALU_DEP_2)
	v_fma_f64 v[6:7], v[67:68], v[69:70], v[6:7]
	v_fma_f64 v[10:11], v[65:66], v[69:70], v[9:10]
	s_and_not1_b32 exec_lo, exec_lo, s2
	s_cbranch_execnz .LBB114_15
; %bb.16:
	s_or_b32 exec_lo, exec_lo, s2
.LBB114_17:
	s_delay_alu instid0(SALU_CYCLE_1)
	s_or_b32 exec_lo, exec_lo, s3
.LBB114_18:
	v_mbcnt_lo_u32_b32 v14, -1, 0
	s_delay_alu instid0(VALU_DEP_1) | instskip(NEXT) | instid1(VALU_DEP_1)
	v_xor_b32_e32 v8, 16, v14
	v_cmp_gt_i32_e32 vcc_lo, 32, v8
	v_cndmask_b32_e32 v8, v14, v8, vcc_lo
	s_delay_alu instid0(VALU_DEP_1)
	v_lshlrev_b32_e32 v13, 2, v8
	ds_bpermute_b32 v8, v13, v6
	ds_bpermute_b32 v9, v13, v7
	;; [unrolled: 1-line block ×4, first 2 shown]
	s_waitcnt lgkmcnt(2)
	v_add_f64 v[6:7], v[6:7], v[8:9]
	s_waitcnt lgkmcnt(0)
	v_add_f64 v[8:9], v[10:11], v[12:13]
	v_xor_b32_e32 v10, 8, v14
	s_delay_alu instid0(VALU_DEP_1) | instskip(SKIP_1) | instid1(VALU_DEP_1)
	v_cmp_gt_i32_e32 vcc_lo, 32, v10
	v_cndmask_b32_e32 v10, v14, v10, vcc_lo
	v_lshlrev_b32_e32 v13, 2, v10
	ds_bpermute_b32 v10, v13, v6
	ds_bpermute_b32 v11, v13, v7
	;; [unrolled: 1-line block ×4, first 2 shown]
	s_waitcnt lgkmcnt(2)
	v_add_f64 v[6:7], v[6:7], v[10:11]
	v_xor_b32_e32 v10, 4, v14
	s_waitcnt lgkmcnt(0)
	v_add_f64 v[8:9], v[8:9], v[12:13]
	s_delay_alu instid0(VALU_DEP_2) | instskip(SKIP_1) | instid1(VALU_DEP_1)
	v_cmp_gt_i32_e32 vcc_lo, 32, v10
	v_cndmask_b32_e32 v10, v14, v10, vcc_lo
	v_lshlrev_b32_e32 v13, 2, v10
	ds_bpermute_b32 v10, v13, v6
	ds_bpermute_b32 v11, v13, v7
	;; [unrolled: 1-line block ×4, first 2 shown]
	s_waitcnt lgkmcnt(2)
	v_add_f64 v[6:7], v[6:7], v[10:11]
	v_xor_b32_e32 v10, 2, v14
	s_waitcnt lgkmcnt(0)
	v_add_f64 v[8:9], v[8:9], v[12:13]
	s_delay_alu instid0(VALU_DEP_2) | instskip(SKIP_1) | instid1(VALU_DEP_1)
	v_cmp_gt_i32_e32 vcc_lo, 32, v10
	v_cndmask_b32_e32 v10, v14, v10, vcc_lo
	v_lshlrev_b32_e32 v13, 2, v10
	ds_bpermute_b32 v10, v13, v6
	ds_bpermute_b32 v11, v13, v7
	;; [unrolled: 1-line block ×4, first 2 shown]
	s_waitcnt lgkmcnt(2)
	v_add_f64 v[6:7], v[6:7], v[10:11]
	s_waitcnt lgkmcnt(0)
	v_add_f64 v[10:11], v[8:9], v[12:13]
	v_xor_b32_e32 v8, 1, v14
	s_delay_alu instid0(VALU_DEP_1) | instskip(SKIP_2) | instid1(VALU_DEP_2)
	v_cmp_gt_i32_e32 vcc_lo, 32, v8
	v_cndmask_b32_e32 v8, v14, v8, vcc_lo
	v_cmp_eq_u32_e32 vcc_lo, 31, v0
	v_lshlrev_b32_e32 v13, 2, v8
	ds_bpermute_b32 v8, v13, v6
	ds_bpermute_b32 v9, v13, v7
	;; [unrolled: 1-line block ×4, first 2 shown]
	s_and_b32 exec_lo, exec_lo, vcc_lo
	s_cbranch_execz .LBB114_23
; %bb.19:
	s_waitcnt lgkmcnt(2)
	v_add_f64 v[8:9], v[6:7], v[8:9]
	s_waitcnt lgkmcnt(0)
	v_add_f64 v[6:7], v[10:11], v[12:13]
	s_load_b64 s[0:1], s[0:1], 0x38
	s_mov_b32 s2, exec_lo
	v_cmpx_eq_f64_e32 0, v[3:4]
	s_xor_b32 s2, exec_lo, s2
	s_cbranch_execz .LBB114_21
; %bb.20:
	s_delay_alu instid0(VALU_DEP_3) | instskip(NEXT) | instid1(VALU_DEP_3)
	v_mul_f64 v[8:9], v[1:2], v[8:9]
	v_mul_f64 v[10:11], v[1:2], v[6:7]
	v_lshlrev_b32_e32 v0, 1, v5
                                        ; implicit-def: $vgpr5
                                        ; implicit-def: $vgpr3_vgpr4
                                        ; implicit-def: $vgpr6_vgpr7
	s_delay_alu instid0(VALU_DEP_1) | instskip(NEXT) | instid1(VALU_DEP_1)
	v_ashrrev_i32_e32 v1, 31, v0
	v_lshlrev_b64 v[0:1], 3, v[0:1]
	s_waitcnt lgkmcnt(0)
	s_delay_alu instid0(VALU_DEP_1) | instskip(NEXT) | instid1(VALU_DEP_2)
	v_add_co_u32 v0, vcc_lo, s0, v0
	v_add_co_ci_u32_e32 v1, vcc_lo, s1, v1, vcc_lo
	global_store_b128 v[0:1], v[8:11], off
                                        ; implicit-def: $vgpr1_vgpr2
                                        ; implicit-def: $vgpr8_vgpr9
.LBB114_21:
	s_and_not1_saveexec_b32 s2, s2
	s_cbranch_execz .LBB114_23
; %bb.22:
	v_lshlrev_b32_e32 v10, 1, v5
	s_delay_alu instid0(VALU_DEP_4) | instskip(NEXT) | instid1(VALU_DEP_4)
	v_mul_f64 v[8:9], v[1:2], v[8:9]
	v_mul_f64 v[5:6], v[1:2], v[6:7]
	s_delay_alu instid0(VALU_DEP_3) | instskip(NEXT) | instid1(VALU_DEP_1)
	v_ashrrev_i32_e32 v11, 31, v10
	v_lshlrev_b64 v[10:11], 3, v[10:11]
	s_waitcnt lgkmcnt(0)
	s_delay_alu instid0(VALU_DEP_1) | instskip(NEXT) | instid1(VALU_DEP_2)
	v_add_co_u32 v14, vcc_lo, s0, v10
	v_add_co_ci_u32_e32 v15, vcc_lo, s1, v11, vcc_lo
	global_load_b128 v[10:13], v[14:15], off
	s_waitcnt vmcnt(0)
	v_fma_f64 v[0:1], v[3:4], v[10:11], v[8:9]
	v_fma_f64 v[2:3], v[3:4], v[12:13], v[5:6]
	global_store_b128 v[14:15], v[0:3], off
.LBB114_23:
	s_nop 0
	s_sendmsg sendmsg(MSG_DEALLOC_VGPRS)
	s_endpgm
	.section	.rodata,"a",@progbits
	.p2align	6, 0x0
	.amdhsa_kernel _ZN9rocsparseL19gebsrmvn_2xn_kernelILj128ELj9ELj32EdEEvi20rocsparse_direction_NS_24const_host_device_scalarIT2_EEPKiS6_PKS3_S8_S4_PS3_21rocsparse_index_base_b
		.amdhsa_group_segment_fixed_size 0
		.amdhsa_private_segment_fixed_size 0
		.amdhsa_kernarg_size 72
		.amdhsa_user_sgpr_count 15
		.amdhsa_user_sgpr_dispatch_ptr 0
		.amdhsa_user_sgpr_queue_ptr 0
		.amdhsa_user_sgpr_kernarg_segment_ptr 1
		.amdhsa_user_sgpr_dispatch_id 0
		.amdhsa_user_sgpr_private_segment_size 0
		.amdhsa_wavefront_size32 1
		.amdhsa_uses_dynamic_stack 0
		.amdhsa_enable_private_segment 0
		.amdhsa_system_sgpr_workgroup_id_x 1
		.amdhsa_system_sgpr_workgroup_id_y 0
		.amdhsa_system_sgpr_workgroup_id_z 0
		.amdhsa_system_sgpr_workgroup_info 0
		.amdhsa_system_vgpr_workitem_id 0
		.amdhsa_next_free_vgpr 72
		.amdhsa_next_free_sgpr 16
		.amdhsa_reserve_vcc 1
		.amdhsa_float_round_mode_32 0
		.amdhsa_float_round_mode_16_64 0
		.amdhsa_float_denorm_mode_32 3
		.amdhsa_float_denorm_mode_16_64 3
		.amdhsa_dx10_clamp 1
		.amdhsa_ieee_mode 1
		.amdhsa_fp16_overflow 0
		.amdhsa_workgroup_processor_mode 1
		.amdhsa_memory_ordered 1
		.amdhsa_forward_progress 0
		.amdhsa_shared_vgpr_count 0
		.amdhsa_exception_fp_ieee_invalid_op 0
		.amdhsa_exception_fp_denorm_src 0
		.amdhsa_exception_fp_ieee_div_zero 0
		.amdhsa_exception_fp_ieee_overflow 0
		.amdhsa_exception_fp_ieee_underflow 0
		.amdhsa_exception_fp_ieee_inexact 0
		.amdhsa_exception_int_div_zero 0
	.end_amdhsa_kernel
	.section	.text._ZN9rocsparseL19gebsrmvn_2xn_kernelILj128ELj9ELj32EdEEvi20rocsparse_direction_NS_24const_host_device_scalarIT2_EEPKiS6_PKS3_S8_S4_PS3_21rocsparse_index_base_b,"axG",@progbits,_ZN9rocsparseL19gebsrmvn_2xn_kernelILj128ELj9ELj32EdEEvi20rocsparse_direction_NS_24const_host_device_scalarIT2_EEPKiS6_PKS3_S8_S4_PS3_21rocsparse_index_base_b,comdat
.Lfunc_end114:
	.size	_ZN9rocsparseL19gebsrmvn_2xn_kernelILj128ELj9ELj32EdEEvi20rocsparse_direction_NS_24const_host_device_scalarIT2_EEPKiS6_PKS3_S8_S4_PS3_21rocsparse_index_base_b, .Lfunc_end114-_ZN9rocsparseL19gebsrmvn_2xn_kernelILj128ELj9ELj32EdEEvi20rocsparse_direction_NS_24const_host_device_scalarIT2_EEPKiS6_PKS3_S8_S4_PS3_21rocsparse_index_base_b
                                        ; -- End function
	.section	.AMDGPU.csdata,"",@progbits
; Kernel info:
; codeLenInByte = 3256
; NumSgprs: 18
; NumVgprs: 72
; ScratchSize: 0
; MemoryBound: 0
; FloatMode: 240
; IeeeMode: 1
; LDSByteSize: 0 bytes/workgroup (compile time only)
; SGPRBlocks: 2
; VGPRBlocks: 8
; NumSGPRsForWavesPerEU: 18
; NumVGPRsForWavesPerEU: 72
; Occupancy: 16
; WaveLimiterHint : 1
; COMPUTE_PGM_RSRC2:SCRATCH_EN: 0
; COMPUTE_PGM_RSRC2:USER_SGPR: 15
; COMPUTE_PGM_RSRC2:TRAP_HANDLER: 0
; COMPUTE_PGM_RSRC2:TGID_X_EN: 1
; COMPUTE_PGM_RSRC2:TGID_Y_EN: 0
; COMPUTE_PGM_RSRC2:TGID_Z_EN: 0
; COMPUTE_PGM_RSRC2:TIDIG_COMP_CNT: 0
	.section	.text._ZN9rocsparseL19gebsrmvn_2xn_kernelILj128ELj9ELj64EdEEvi20rocsparse_direction_NS_24const_host_device_scalarIT2_EEPKiS6_PKS3_S8_S4_PS3_21rocsparse_index_base_b,"axG",@progbits,_ZN9rocsparseL19gebsrmvn_2xn_kernelILj128ELj9ELj64EdEEvi20rocsparse_direction_NS_24const_host_device_scalarIT2_EEPKiS6_PKS3_S8_S4_PS3_21rocsparse_index_base_b,comdat
	.globl	_ZN9rocsparseL19gebsrmvn_2xn_kernelILj128ELj9ELj64EdEEvi20rocsparse_direction_NS_24const_host_device_scalarIT2_EEPKiS6_PKS3_S8_S4_PS3_21rocsparse_index_base_b ; -- Begin function _ZN9rocsparseL19gebsrmvn_2xn_kernelILj128ELj9ELj64EdEEvi20rocsparse_direction_NS_24const_host_device_scalarIT2_EEPKiS6_PKS3_S8_S4_PS3_21rocsparse_index_base_b
	.p2align	8
	.type	_ZN9rocsparseL19gebsrmvn_2xn_kernelILj128ELj9ELj64EdEEvi20rocsparse_direction_NS_24const_host_device_scalarIT2_EEPKiS6_PKS3_S8_S4_PS3_21rocsparse_index_base_b,@function
_ZN9rocsparseL19gebsrmvn_2xn_kernelILj128ELj9ELj64EdEEvi20rocsparse_direction_NS_24const_host_device_scalarIT2_EEPKiS6_PKS3_S8_S4_PS3_21rocsparse_index_base_b: ; @_ZN9rocsparseL19gebsrmvn_2xn_kernelILj128ELj9ELj64EdEEvi20rocsparse_direction_NS_24const_host_device_scalarIT2_EEPKiS6_PKS3_S8_S4_PS3_21rocsparse_index_base_b
; %bb.0:
	s_clause 0x2
	s_load_b64 s[12:13], s[0:1], 0x40
	s_load_b64 s[4:5], s[0:1], 0x8
	;; [unrolled: 1-line block ×3, first 2 shown]
	s_waitcnt lgkmcnt(0)
	s_bitcmp1_b32 s13, 0
	v_dual_mov_b32 v1, s4 :: v_dual_mov_b32 v2, s5
	s_cselect_b32 s6, -1, 0
	s_delay_alu instid0(SALU_CYCLE_1)
	s_and_b32 vcc_lo, exec_lo, s6
	s_xor_b32 s6, s6, -1
	s_cbranch_vccnz .LBB115_2
; %bb.1:
	v_dual_mov_b32 v1, s4 :: v_dual_mov_b32 v2, s5
	flat_load_b64 v[1:2], v[1:2]
.LBB115_2:
	v_dual_mov_b32 v4, s3 :: v_dual_mov_b32 v3, s2
	s_and_not1_b32 vcc_lo, exec_lo, s6
	s_cbranch_vccnz .LBB115_4
; %bb.3:
	v_dual_mov_b32 v4, s3 :: v_dual_mov_b32 v3, s2
	flat_load_b64 v[3:4], v[3:4]
.LBB115_4:
	s_waitcnt vmcnt(0) lgkmcnt(0)
	v_cmp_neq_f64_e32 vcc_lo, 0, v[1:2]
	v_cmp_neq_f64_e64 s2, 1.0, v[3:4]
	s_delay_alu instid0(VALU_DEP_1) | instskip(NEXT) | instid1(SALU_CYCLE_1)
	s_or_b32 s2, vcc_lo, s2
	s_and_saveexec_b32 s3, s2
	s_cbranch_execz .LBB115_23
; %bb.5:
	s_load_b64 s[2:3], s[0:1], 0x0
	v_lshrrev_b32_e32 v5, 6, v0
	s_delay_alu instid0(VALU_DEP_1) | instskip(SKIP_1) | instid1(VALU_DEP_1)
	v_lshl_or_b32 v5, s15, 1, v5
	s_waitcnt lgkmcnt(0)
	v_cmp_gt_i32_e32 vcc_lo, s2, v5
	s_and_b32 exec_lo, exec_lo, vcc_lo
	s_cbranch_execz .LBB115_23
; %bb.6:
	s_load_b256 s[4:11], s[0:1], 0x10
	v_ashrrev_i32_e32 v6, 31, v5
	v_and_b32_e32 v0, 63, v0
	s_cmp_lg_u32 s3, 0
	s_delay_alu instid0(VALU_DEP_2) | instskip(SKIP_1) | instid1(VALU_DEP_1)
	v_lshlrev_b64 v[6:7], 2, v[5:6]
	s_waitcnt lgkmcnt(0)
	v_add_co_u32 v6, vcc_lo, s4, v6
	s_delay_alu instid0(VALU_DEP_2) | instskip(SKIP_4) | instid1(VALU_DEP_2)
	v_add_co_ci_u32_e32 v7, vcc_lo, s5, v7, vcc_lo
	global_load_b64 v[6:7], v[6:7], off
	s_waitcnt vmcnt(0)
	v_subrev_nc_u32_e32 v6, s12, v6
	v_subrev_nc_u32_e32 v16, s12, v7
	v_add_nc_u32_e32 v10, v6, v0
	s_delay_alu instid0(VALU_DEP_1)
	v_cmp_lt_i32_e64 s2, v10, v16
	s_cbranch_scc0 .LBB115_12
; %bb.7:
	v_mov_b32_e32 v6, 0
	v_mov_b32_e32 v7, 0
	s_delay_alu instid0(VALU_DEP_1)
	v_dual_mov_b32 v9, v7 :: v_dual_mov_b32 v8, v6
	s_and_saveexec_b32 s3, s2
	s_cbranch_execz .LBB115_11
; %bb.8:
	v_dual_mov_b32 v6, 0 :: v_dual_mov_b32 v13, 0
	v_dual_mov_b32 v7, 0 :: v_dual_mov_b32 v14, v10
	v_mad_u64_u32 v[11:12], null, v10, 18, 16
	s_mov_b32 s4, 0
	s_delay_alu instid0(VALU_DEP_2)
	v_dual_mov_b32 v9, v7 :: v_dual_mov_b32 v8, v6
.LBB115_9:                              ; =>This Inner Loop Header: Depth=1
	s_delay_alu instid0(VALU_DEP_3) | instskip(NEXT) | instid1(VALU_DEP_3)
	v_ashrrev_i32_e32 v15, 31, v14
	v_add_nc_u32_e32 v12, -16, v11
	v_mov_b32_e32 v50, v13
	s_delay_alu instid0(VALU_DEP_3) | instskip(SKIP_1) | instid1(VALU_DEP_2)
	v_lshlrev_b64 v[17:18], 2, v[14:15]
	v_add_nc_u32_e32 v14, 64, v14
	v_add_co_u32 v17, vcc_lo, s6, v17
	s_delay_alu instid0(VALU_DEP_3) | instskip(SKIP_3) | instid1(VALU_DEP_2)
	v_add_co_ci_u32_e32 v18, vcc_lo, s7, v18, vcc_lo
	global_load_b32 v15, v[17:18], off
	v_lshlrev_b64 v[17:18], 3, v[12:13]
	v_add_nc_u32_e32 v12, -14, v11
	v_add_co_u32 v17, vcc_lo, s8, v17
	s_delay_alu instid0(VALU_DEP_3) | instskip(SKIP_2) | instid1(VALU_DEP_1)
	v_add_co_ci_u32_e32 v18, vcc_lo, s9, v18, vcc_lo
	s_waitcnt vmcnt(0)
	v_subrev_nc_u32_e32 v15, s12, v15
	v_lshl_add_u32 v49, v15, 3, v15
	s_delay_alu instid0(VALU_DEP_1) | instskip(NEXT) | instid1(VALU_DEP_1)
	v_lshlrev_b64 v[19:20], 3, v[49:50]
	v_add_co_u32 v21, vcc_lo, s10, v19
	s_delay_alu instid0(VALU_DEP_2) | instskip(SKIP_4) | instid1(VALU_DEP_1)
	v_add_co_ci_u32_e32 v22, vcc_lo, s11, v20, vcc_lo
	global_load_b128 v[17:20], v[17:18], off
	global_load_b64 v[53:54], v[21:22], off
	v_lshlrev_b64 v[21:22], 3, v[12:13]
	v_add_nc_u32_e32 v12, 1, v49
	v_lshlrev_b64 v[23:24], 3, v[12:13]
	s_delay_alu instid0(VALU_DEP_3) | instskip(NEXT) | instid1(VALU_DEP_4)
	v_add_co_u32 v21, vcc_lo, s8, v21
	v_add_co_ci_u32_e32 v22, vcc_lo, s9, v22, vcc_lo
	v_add_nc_u32_e32 v12, -12, v11
	s_delay_alu instid0(VALU_DEP_4)
	v_add_co_u32 v25, vcc_lo, s10, v23
	v_add_co_ci_u32_e32 v26, vcc_lo, s11, v24, vcc_lo
	global_load_b128 v[21:24], v[21:22], off
	global_load_b64 v[55:56], v[25:26], off
	v_lshlrev_b64 v[25:26], 3, v[12:13]
	v_add_nc_u32_e32 v12, 2, v49
	s_delay_alu instid0(VALU_DEP_1) | instskip(NEXT) | instid1(VALU_DEP_3)
	v_lshlrev_b64 v[27:28], 3, v[12:13]
	v_add_co_u32 v25, vcc_lo, s8, v25
	s_delay_alu instid0(VALU_DEP_4) | instskip(SKIP_1) | instid1(VALU_DEP_4)
	v_add_co_ci_u32_e32 v26, vcc_lo, s9, v26, vcc_lo
	v_add_nc_u32_e32 v12, -10, v11
	v_add_co_u32 v29, vcc_lo, s10, v27
	v_add_co_ci_u32_e32 v30, vcc_lo, s11, v28, vcc_lo
	global_load_b128 v[25:28], v[25:26], off
	global_load_b64 v[57:58], v[29:30], off
	v_lshlrev_b64 v[29:30], 3, v[12:13]
	v_add_nc_u32_e32 v12, 3, v49
	s_delay_alu instid0(VALU_DEP_1) | instskip(NEXT) | instid1(VALU_DEP_3)
	v_lshlrev_b64 v[31:32], 3, v[12:13]
	v_add_co_u32 v29, vcc_lo, s8, v29
	s_delay_alu instid0(VALU_DEP_4) | instskip(SKIP_1) | instid1(VALU_DEP_4)
	v_add_co_ci_u32_e32 v30, vcc_lo, s9, v30, vcc_lo
	v_add_nc_u32_e32 v12, -8, v11
	;; [unrolled: 12-line block ×5, first 2 shown]
	v_add_co_u32 v45, vcc_lo, s10, v43
	v_add_co_ci_u32_e32 v46, vcc_lo, s11, v44, vcc_lo
	global_load_b128 v[41:44], v[41:42], off
	global_load_b64 v[65:66], v[45:46], off
	v_lshlrev_b64 v[45:46], 3, v[12:13]
	v_add_nc_u32_e32 v12, 7, v49
	s_delay_alu instid0(VALU_DEP_1) | instskip(NEXT) | instid1(VALU_DEP_3)
	v_lshlrev_b64 v[47:48], 3, v[12:13]
	v_add_co_u32 v45, vcc_lo, s8, v45
	s_delay_alu instid0(VALU_DEP_4) | instskip(SKIP_1) | instid1(VALU_DEP_4)
	v_add_co_ci_u32_e32 v46, vcc_lo, s9, v46, vcc_lo
	v_mov_b32_e32 v12, v13
	v_add_co_u32 v50, vcc_lo, s10, v47
	v_add_co_ci_u32_e32 v51, vcc_lo, s11, v48, vcc_lo
	global_load_b128 v[45:48], v[45:46], off
	global_load_b64 v[67:68], v[50:51], off
	v_lshlrev_b64 v[50:51], 3, v[11:12]
	v_add_nc_u32_e32 v11, 0x480, v11
	v_add_nc_u32_e32 v12, 8, v49
	s_delay_alu instid0(VALU_DEP_3) | instskip(NEXT) | instid1(VALU_DEP_2)
	v_add_co_u32 v49, vcc_lo, s8, v50
	v_lshlrev_b64 v[69:70], 3, v[12:13]
	v_add_co_ci_u32_e32 v50, vcc_lo, s9, v51, vcc_lo
	s_delay_alu instid0(VALU_DEP_2) | instskip(NEXT) | instid1(VALU_DEP_3)
	v_add_co_u32 v69, vcc_lo, s10, v69
	v_add_co_ci_u32_e32 v70, vcc_lo, s11, v70, vcc_lo
	global_load_b128 v[49:52], v[49:50], off
	global_load_b64 v[69:70], v[69:70], off
	v_cmp_ge_i32_e32 vcc_lo, v14, v16
	s_or_b32 s4, vcc_lo, s4
	s_waitcnt vmcnt(16)
	v_fma_f64 v[6:7], v[17:18], v[53:54], v[6:7]
	v_fma_f64 v[8:9], v[19:20], v[53:54], v[8:9]
	s_waitcnt vmcnt(14)
	s_delay_alu instid0(VALU_DEP_2) | instskip(NEXT) | instid1(VALU_DEP_2)
	v_fma_f64 v[6:7], v[21:22], v[55:56], v[6:7]
	v_fma_f64 v[8:9], v[23:24], v[55:56], v[8:9]
	s_waitcnt vmcnt(12)
	s_delay_alu instid0(VALU_DEP_2) | instskip(NEXT) | instid1(VALU_DEP_2)
	;; [unrolled: 4-line block ×8, first 2 shown]
	v_fma_f64 v[6:7], v[49:50], v[69:70], v[6:7]
	v_fma_f64 v[8:9], v[51:52], v[69:70], v[8:9]
	s_and_not1_b32 exec_lo, exec_lo, s4
	s_cbranch_execnz .LBB115_9
; %bb.10:
	s_or_b32 exec_lo, exec_lo, s4
.LBB115_11:
	s_delay_alu instid0(SALU_CYCLE_1)
	s_or_b32 exec_lo, exec_lo, s3
	s_cbranch_execz .LBB115_13
	s_branch .LBB115_18
.LBB115_12:
                                        ; implicit-def: $vgpr6_vgpr7
                                        ; implicit-def: $vgpr8_vgpr9
.LBB115_13:
	v_mov_b32_e32 v6, 0
	v_mov_b32_e32 v7, 0
	s_delay_alu instid0(VALU_DEP_1)
	v_dual_mov_b32 v9, v7 :: v_dual_mov_b32 v8, v6
	s_and_saveexec_b32 s3, s2
	s_cbranch_execz .LBB115_17
; %bb.14:
	v_mov_b32_e32 v6, 0
	v_dual_mov_b32 v7, 0 :: v_dual_mov_b32 v14, 0
	v_mad_u64_u32 v[12:13], null, v10, 18, 17
	s_mov_b32 s2, 0
	s_delay_alu instid0(VALU_DEP_2)
	v_dual_mov_b32 v9, v7 :: v_dual_mov_b32 v8, v6
.LBB115_15:                             ; =>This Inner Loop Header: Depth=1
	v_ashrrev_i32_e32 v11, 31, v10
	s_delay_alu instid0(VALU_DEP_3) | instskip(SKIP_1) | instid1(VALU_DEP_3)
	v_subrev_nc_u32_e32 v13, 17, v12
	v_mov_b32_e32 v22, v14
	v_lshlrev_b64 v[17:18], 2, v[10:11]
	s_delay_alu instid0(VALU_DEP_3) | instskip(SKIP_1) | instid1(VALU_DEP_3)
	v_lshlrev_b64 v[19:20], 3, v[13:14]
	v_add_nc_u32_e32 v10, 64, v10
	v_add_co_u32 v17, vcc_lo, s6, v17
	s_delay_alu instid0(VALU_DEP_4) | instskip(NEXT) | instid1(VALU_DEP_4)
	v_add_co_ci_u32_e32 v18, vcc_lo, s7, v18, vcc_lo
	v_add_co_u32 v19, vcc_lo, s8, v19
	v_add_co_ci_u32_e32 v20, vcc_lo, s9, v20, vcc_lo
	global_load_b32 v11, v[17:18], off
	v_add_nc_u32_e32 v17, -8, v12
	s_waitcnt vmcnt(0)
	v_subrev_nc_u32_e32 v11, s12, v11
	s_delay_alu instid0(VALU_DEP_1) | instskip(NEXT) | instid1(VALU_DEP_1)
	v_lshl_add_u32 v21, v11, 3, v11
	v_dual_mov_b32 v18, v14 :: v_dual_add_nc_u32 v13, 1, v21
	s_delay_alu instid0(VALU_DEP_1) | instskip(SKIP_1) | instid1(VALU_DEP_2)
	v_lshlrev_b64 v[17:18], 3, v[17:18]
	v_lshlrev_b64 v[25:26], 3, v[21:22]
	v_add_co_u32 v23, vcc_lo, s8, v17
	s_delay_alu instid0(VALU_DEP_3) | instskip(NEXT) | instid1(VALU_DEP_3)
	v_add_co_ci_u32_e32 v24, vcc_lo, s9, v18, vcc_lo
	v_add_co_u32 v25, vcc_lo, s10, v25
	s_delay_alu instid0(VALU_DEP_4)
	v_add_co_ci_u32_e32 v26, vcc_lo, s11, v26, vcc_lo
	s_clause 0x1
	global_load_b128 v[17:20], v[19:20], off
	global_load_b64 v[22:23], v[23:24], off
	global_load_b64 v[24:25], v[25:26], off
	v_lshlrev_b64 v[26:27], 3, v[13:14]
	v_add_nc_u32_e32 v13, -7, v12
	s_delay_alu instid0(VALU_DEP_1) | instskip(NEXT) | instid1(VALU_DEP_3)
	v_lshlrev_b64 v[28:29], 3, v[13:14]
	v_add_co_u32 v26, vcc_lo, s10, v26
	s_delay_alu instid0(VALU_DEP_4) | instskip(SKIP_1) | instid1(VALU_DEP_4)
	v_add_co_ci_u32_e32 v27, vcc_lo, s11, v27, vcc_lo
	v_add_nc_u32_e32 v13, -15, v12
	v_add_co_u32 v28, vcc_lo, s8, v28
	v_add_co_ci_u32_e32 v29, vcc_lo, s9, v29, vcc_lo
	global_load_b64 v[26:27], v[26:27], off
	global_load_b64 v[28:29], v[28:29], off
	v_lshlrev_b64 v[30:31], 3, v[13:14]
	v_add_nc_u32_e32 v13, 2, v21
	s_delay_alu instid0(VALU_DEP_1) | instskip(SKIP_1) | instid1(VALU_DEP_4)
	v_lshlrev_b64 v[32:33], 3, v[13:14]
	v_add_nc_u32_e32 v13, -6, v12
	v_add_co_u32 v30, vcc_lo, s8, v30
	v_add_co_ci_u32_e32 v31, vcc_lo, s9, v31, vcc_lo
	s_delay_alu instid0(VALU_DEP_3) | instskip(SKIP_3) | instid1(VALU_DEP_4)
	v_lshlrev_b64 v[34:35], 3, v[13:14]
	v_add_co_u32 v32, vcc_lo, s10, v32
	v_add_co_ci_u32_e32 v33, vcc_lo, s11, v33, vcc_lo
	v_add_nc_u32_e32 v13, -14, v12
	v_add_co_u32 v34, vcc_lo, s8, v34
	v_add_co_ci_u32_e32 v35, vcc_lo, s9, v35, vcc_lo
	global_load_b64 v[30:31], v[30:31], off
	global_load_b64 v[32:33], v[32:33], off
	global_load_b64 v[34:35], v[34:35], off
	v_lshlrev_b64 v[36:37], 3, v[13:14]
	v_add_nc_u32_e32 v13, 3, v21
	s_delay_alu instid0(VALU_DEP_1) | instskip(SKIP_1) | instid1(VALU_DEP_4)
	v_lshlrev_b64 v[38:39], 3, v[13:14]
	v_add_nc_u32_e32 v13, -5, v12
	v_add_co_u32 v36, vcc_lo, s8, v36
	v_add_co_ci_u32_e32 v37, vcc_lo, s9, v37, vcc_lo
	s_delay_alu instid0(VALU_DEP_3) | instskip(SKIP_3) | instid1(VALU_DEP_4)
	v_lshlrev_b64 v[40:41], 3, v[13:14]
	v_add_co_u32 v38, vcc_lo, s10, v38
	v_add_co_ci_u32_e32 v39, vcc_lo, s11, v39, vcc_lo
	v_add_nc_u32_e32 v13, -13, v12
	v_add_co_u32 v40, vcc_lo, s8, v40
	v_add_co_ci_u32_e32 v41, vcc_lo, s9, v41, vcc_lo
	global_load_b64 v[36:37], v[36:37], off
	;; [unrolled: 17-line block ×5, first 2 shown]
	global_load_b64 v[56:57], v[56:57], off
	global_load_b64 v[58:59], v[58:59], off
	v_lshlrev_b64 v[60:61], 3, v[13:14]
	v_add_nc_u32_e32 v13, 7, v21
	s_delay_alu instid0(VALU_DEP_1) | instskip(SKIP_1) | instid1(VALU_DEP_4)
	v_lshlrev_b64 v[62:63], 3, v[13:14]
	v_add_nc_u32_e32 v13, -1, v12
	v_add_co_u32 v60, vcc_lo, s8, v60
	v_add_co_ci_u32_e32 v61, vcc_lo, s9, v61, vcc_lo
	s_delay_alu instid0(VALU_DEP_3) | instskip(SKIP_3) | instid1(VALU_DEP_4)
	v_lshlrev_b64 v[64:65], 3, v[13:14]
	v_add_co_u32 v62, vcc_lo, s10, v62
	v_add_co_ci_u32_e32 v63, vcc_lo, s11, v63, vcc_lo
	v_mov_b32_e32 v13, v14
	v_add_co_u32 v64, vcc_lo, s8, v64
	v_add_co_ci_u32_e32 v65, vcc_lo, s9, v65, vcc_lo
	global_load_b64 v[60:61], v[60:61], off
	global_load_b64 v[62:63], v[62:63], off
	;; [unrolled: 1-line block ×3, first 2 shown]
	v_lshlrev_b64 v[66:67], 3, v[12:13]
	v_add_nc_u32_e32 v13, -9, v12
	v_add_nc_u32_e32 v12, 0x480, v12
	s_delay_alu instid0(VALU_DEP_2) | instskip(SKIP_3) | instid1(VALU_DEP_3)
	v_lshlrev_b64 v[68:69], 3, v[13:14]
	v_add_nc_u32_e32 v13, 8, v21
	v_add_co_u32 v66, vcc_lo, s8, v66
	v_add_co_ci_u32_e32 v67, vcc_lo, s9, v67, vcc_lo
	v_lshlrev_b64 v[70:71], 3, v[13:14]
	v_add_co_u32 v68, vcc_lo, s8, v68
	v_add_co_ci_u32_e32 v69, vcc_lo, s9, v69, vcc_lo
	s_delay_alu instid0(VALU_DEP_3) | instskip(NEXT) | instid1(VALU_DEP_4)
	v_add_co_u32 v70, vcc_lo, s10, v70
	v_add_co_ci_u32_e32 v71, vcc_lo, s11, v71, vcc_lo
	s_clause 0x1
	global_load_b64 v[66:67], v[66:67], off
	global_load_b64 v[68:69], v[68:69], off
	;; [unrolled: 1-line block ×3, first 2 shown]
	v_cmp_ge_i32_e32 vcc_lo, v10, v16
	s_or_b32 s2, vcc_lo, s2
	s_waitcnt vmcnt(23)
	v_fma_f64 v[6:7], v[17:18], v[24:25], v[6:7]
	v_fma_f64 v[8:9], v[22:23], v[24:25], v[8:9]
	s_waitcnt vmcnt(22)
	s_delay_alu instid0(VALU_DEP_2) | instskip(SKIP_1) | instid1(VALU_DEP_2)
	v_fma_f64 v[6:7], v[19:20], v[26:27], v[6:7]
	s_waitcnt vmcnt(21)
	v_fma_f64 v[8:9], v[28:29], v[26:27], v[8:9]
	s_waitcnt vmcnt(19)
	s_delay_alu instid0(VALU_DEP_2) | instskip(SKIP_1) | instid1(VALU_DEP_2)
	v_fma_f64 v[6:7], v[30:31], v[32:33], v[6:7]
	s_waitcnt vmcnt(18)
	;; [unrolled: 5-line block ×7, first 2 shown]
	v_fma_f64 v[8:9], v[64:65], v[62:63], v[8:9]
	s_waitcnt vmcnt(0)
	s_delay_alu instid0(VALU_DEP_2) | instskip(NEXT) | instid1(VALU_DEP_2)
	v_fma_f64 v[6:7], v[68:69], v[70:71], v[6:7]
	v_fma_f64 v[8:9], v[66:67], v[70:71], v[8:9]
	s_and_not1_b32 exec_lo, exec_lo, s2
	s_cbranch_execnz .LBB115_15
; %bb.16:
	s_or_b32 exec_lo, exec_lo, s2
.LBB115_17:
	s_delay_alu instid0(SALU_CYCLE_1)
	s_or_b32 exec_lo, exec_lo, s3
.LBB115_18:
	v_mbcnt_lo_u32_b32 v14, -1, 0
	s_delay_alu instid0(VALU_DEP_1) | instskip(NEXT) | instid1(VALU_DEP_1)
	v_or_b32_e32 v10, 32, v14
	v_cmp_gt_i32_e32 vcc_lo, 32, v10
	v_cndmask_b32_e32 v10, v14, v10, vcc_lo
	s_delay_alu instid0(VALU_DEP_1)
	v_lshlrev_b32_e32 v13, 2, v10
	ds_bpermute_b32 v10, v13, v6
	ds_bpermute_b32 v11, v13, v7
	ds_bpermute_b32 v12, v13, v8
	ds_bpermute_b32 v13, v13, v9
	s_waitcnt lgkmcnt(2)
	v_add_f64 v[6:7], v[6:7], v[10:11]
	v_xor_b32_e32 v10, 16, v14
	s_waitcnt lgkmcnt(0)
	v_add_f64 v[8:9], v[8:9], v[12:13]
	s_delay_alu instid0(VALU_DEP_2) | instskip(SKIP_1) | instid1(VALU_DEP_1)
	v_cmp_gt_i32_e32 vcc_lo, 32, v10
	v_cndmask_b32_e32 v10, v14, v10, vcc_lo
	v_lshlrev_b32_e32 v13, 2, v10
	ds_bpermute_b32 v10, v13, v6
	ds_bpermute_b32 v11, v13, v7
	ds_bpermute_b32 v12, v13, v8
	ds_bpermute_b32 v13, v13, v9
	s_waitcnt lgkmcnt(2)
	v_add_f64 v[6:7], v[6:7], v[10:11]
	v_xor_b32_e32 v10, 8, v14
	s_waitcnt lgkmcnt(0)
	v_add_f64 v[8:9], v[8:9], v[12:13]
	s_delay_alu instid0(VALU_DEP_2) | instskip(SKIP_1) | instid1(VALU_DEP_1)
	v_cmp_gt_i32_e32 vcc_lo, 32, v10
	v_cndmask_b32_e32 v10, v14, v10, vcc_lo
	;; [unrolled: 13-line block ×4, first 2 shown]
	v_lshlrev_b32_e32 v13, 2, v10
	ds_bpermute_b32 v10, v13, v6
	ds_bpermute_b32 v11, v13, v7
	;; [unrolled: 1-line block ×4, first 2 shown]
	s_waitcnt lgkmcnt(2)
	v_add_f64 v[6:7], v[6:7], v[10:11]
	s_waitcnt lgkmcnt(0)
	v_add_f64 v[10:11], v[8:9], v[12:13]
	v_xor_b32_e32 v8, 1, v14
	s_delay_alu instid0(VALU_DEP_1) | instskip(SKIP_2) | instid1(VALU_DEP_2)
	v_cmp_gt_i32_e32 vcc_lo, 32, v8
	v_cndmask_b32_e32 v8, v14, v8, vcc_lo
	v_cmp_eq_u32_e32 vcc_lo, 63, v0
	v_lshlrev_b32_e32 v13, 2, v8
	ds_bpermute_b32 v8, v13, v6
	ds_bpermute_b32 v9, v13, v7
	;; [unrolled: 1-line block ×4, first 2 shown]
	s_and_b32 exec_lo, exec_lo, vcc_lo
	s_cbranch_execz .LBB115_23
; %bb.19:
	s_waitcnt lgkmcnt(2)
	v_add_f64 v[8:9], v[6:7], v[8:9]
	s_waitcnt lgkmcnt(0)
	v_add_f64 v[6:7], v[10:11], v[12:13]
	s_load_b64 s[0:1], s[0:1], 0x38
	s_mov_b32 s2, exec_lo
	v_cmpx_eq_f64_e32 0, v[3:4]
	s_xor_b32 s2, exec_lo, s2
	s_cbranch_execz .LBB115_21
; %bb.20:
	s_delay_alu instid0(VALU_DEP_3) | instskip(NEXT) | instid1(VALU_DEP_3)
	v_mul_f64 v[8:9], v[1:2], v[8:9]
	v_mul_f64 v[10:11], v[1:2], v[6:7]
	v_lshlrev_b32_e32 v0, 1, v5
                                        ; implicit-def: $vgpr5
                                        ; implicit-def: $vgpr3_vgpr4
                                        ; implicit-def: $vgpr6_vgpr7
	s_delay_alu instid0(VALU_DEP_1) | instskip(NEXT) | instid1(VALU_DEP_1)
	v_ashrrev_i32_e32 v1, 31, v0
	v_lshlrev_b64 v[0:1], 3, v[0:1]
	s_waitcnt lgkmcnt(0)
	s_delay_alu instid0(VALU_DEP_1) | instskip(NEXT) | instid1(VALU_DEP_2)
	v_add_co_u32 v0, vcc_lo, s0, v0
	v_add_co_ci_u32_e32 v1, vcc_lo, s1, v1, vcc_lo
	global_store_b128 v[0:1], v[8:11], off
                                        ; implicit-def: $vgpr1_vgpr2
                                        ; implicit-def: $vgpr8_vgpr9
.LBB115_21:
	s_and_not1_saveexec_b32 s2, s2
	s_cbranch_execz .LBB115_23
; %bb.22:
	v_lshlrev_b32_e32 v10, 1, v5
	s_delay_alu instid0(VALU_DEP_4) | instskip(NEXT) | instid1(VALU_DEP_4)
	v_mul_f64 v[8:9], v[1:2], v[8:9]
	v_mul_f64 v[5:6], v[1:2], v[6:7]
	s_delay_alu instid0(VALU_DEP_3) | instskip(NEXT) | instid1(VALU_DEP_1)
	v_ashrrev_i32_e32 v11, 31, v10
	v_lshlrev_b64 v[10:11], 3, v[10:11]
	s_waitcnt lgkmcnt(0)
	s_delay_alu instid0(VALU_DEP_1) | instskip(NEXT) | instid1(VALU_DEP_2)
	v_add_co_u32 v14, vcc_lo, s0, v10
	v_add_co_ci_u32_e32 v15, vcc_lo, s1, v11, vcc_lo
	global_load_b128 v[10:13], v[14:15], off
	s_waitcnt vmcnt(0)
	v_fma_f64 v[0:1], v[3:4], v[10:11], v[8:9]
	v_fma_f64 v[2:3], v[3:4], v[12:13], v[5:6]
	global_store_b128 v[14:15], v[0:3], off
.LBB115_23:
	s_nop 0
	s_sendmsg sendmsg(MSG_DEALLOC_VGPRS)
	s_endpgm
	.section	.rodata,"a",@progbits
	.p2align	6, 0x0
	.amdhsa_kernel _ZN9rocsparseL19gebsrmvn_2xn_kernelILj128ELj9ELj64EdEEvi20rocsparse_direction_NS_24const_host_device_scalarIT2_EEPKiS6_PKS3_S8_S4_PS3_21rocsparse_index_base_b
		.amdhsa_group_segment_fixed_size 0
		.amdhsa_private_segment_fixed_size 0
		.amdhsa_kernarg_size 72
		.amdhsa_user_sgpr_count 15
		.amdhsa_user_sgpr_dispatch_ptr 0
		.amdhsa_user_sgpr_queue_ptr 0
		.amdhsa_user_sgpr_kernarg_segment_ptr 1
		.amdhsa_user_sgpr_dispatch_id 0
		.amdhsa_user_sgpr_private_segment_size 0
		.amdhsa_wavefront_size32 1
		.amdhsa_uses_dynamic_stack 0
		.amdhsa_enable_private_segment 0
		.amdhsa_system_sgpr_workgroup_id_x 1
		.amdhsa_system_sgpr_workgroup_id_y 0
		.amdhsa_system_sgpr_workgroup_id_z 0
		.amdhsa_system_sgpr_workgroup_info 0
		.amdhsa_system_vgpr_workitem_id 0
		.amdhsa_next_free_vgpr 72
		.amdhsa_next_free_sgpr 16
		.amdhsa_reserve_vcc 1
		.amdhsa_float_round_mode_32 0
		.amdhsa_float_round_mode_16_64 0
		.amdhsa_float_denorm_mode_32 3
		.amdhsa_float_denorm_mode_16_64 3
		.amdhsa_dx10_clamp 1
		.amdhsa_ieee_mode 1
		.amdhsa_fp16_overflow 0
		.amdhsa_workgroup_processor_mode 1
		.amdhsa_memory_ordered 1
		.amdhsa_forward_progress 0
		.amdhsa_shared_vgpr_count 0
		.amdhsa_exception_fp_ieee_invalid_op 0
		.amdhsa_exception_fp_denorm_src 0
		.amdhsa_exception_fp_ieee_div_zero 0
		.amdhsa_exception_fp_ieee_overflow 0
		.amdhsa_exception_fp_ieee_underflow 0
		.amdhsa_exception_fp_ieee_inexact 0
		.amdhsa_exception_int_div_zero 0
	.end_amdhsa_kernel
	.section	.text._ZN9rocsparseL19gebsrmvn_2xn_kernelILj128ELj9ELj64EdEEvi20rocsparse_direction_NS_24const_host_device_scalarIT2_EEPKiS6_PKS3_S8_S4_PS3_21rocsparse_index_base_b,"axG",@progbits,_ZN9rocsparseL19gebsrmvn_2xn_kernelILj128ELj9ELj64EdEEvi20rocsparse_direction_NS_24const_host_device_scalarIT2_EEPKiS6_PKS3_S8_S4_PS3_21rocsparse_index_base_b,comdat
.Lfunc_end115:
	.size	_ZN9rocsparseL19gebsrmvn_2xn_kernelILj128ELj9ELj64EdEEvi20rocsparse_direction_NS_24const_host_device_scalarIT2_EEPKiS6_PKS3_S8_S4_PS3_21rocsparse_index_base_b, .Lfunc_end115-_ZN9rocsparseL19gebsrmvn_2xn_kernelILj128ELj9ELj64EdEEvi20rocsparse_direction_NS_24const_host_device_scalarIT2_EEPKiS6_PKS3_S8_S4_PS3_21rocsparse_index_base_b
                                        ; -- End function
	.section	.AMDGPU.csdata,"",@progbits
; Kernel info:
; codeLenInByte = 3332
; NumSgprs: 18
; NumVgprs: 72
; ScratchSize: 0
; MemoryBound: 0
; FloatMode: 240
; IeeeMode: 1
; LDSByteSize: 0 bytes/workgroup (compile time only)
; SGPRBlocks: 2
; VGPRBlocks: 8
; NumSGPRsForWavesPerEU: 18
; NumVGPRsForWavesPerEU: 72
; Occupancy: 16
; WaveLimiterHint : 1
; COMPUTE_PGM_RSRC2:SCRATCH_EN: 0
; COMPUTE_PGM_RSRC2:USER_SGPR: 15
; COMPUTE_PGM_RSRC2:TRAP_HANDLER: 0
; COMPUTE_PGM_RSRC2:TGID_X_EN: 1
; COMPUTE_PGM_RSRC2:TGID_Y_EN: 0
; COMPUTE_PGM_RSRC2:TGID_Z_EN: 0
; COMPUTE_PGM_RSRC2:TIDIG_COMP_CNT: 0
	.section	.text._ZN9rocsparseL19gebsrmvn_2xn_kernelILj128ELj10ELj4EdEEvi20rocsparse_direction_NS_24const_host_device_scalarIT2_EEPKiS6_PKS3_S8_S4_PS3_21rocsparse_index_base_b,"axG",@progbits,_ZN9rocsparseL19gebsrmvn_2xn_kernelILj128ELj10ELj4EdEEvi20rocsparse_direction_NS_24const_host_device_scalarIT2_EEPKiS6_PKS3_S8_S4_PS3_21rocsparse_index_base_b,comdat
	.globl	_ZN9rocsparseL19gebsrmvn_2xn_kernelILj128ELj10ELj4EdEEvi20rocsparse_direction_NS_24const_host_device_scalarIT2_EEPKiS6_PKS3_S8_S4_PS3_21rocsparse_index_base_b ; -- Begin function _ZN9rocsparseL19gebsrmvn_2xn_kernelILj128ELj10ELj4EdEEvi20rocsparse_direction_NS_24const_host_device_scalarIT2_EEPKiS6_PKS3_S8_S4_PS3_21rocsparse_index_base_b
	.p2align	8
	.type	_ZN9rocsparseL19gebsrmvn_2xn_kernelILj128ELj10ELj4EdEEvi20rocsparse_direction_NS_24const_host_device_scalarIT2_EEPKiS6_PKS3_S8_S4_PS3_21rocsparse_index_base_b,@function
_ZN9rocsparseL19gebsrmvn_2xn_kernelILj128ELj10ELj4EdEEvi20rocsparse_direction_NS_24const_host_device_scalarIT2_EEPKiS6_PKS3_S8_S4_PS3_21rocsparse_index_base_b: ; @_ZN9rocsparseL19gebsrmvn_2xn_kernelILj128ELj10ELj4EdEEvi20rocsparse_direction_NS_24const_host_device_scalarIT2_EEPKiS6_PKS3_S8_S4_PS3_21rocsparse_index_base_b
; %bb.0:
	s_clause 0x2
	s_load_b64 s[12:13], s[0:1], 0x40
	s_load_b64 s[4:5], s[0:1], 0x8
	;; [unrolled: 1-line block ×3, first 2 shown]
	s_waitcnt lgkmcnt(0)
	s_bitcmp1_b32 s13, 0
	v_dual_mov_b32 v1, s4 :: v_dual_mov_b32 v2, s5
	s_cselect_b32 s6, -1, 0
	s_delay_alu instid0(SALU_CYCLE_1)
	s_and_b32 vcc_lo, exec_lo, s6
	s_xor_b32 s6, s6, -1
	s_cbranch_vccnz .LBB116_2
; %bb.1:
	v_dual_mov_b32 v1, s4 :: v_dual_mov_b32 v2, s5
	flat_load_b64 v[1:2], v[1:2]
.LBB116_2:
	v_dual_mov_b32 v4, s3 :: v_dual_mov_b32 v3, s2
	s_and_not1_b32 vcc_lo, exec_lo, s6
	s_cbranch_vccnz .LBB116_4
; %bb.3:
	v_dual_mov_b32 v4, s3 :: v_dual_mov_b32 v3, s2
	flat_load_b64 v[3:4], v[3:4]
.LBB116_4:
	s_waitcnt vmcnt(0) lgkmcnt(0)
	v_cmp_neq_f64_e32 vcc_lo, 0, v[1:2]
	v_cmp_neq_f64_e64 s2, 1.0, v[3:4]
	s_delay_alu instid0(VALU_DEP_1) | instskip(NEXT) | instid1(SALU_CYCLE_1)
	s_or_b32 s2, vcc_lo, s2
	s_and_saveexec_b32 s3, s2
	s_cbranch_execz .LBB116_23
; %bb.5:
	s_load_b64 s[2:3], s[0:1], 0x0
	v_lshrrev_b32_e32 v5, 2, v0
	s_delay_alu instid0(VALU_DEP_1) | instskip(SKIP_1) | instid1(VALU_DEP_1)
	v_lshl_or_b32 v5, s15, 5, v5
	s_waitcnt lgkmcnt(0)
	v_cmp_gt_i32_e32 vcc_lo, s2, v5
	s_and_b32 exec_lo, exec_lo, vcc_lo
	s_cbranch_execz .LBB116_23
; %bb.6:
	s_load_b256 s[4:11], s[0:1], 0x10
	v_ashrrev_i32_e32 v6, 31, v5
	v_and_b32_e32 v0, 3, v0
	s_cmp_lg_u32 s3, 0
	s_delay_alu instid0(VALU_DEP_2) | instskip(SKIP_1) | instid1(VALU_DEP_1)
	v_lshlrev_b64 v[6:7], 2, v[5:6]
	s_waitcnt lgkmcnt(0)
	v_add_co_u32 v6, vcc_lo, s4, v6
	s_delay_alu instid0(VALU_DEP_2) | instskip(SKIP_4) | instid1(VALU_DEP_2)
	v_add_co_ci_u32_e32 v7, vcc_lo, s5, v7, vcc_lo
	global_load_b64 v[6:7], v[6:7], off
	s_waitcnt vmcnt(0)
	v_subrev_nc_u32_e32 v6, s12, v6
	v_subrev_nc_u32_e32 v17, s12, v7
	v_add_nc_u32_e32 v6, v6, v0
	s_delay_alu instid0(VALU_DEP_1)
	v_cmp_lt_i32_e64 s2, v6, v17
	s_cbranch_scc0 .LBB116_12
; %bb.7:
	v_mov_b32_e32 v8, 0
	v_mov_b32_e32 v9, 0
	s_delay_alu instid0(VALU_DEP_1)
	v_dual_mov_b32 v11, v9 :: v_dual_mov_b32 v10, v8
	s_and_saveexec_b32 s3, s2
	s_cbranch_execz .LBB116_11
; %bb.8:
	v_dual_mov_b32 v8, 0 :: v_dual_mov_b32 v15, v6
	v_dual_mov_b32 v9, 0 :: v_dual_mov_b32 v14, 0
	v_mad_u64_u32 v[12:13], null, v6, 20, 18
	s_mov_b32 s4, 0
	s_delay_alu instid0(VALU_DEP_2)
	v_dual_mov_b32 v11, v9 :: v_dual_mov_b32 v10, v8
.LBB116_9:                              ; =>This Inner Loop Header: Depth=1
	v_ashrrev_i32_e32 v16, 31, v15
	s_delay_alu instid0(VALU_DEP_3) | instskip(SKIP_1) | instid1(VALU_DEP_3)
	v_subrev_nc_u32_e32 v13, 18, v12
	v_mov_b32_e32 v67, v14
	v_lshlrev_b64 v[18:19], 2, v[15:16]
	v_add_nc_u32_e32 v15, 4, v15
	s_delay_alu instid0(VALU_DEP_2) | instskip(NEXT) | instid1(VALU_DEP_3)
	v_add_co_u32 v18, vcc_lo, s6, v18
	v_add_co_ci_u32_e32 v19, vcc_lo, s7, v19, vcc_lo
	global_load_b32 v7, v[18:19], off
	v_lshlrev_b64 v[18:19], 3, v[13:14]
	v_add_nc_u32_e32 v13, -14, v12
	s_delay_alu instid0(VALU_DEP_1) | instskip(NEXT) | instid1(VALU_DEP_3)
	v_lshlrev_b64 v[30:31], 3, v[13:14]
	v_add_co_u32 v22, vcc_lo, s8, v18
	s_delay_alu instid0(VALU_DEP_4) | instskip(SKIP_2) | instid1(VALU_DEP_1)
	v_add_co_ci_u32_e32 v23, vcc_lo, s9, v19, vcc_lo
	s_waitcnt vmcnt(0)
	v_subrev_nc_u32_e32 v7, s12, v7
	v_mul_lo_u32 v66, v7, 10
	s_delay_alu instid0(VALU_DEP_1) | instskip(SKIP_1) | instid1(VALU_DEP_1)
	v_lshlrev_b64 v[20:21], 3, v[66:67]
	v_add_nc_u32_e32 v13, 2, v66
	v_lshlrev_b64 v[32:33], 3, v[13:14]
	s_delay_alu instid0(VALU_DEP_3) | instskip(NEXT) | instid1(VALU_DEP_4)
	v_add_co_u32 v26, vcc_lo, s10, v20
	v_add_co_ci_u32_e32 v27, vcc_lo, s11, v21, vcc_lo
	s_clause 0x1
	global_load_b128 v[18:21], v[22:23], off offset:16
	global_load_b128 v[22:25], v[22:23], off
	global_load_b128 v[26:29], v[26:27], off
	v_add_co_u32 v30, vcc_lo, s8, v30
	v_add_co_ci_u32_e32 v31, vcc_lo, s9, v31, vcc_lo
	v_add_co_u32 v34, vcc_lo, s10, v32
	v_add_co_ci_u32_e32 v35, vcc_lo, s11, v33, vcc_lo
	global_load_b128 v[30:33], v[30:31], off
	global_load_b128 v[34:37], v[34:35], off
	v_add_nc_u32_e32 v13, -12, v12
	s_delay_alu instid0(VALU_DEP_1) | instskip(SKIP_1) | instid1(VALU_DEP_2)
	v_lshlrev_b64 v[38:39], 3, v[13:14]
	v_add_nc_u32_e32 v13, -10, v12
	v_add_co_u32 v38, vcc_lo, s8, v38
	s_delay_alu instid0(VALU_DEP_3) | instskip(NEXT) | instid1(VALU_DEP_3)
	v_add_co_ci_u32_e32 v39, vcc_lo, s9, v39, vcc_lo
	v_lshlrev_b64 v[42:43], 3, v[13:14]
	v_add_nc_u32_e32 v13, 4, v66
	global_load_b128 v[38:41], v[38:39], off
	v_lshlrev_b64 v[44:45], 3, v[13:14]
	v_add_co_u32 v42, vcc_lo, s8, v42
	v_add_co_ci_u32_e32 v43, vcc_lo, s9, v43, vcc_lo
	v_add_nc_u32_e32 v13, -8, v12
	s_delay_alu instid0(VALU_DEP_4)
	v_add_co_u32 v46, vcc_lo, s10, v44
	v_add_co_ci_u32_e32 v47, vcc_lo, s11, v45, vcc_lo
	global_load_b128 v[42:45], v[42:43], off
	global_load_b128 v[46:49], v[46:47], off
	v_lshlrev_b64 v[50:51], 3, v[13:14]
	v_add_nc_u32_e32 v13, -6, v12
	s_delay_alu instid0(VALU_DEP_2) | instskip(NEXT) | instid1(VALU_DEP_3)
	v_add_co_u32 v50, vcc_lo, s8, v50
	v_add_co_ci_u32_e32 v51, vcc_lo, s9, v51, vcc_lo
	s_delay_alu instid0(VALU_DEP_3)
	v_lshlrev_b64 v[54:55], 3, v[13:14]
	v_add_nc_u32_e32 v13, 6, v66
	global_load_b128 v[50:53], v[50:51], off
	v_lshlrev_b64 v[56:57], 3, v[13:14]
	v_add_co_u32 v54, vcc_lo, s8, v54
	v_add_co_ci_u32_e32 v55, vcc_lo, s9, v55, vcc_lo
	v_add_nc_u32_e32 v13, -4, v12
	s_delay_alu instid0(VALU_DEP_4)
	v_add_co_u32 v58, vcc_lo, s10, v56
	v_add_co_ci_u32_e32 v59, vcc_lo, s11, v57, vcc_lo
	global_load_b128 v[54:57], v[54:55], off
	global_load_b128 v[58:61], v[58:59], off
	v_lshlrev_b64 v[62:63], 3, v[13:14]
	v_add_nc_u32_e32 v13, -2, v12
	s_delay_alu instid0(VALU_DEP_2) | instskip(NEXT) | instid1(VALU_DEP_3)
	v_add_co_u32 v62, vcc_lo, s8, v62
	v_add_co_ci_u32_e32 v63, vcc_lo, s9, v63, vcc_lo
	s_delay_alu instid0(VALU_DEP_3)
	v_lshlrev_b64 v[67:68], 3, v[13:14]
	v_add_nc_u32_e32 v13, 8, v66
	global_load_b128 v[62:65], v[62:63], off
	v_lshlrev_b64 v[69:70], 3, v[13:14]
	v_add_co_u32 v66, vcc_lo, s8, v67
	v_add_co_ci_u32_e32 v67, vcc_lo, s9, v68, vcc_lo
	v_mov_b32_e32 v13, v14
	s_delay_alu instid0(VALU_DEP_4)
	v_add_co_u32 v71, vcc_lo, s10, v69
	v_add_co_ci_u32_e32 v72, vcc_lo, s11, v70, vcc_lo
	global_load_b128 v[66:69], v[66:67], off
	global_load_b128 v[70:73], v[71:72], off
	s_waitcnt vmcnt(11)
	v_fma_f64 v[22:23], v[22:23], v[26:27], v[8:9]
	v_fma_f64 v[24:25], v[24:25], v[26:27], v[10:11]
	v_lshlrev_b64 v[7:8], 3, v[12:13]
	v_add_nc_u32_e32 v12, 0x50, v12
	s_delay_alu instid0(VALU_DEP_2) | instskip(NEXT) | instid1(VALU_DEP_3)
	v_add_co_u32 v7, vcc_lo, s8, v7
	v_add_co_ci_u32_e32 v8, vcc_lo, s9, v8, vcc_lo
	v_cmp_ge_i32_e32 vcc_lo, v15, v17
	global_load_b128 v[8:11], v[7:8], off
	s_or_b32 s4, vcc_lo, s4
	v_fma_f64 v[18:19], v[18:19], v[28:29], v[22:23]
	v_fma_f64 v[20:21], v[20:21], v[28:29], v[24:25]
	s_waitcnt vmcnt(10)
	s_delay_alu instid0(VALU_DEP_2) | instskip(NEXT) | instid1(VALU_DEP_2)
	v_fma_f64 v[18:19], v[30:31], v[34:35], v[18:19]
	v_fma_f64 v[20:21], v[32:33], v[34:35], v[20:21]
	s_waitcnt vmcnt(9)
	s_delay_alu instid0(VALU_DEP_2) | instskip(NEXT) | instid1(VALU_DEP_2)
	;; [unrolled: 4-line block ×8, first 2 shown]
	v_fma_f64 v[8:9], v[8:9], v[72:73], v[18:19]
	v_fma_f64 v[10:11], v[10:11], v[72:73], v[20:21]
	s_and_not1_b32 exec_lo, exec_lo, s4
	s_cbranch_execnz .LBB116_9
; %bb.10:
	s_or_b32 exec_lo, exec_lo, s4
.LBB116_11:
	s_delay_alu instid0(SALU_CYCLE_1)
	s_or_b32 exec_lo, exec_lo, s3
	s_cbranch_execz .LBB116_13
	s_branch .LBB116_18
.LBB116_12:
                                        ; implicit-def: $vgpr8_vgpr9
                                        ; implicit-def: $vgpr10_vgpr11
.LBB116_13:
	v_mov_b32_e32 v8, 0
	v_mov_b32_e32 v9, 0
	s_delay_alu instid0(VALU_DEP_1)
	v_dual_mov_b32 v11, v9 :: v_dual_mov_b32 v10, v8
	s_and_saveexec_b32 s3, s2
	s_cbranch_execz .LBB116_17
; %bb.14:
	v_mov_b32_e32 v8, 0
	v_dual_mov_b32 v9, 0 :: v_dual_mov_b32 v14, 0
	v_mad_u64_u32 v[12:13], null, v6, 20, 19
	s_mov_b32 s2, 0
	s_delay_alu instid0(VALU_DEP_2)
	v_dual_mov_b32 v11, v9 :: v_dual_mov_b32 v10, v8
.LBB116_15:                             ; =>This Inner Loop Header: Depth=1
	v_ashrrev_i32_e32 v7, 31, v6
	s_delay_alu instid0(VALU_DEP_3) | instskip(SKIP_1) | instid1(VALU_DEP_3)
	v_subrev_nc_u32_e32 v13, 19, v12
	v_mov_b32_e32 v43, v14
	v_lshlrev_b64 v[15:16], 2, v[6:7]
	v_add_nc_u32_e32 v6, 4, v6
	s_delay_alu instid0(VALU_DEP_4) | instskip(SKIP_1) | instid1(VALU_DEP_4)
	v_lshlrev_b64 v[18:19], 3, v[13:14]
	v_add_nc_u32_e32 v13, -8, v12
	v_add_co_u32 v15, vcc_lo, s6, v15
	v_add_co_ci_u32_e32 v16, vcc_lo, s7, v16, vcc_lo
	s_delay_alu instid0(VALU_DEP_4) | instskip(SKIP_4) | instid1(VALU_DEP_2)
	v_add_co_u32 v22, vcc_lo, s8, v18
	v_add_co_ci_u32_e32 v23, vcc_lo, s9, v19, vcc_lo
	global_load_b32 v7, v[15:16], off
	v_dual_mov_b32 v16, v14 :: v_dual_add_nc_u32 v15, -9, v12
	v_lshlrev_b64 v[30:31], 3, v[13:14]
	v_lshlrev_b64 v[15:16], 3, v[15:16]
	s_delay_alu instid0(VALU_DEP_1) | instskip(NEXT) | instid1(VALU_DEP_2)
	v_add_co_u32 v15, vcc_lo, s8, v15
	v_add_co_ci_u32_e32 v16, vcc_lo, s9, v16, vcc_lo
	s_waitcnt vmcnt(0)
	v_subrev_nc_u32_e32 v7, s12, v7
	s_delay_alu instid0(VALU_DEP_1) | instskip(NEXT) | instid1(VALU_DEP_1)
	v_mul_lo_u32 v42, v7, 10
	v_lshlrev_b64 v[18:19], 3, v[42:43]
	v_add_nc_u32_e32 v13, 2, v42
	s_delay_alu instid0(VALU_DEP_2) | instskip(NEXT) | instid1(VALU_DEP_3)
	v_add_co_u32 v26, vcc_lo, s10, v18
	v_add_co_ci_u32_e32 v27, vcc_lo, s11, v19, vcc_lo
	s_clause 0x2
	global_load_b128 v[18:21], v[22:23], off offset:16
	global_load_b128 v[22:25], v[22:23], off
	global_load_b64 v[15:16], v[15:16], off
	global_load_b128 v[26:29], v[26:27], off
	v_add_co_u32 v30, vcc_lo, s8, v30
	v_add_co_ci_u32_e32 v31, vcc_lo, s9, v31, vcc_lo
	global_load_b64 v[46:47], v[30:31], off
	v_lshlrev_b64 v[30:31], 3, v[13:14]
	v_add_nc_u32_e32 v13, -7, v12
	s_delay_alu instid0(VALU_DEP_1) | instskip(NEXT) | instid1(VALU_DEP_3)
	v_lshlrev_b64 v[32:33], 3, v[13:14]
	v_add_co_u32 v30, vcc_lo, s10, v30
	s_delay_alu instid0(VALU_DEP_4) | instskip(SKIP_1) | instid1(VALU_DEP_4)
	v_add_co_ci_u32_e32 v31, vcc_lo, s11, v31, vcc_lo
	v_add_nc_u32_e32 v13, -6, v12
	v_add_co_u32 v34, vcc_lo, s8, v32
	v_add_co_ci_u32_e32 v35, vcc_lo, s9, v33, vcc_lo
	global_load_b128 v[30:33], v[30:31], off
	global_load_b64 v[48:49], v[34:35], off
	v_lshlrev_b64 v[34:35], 3, v[13:14]
	v_add_nc_u32_e32 v13, -15, v12
	s_delay_alu instid0(VALU_DEP_2) | instskip(NEXT) | instid1(VALU_DEP_3)
	v_add_co_u32 v34, vcc_lo, s8, v34
	v_add_co_ci_u32_e32 v35, vcc_lo, s9, v35, vcc_lo
	global_load_b64 v[50:51], v[34:35], off
	v_lshlrev_b64 v[34:35], 3, v[13:14]
	v_add_nc_u32_e32 v13, 4, v42
	s_delay_alu instid0(VALU_DEP_1) | instskip(SKIP_1) | instid1(VALU_DEP_4)
	v_lshlrev_b64 v[36:37], 3, v[13:14]
	v_add_nc_u32_e32 v13, -5, v12
	v_add_co_u32 v34, vcc_lo, s8, v34
	v_add_co_ci_u32_e32 v35, vcc_lo, s9, v35, vcc_lo
	s_delay_alu instid0(VALU_DEP_3) | instskip(SKIP_3) | instid1(VALU_DEP_4)
	v_lshlrev_b64 v[38:39], 3, v[13:14]
	v_add_co_u32 v36, vcc_lo, s10, v36
	v_add_co_ci_u32_e32 v37, vcc_lo, s11, v37, vcc_lo
	v_add_nc_u32_e32 v13, -14, v12
	v_add_co_u32 v38, vcc_lo, s8, v38
	v_add_co_ci_u32_e32 v39, vcc_lo, s9, v39, vcc_lo
	global_load_b64 v[52:53], v[34:35], off
	global_load_b128 v[34:37], v[36:37], off
	global_load_b64 v[54:55], v[38:39], off
	v_lshlrev_b64 v[38:39], 3, v[13:14]
	v_add_nc_u32_e32 v13, -4, v12
	s_delay_alu instid0(VALU_DEP_1) | instskip(NEXT) | instid1(VALU_DEP_3)
	v_lshlrev_b64 v[40:41], 3, v[13:14]
	v_add_co_u32 v38, vcc_lo, s8, v38
	s_delay_alu instid0(VALU_DEP_4) | instskip(SKIP_1) | instid1(VALU_DEP_4)
	v_add_co_ci_u32_e32 v39, vcc_lo, s9, v39, vcc_lo
	v_add_nc_u32_e32 v13, -13, v12
	v_add_co_u32 v40, vcc_lo, s8, v40
	v_add_co_ci_u32_e32 v41, vcc_lo, s9, v41, vcc_lo
	s_clause 0x1
	global_load_b64 v[56:57], v[38:39], off
	global_load_b64 v[58:59], v[40:41], off
	v_lshlrev_b64 v[38:39], 3, v[13:14]
	v_add_nc_u32_e32 v13, 6, v42
	s_delay_alu instid0(VALU_DEP_1) | instskip(SKIP_1) | instid1(VALU_DEP_4)
	v_lshlrev_b64 v[40:41], 3, v[13:14]
	v_add_nc_u32_e32 v13, -3, v12
	v_add_co_u32 v38, vcc_lo, s8, v38
	v_add_co_ci_u32_e32 v39, vcc_lo, s9, v39, vcc_lo
	s_delay_alu instid0(VALU_DEP_3) | instskip(SKIP_3) | instid1(VALU_DEP_4)
	v_lshlrev_b64 v[43:44], 3, v[13:14]
	v_add_co_u32 v40, vcc_lo, s10, v40
	v_add_co_ci_u32_e32 v41, vcc_lo, s11, v41, vcc_lo
	v_add_nc_u32_e32 v13, -12, v12
	v_add_co_u32 v43, vcc_lo, s8, v43
	v_add_co_ci_u32_e32 v44, vcc_lo, s9, v44, vcc_lo
	global_load_b64 v[60:61], v[38:39], off
	global_load_b128 v[38:41], v[40:41], off
	global_load_b64 v[62:63], v[43:44], off
	v_lshlrev_b64 v[43:44], 3, v[13:14]
	v_add_nc_u32_e32 v13, -2, v12
	s_delay_alu instid0(VALU_DEP_1) | instskip(NEXT) | instid1(VALU_DEP_3)
	v_lshlrev_b64 v[64:65], 3, v[13:14]
	v_add_co_u32 v43, vcc_lo, s8, v43
	s_delay_alu instid0(VALU_DEP_4) | instskip(SKIP_1) | instid1(VALU_DEP_4)
	v_add_co_ci_u32_e32 v44, vcc_lo, s9, v44, vcc_lo
	v_add_nc_u32_e32 v13, -11, v12
	v_add_co_u32 v64, vcc_lo, s8, v64
	v_add_co_ci_u32_e32 v65, vcc_lo, s9, v65, vcc_lo
	s_clause 0x1
	global_load_b64 v[66:67], v[43:44], off
	global_load_b64 v[64:65], v[64:65], off
	v_lshlrev_b64 v[43:44], 3, v[13:14]
	v_add_nc_u32_e32 v13, 8, v42
	s_delay_alu instid0(VALU_DEP_1) | instskip(SKIP_1) | instid1(VALU_DEP_4)
	v_lshlrev_b64 v[68:69], 3, v[13:14]
	v_add_nc_u32_e32 v13, -1, v12
	v_add_co_u32 v42, vcc_lo, s8, v43
	v_add_co_ci_u32_e32 v43, vcc_lo, s9, v44, vcc_lo
	s_delay_alu instid0(VALU_DEP_3) | instskip(SKIP_3) | instid1(VALU_DEP_4)
	v_lshlrev_b64 v[44:45], 3, v[13:14]
	v_add_co_u32 v68, vcc_lo, s10, v68
	v_add_co_ci_u32_e32 v69, vcc_lo, s11, v69, vcc_lo
	v_mov_b32_e32 v13, v14
	v_add_co_u32 v70, vcc_lo, s8, v44
	v_add_co_ci_u32_e32 v71, vcc_lo, s9, v45, vcc_lo
	global_load_b64 v[72:73], v[42:43], off
	global_load_b128 v[42:45], v[68:69], off
	global_load_b64 v[68:69], v[70:71], off
	s_waitcnt vmcnt(17)
	v_fma_f64 v[7:8], v[22:23], v[26:27], v[8:9]
	v_fma_f64 v[9:10], v[15:16], v[26:27], v[10:11]
	v_lshlrev_b64 v[15:16], 3, v[12:13]
	v_add_nc_u32_e32 v13, -10, v12
	v_add_nc_u32_e32 v12, 0x50, v12
	s_delay_alu instid0(VALU_DEP_2) | instskip(NEXT) | instid1(VALU_DEP_4)
	v_lshlrev_b64 v[22:23], 3, v[13:14]
	v_add_co_u32 v15, vcc_lo, s8, v15
	v_add_co_ci_u32_e32 v16, vcc_lo, s9, v16, vcc_lo
	s_delay_alu instid0(VALU_DEP_3) | instskip(NEXT) | instid1(VALU_DEP_4)
	v_add_co_u32 v22, vcc_lo, s8, v22
	v_add_co_ci_u32_e32 v23, vcc_lo, s9, v23, vcc_lo
	s_clause 0x1
	global_load_b64 v[22:23], v[22:23], off
	global_load_b64 v[15:16], v[15:16], off
	v_cmp_ge_i32_e32 vcc_lo, v6, v17
	s_or_b32 s2, vcc_lo, s2
	v_fma_f64 v[7:8], v[24:25], v[28:29], v[7:8]
	s_waitcnt vmcnt(18)
	v_fma_f64 v[9:10], v[46:47], v[28:29], v[9:10]
	s_waitcnt vmcnt(17)
	s_delay_alu instid0(VALU_DEP_2) | instskip(SKIP_1) | instid1(VALU_DEP_2)
	v_fma_f64 v[7:8], v[18:19], v[30:31], v[7:8]
	s_waitcnt vmcnt(16)
	v_fma_f64 v[9:10], v[48:49], v[30:31], v[9:10]
	s_delay_alu instid0(VALU_DEP_2) | instskip(SKIP_1) | instid1(VALU_DEP_2)
	v_fma_f64 v[7:8], v[20:21], v[32:33], v[7:8]
	s_waitcnt vmcnt(15)
	v_fma_f64 v[9:10], v[50:51], v[32:33], v[9:10]
	s_waitcnt vmcnt(13)
	s_delay_alu instid0(VALU_DEP_2) | instskip(SKIP_1) | instid1(VALU_DEP_2)
	v_fma_f64 v[7:8], v[52:53], v[34:35], v[7:8]
	s_waitcnt vmcnt(12)
	v_fma_f64 v[9:10], v[54:55], v[34:35], v[9:10]
	s_waitcnt vmcnt(11)
	;; [unrolled: 5-line block ×6, first 2 shown]
	s_delay_alu instid0(VALU_DEP_2) | instskip(SKIP_1) | instid1(VALU_DEP_2)
	v_fma_f64 v[8:9], v[22:23], v[44:45], v[7:8]
	s_waitcnt vmcnt(0)
	v_fma_f64 v[10:11], v[15:16], v[44:45], v[10:11]
	s_and_not1_b32 exec_lo, exec_lo, s2
	s_cbranch_execnz .LBB116_15
; %bb.16:
	s_or_b32 exec_lo, exec_lo, s2
.LBB116_17:
	s_delay_alu instid0(SALU_CYCLE_1)
	s_or_b32 exec_lo, exec_lo, s3
.LBB116_18:
	v_mbcnt_lo_u32_b32 v14, -1, 0
	s_delay_alu instid0(VALU_DEP_1) | instskip(NEXT) | instid1(VALU_DEP_1)
	v_xor_b32_e32 v6, 2, v14
	v_cmp_gt_i32_e32 vcc_lo, 32, v6
	v_cndmask_b32_e32 v6, v14, v6, vcc_lo
	s_delay_alu instid0(VALU_DEP_1)
	v_lshlrev_b32_e32 v13, 2, v6
	ds_bpermute_b32 v6, v13, v8
	ds_bpermute_b32 v7, v13, v9
	s_waitcnt lgkmcnt(0)
	v_add_f64 v[6:7], v[8:9], v[6:7]
	v_xor_b32_e32 v8, 1, v14
	s_delay_alu instid0(VALU_DEP_1)
	v_cmp_gt_i32_e32 vcc_lo, 32, v8
	v_cndmask_b32_e32 v8, v14, v8, vcc_lo
	ds_bpermute_b32 v12, v13, v10
	ds_bpermute_b32 v13, v13, v11
	v_cmp_eq_u32_e32 vcc_lo, 3, v0
	s_waitcnt lgkmcnt(0)
	v_add_f64 v[10:11], v[10:11], v[12:13]
	v_lshlrev_b32_e32 v13, 2, v8
	ds_bpermute_b32 v8, v13, v6
	ds_bpermute_b32 v9, v13, v7
	;; [unrolled: 1-line block ×4, first 2 shown]
	s_and_b32 exec_lo, exec_lo, vcc_lo
	s_cbranch_execz .LBB116_23
; %bb.19:
	s_waitcnt lgkmcnt(2)
	v_add_f64 v[8:9], v[6:7], v[8:9]
	s_waitcnt lgkmcnt(0)
	v_add_f64 v[6:7], v[10:11], v[12:13]
	s_load_b64 s[0:1], s[0:1], 0x38
	s_mov_b32 s2, exec_lo
	v_cmpx_eq_f64_e32 0, v[3:4]
	s_xor_b32 s2, exec_lo, s2
	s_cbranch_execz .LBB116_21
; %bb.20:
	s_delay_alu instid0(VALU_DEP_3) | instskip(NEXT) | instid1(VALU_DEP_3)
	v_mul_f64 v[8:9], v[1:2], v[8:9]
	v_mul_f64 v[10:11], v[1:2], v[6:7]
	v_lshlrev_b32_e32 v0, 1, v5
                                        ; implicit-def: $vgpr5
                                        ; implicit-def: $vgpr3_vgpr4
                                        ; implicit-def: $vgpr6_vgpr7
	s_delay_alu instid0(VALU_DEP_1) | instskip(NEXT) | instid1(VALU_DEP_1)
	v_ashrrev_i32_e32 v1, 31, v0
	v_lshlrev_b64 v[0:1], 3, v[0:1]
	s_waitcnt lgkmcnt(0)
	s_delay_alu instid0(VALU_DEP_1) | instskip(NEXT) | instid1(VALU_DEP_2)
	v_add_co_u32 v0, vcc_lo, s0, v0
	v_add_co_ci_u32_e32 v1, vcc_lo, s1, v1, vcc_lo
	global_store_b128 v[0:1], v[8:11], off
                                        ; implicit-def: $vgpr1_vgpr2
                                        ; implicit-def: $vgpr8_vgpr9
.LBB116_21:
	s_and_not1_saveexec_b32 s2, s2
	s_cbranch_execz .LBB116_23
; %bb.22:
	v_lshlrev_b32_e32 v10, 1, v5
	s_delay_alu instid0(VALU_DEP_4) | instskip(NEXT) | instid1(VALU_DEP_4)
	v_mul_f64 v[8:9], v[1:2], v[8:9]
	v_mul_f64 v[5:6], v[1:2], v[6:7]
	s_delay_alu instid0(VALU_DEP_3) | instskip(NEXT) | instid1(VALU_DEP_1)
	v_ashrrev_i32_e32 v11, 31, v10
	v_lshlrev_b64 v[10:11], 3, v[10:11]
	s_waitcnt lgkmcnt(0)
	s_delay_alu instid0(VALU_DEP_1) | instskip(NEXT) | instid1(VALU_DEP_2)
	v_add_co_u32 v14, vcc_lo, s0, v10
	v_add_co_ci_u32_e32 v15, vcc_lo, s1, v11, vcc_lo
	global_load_b128 v[10:13], v[14:15], off
	s_waitcnt vmcnt(0)
	v_fma_f64 v[0:1], v[3:4], v[10:11], v[8:9]
	v_fma_f64 v[2:3], v[3:4], v[12:13], v[5:6]
	global_store_b128 v[14:15], v[0:3], off
.LBB116_23:
	s_nop 0
	s_sendmsg sendmsg(MSG_DEALLOC_VGPRS)
	s_endpgm
	.section	.rodata,"a",@progbits
	.p2align	6, 0x0
	.amdhsa_kernel _ZN9rocsparseL19gebsrmvn_2xn_kernelILj128ELj10ELj4EdEEvi20rocsparse_direction_NS_24const_host_device_scalarIT2_EEPKiS6_PKS3_S8_S4_PS3_21rocsparse_index_base_b
		.amdhsa_group_segment_fixed_size 0
		.amdhsa_private_segment_fixed_size 0
		.amdhsa_kernarg_size 72
		.amdhsa_user_sgpr_count 15
		.amdhsa_user_sgpr_dispatch_ptr 0
		.amdhsa_user_sgpr_queue_ptr 0
		.amdhsa_user_sgpr_kernarg_segment_ptr 1
		.amdhsa_user_sgpr_dispatch_id 0
		.amdhsa_user_sgpr_private_segment_size 0
		.amdhsa_wavefront_size32 1
		.amdhsa_uses_dynamic_stack 0
		.amdhsa_enable_private_segment 0
		.amdhsa_system_sgpr_workgroup_id_x 1
		.amdhsa_system_sgpr_workgroup_id_y 0
		.amdhsa_system_sgpr_workgroup_id_z 0
		.amdhsa_system_sgpr_workgroup_info 0
		.amdhsa_system_vgpr_workitem_id 0
		.amdhsa_next_free_vgpr 74
		.amdhsa_next_free_sgpr 16
		.amdhsa_reserve_vcc 1
		.amdhsa_float_round_mode_32 0
		.amdhsa_float_round_mode_16_64 0
		.amdhsa_float_denorm_mode_32 3
		.amdhsa_float_denorm_mode_16_64 3
		.amdhsa_dx10_clamp 1
		.amdhsa_ieee_mode 1
		.amdhsa_fp16_overflow 0
		.amdhsa_workgroup_processor_mode 1
		.amdhsa_memory_ordered 1
		.amdhsa_forward_progress 0
		.amdhsa_shared_vgpr_count 0
		.amdhsa_exception_fp_ieee_invalid_op 0
		.amdhsa_exception_fp_denorm_src 0
		.amdhsa_exception_fp_ieee_div_zero 0
		.amdhsa_exception_fp_ieee_overflow 0
		.amdhsa_exception_fp_ieee_underflow 0
		.amdhsa_exception_fp_ieee_inexact 0
		.amdhsa_exception_int_div_zero 0
	.end_amdhsa_kernel
	.section	.text._ZN9rocsparseL19gebsrmvn_2xn_kernelILj128ELj10ELj4EdEEvi20rocsparse_direction_NS_24const_host_device_scalarIT2_EEPKiS6_PKS3_S8_S4_PS3_21rocsparse_index_base_b,"axG",@progbits,_ZN9rocsparseL19gebsrmvn_2xn_kernelILj128ELj10ELj4EdEEvi20rocsparse_direction_NS_24const_host_device_scalarIT2_EEPKiS6_PKS3_S8_S4_PS3_21rocsparse_index_base_b,comdat
.Lfunc_end116:
	.size	_ZN9rocsparseL19gebsrmvn_2xn_kernelILj128ELj10ELj4EdEEvi20rocsparse_direction_NS_24const_host_device_scalarIT2_EEPKiS6_PKS3_S8_S4_PS3_21rocsparse_index_base_b, .Lfunc_end116-_ZN9rocsparseL19gebsrmvn_2xn_kernelILj128ELj10ELj4EdEEvi20rocsparse_direction_NS_24const_host_device_scalarIT2_EEPKiS6_PKS3_S8_S4_PS3_21rocsparse_index_base_b
                                        ; -- End function
	.section	.AMDGPU.csdata,"",@progbits
; Kernel info:
; codeLenInByte = 2804
; NumSgprs: 18
; NumVgprs: 74
; ScratchSize: 0
; MemoryBound: 0
; FloatMode: 240
; IeeeMode: 1
; LDSByteSize: 0 bytes/workgroup (compile time only)
; SGPRBlocks: 2
; VGPRBlocks: 9
; NumSGPRsForWavesPerEU: 18
; NumVGPRsForWavesPerEU: 74
; Occupancy: 16
; WaveLimiterHint : 1
; COMPUTE_PGM_RSRC2:SCRATCH_EN: 0
; COMPUTE_PGM_RSRC2:USER_SGPR: 15
; COMPUTE_PGM_RSRC2:TRAP_HANDLER: 0
; COMPUTE_PGM_RSRC2:TGID_X_EN: 1
; COMPUTE_PGM_RSRC2:TGID_Y_EN: 0
; COMPUTE_PGM_RSRC2:TGID_Z_EN: 0
; COMPUTE_PGM_RSRC2:TIDIG_COMP_CNT: 0
	.section	.text._ZN9rocsparseL19gebsrmvn_2xn_kernelILj128ELj10ELj8EdEEvi20rocsparse_direction_NS_24const_host_device_scalarIT2_EEPKiS6_PKS3_S8_S4_PS3_21rocsparse_index_base_b,"axG",@progbits,_ZN9rocsparseL19gebsrmvn_2xn_kernelILj128ELj10ELj8EdEEvi20rocsparse_direction_NS_24const_host_device_scalarIT2_EEPKiS6_PKS3_S8_S4_PS3_21rocsparse_index_base_b,comdat
	.globl	_ZN9rocsparseL19gebsrmvn_2xn_kernelILj128ELj10ELj8EdEEvi20rocsparse_direction_NS_24const_host_device_scalarIT2_EEPKiS6_PKS3_S8_S4_PS3_21rocsparse_index_base_b ; -- Begin function _ZN9rocsparseL19gebsrmvn_2xn_kernelILj128ELj10ELj8EdEEvi20rocsparse_direction_NS_24const_host_device_scalarIT2_EEPKiS6_PKS3_S8_S4_PS3_21rocsparse_index_base_b
	.p2align	8
	.type	_ZN9rocsparseL19gebsrmvn_2xn_kernelILj128ELj10ELj8EdEEvi20rocsparse_direction_NS_24const_host_device_scalarIT2_EEPKiS6_PKS3_S8_S4_PS3_21rocsparse_index_base_b,@function
_ZN9rocsparseL19gebsrmvn_2xn_kernelILj128ELj10ELj8EdEEvi20rocsparse_direction_NS_24const_host_device_scalarIT2_EEPKiS6_PKS3_S8_S4_PS3_21rocsparse_index_base_b: ; @_ZN9rocsparseL19gebsrmvn_2xn_kernelILj128ELj10ELj8EdEEvi20rocsparse_direction_NS_24const_host_device_scalarIT2_EEPKiS6_PKS3_S8_S4_PS3_21rocsparse_index_base_b
; %bb.0:
	s_clause 0x2
	s_load_b64 s[12:13], s[0:1], 0x40
	s_load_b64 s[4:5], s[0:1], 0x8
	;; [unrolled: 1-line block ×3, first 2 shown]
	s_waitcnt lgkmcnt(0)
	s_bitcmp1_b32 s13, 0
	v_dual_mov_b32 v1, s4 :: v_dual_mov_b32 v2, s5
	s_cselect_b32 s6, -1, 0
	s_delay_alu instid0(SALU_CYCLE_1)
	s_and_b32 vcc_lo, exec_lo, s6
	s_xor_b32 s6, s6, -1
	s_cbranch_vccnz .LBB117_2
; %bb.1:
	v_dual_mov_b32 v1, s4 :: v_dual_mov_b32 v2, s5
	flat_load_b64 v[1:2], v[1:2]
.LBB117_2:
	v_dual_mov_b32 v4, s3 :: v_dual_mov_b32 v3, s2
	s_and_not1_b32 vcc_lo, exec_lo, s6
	s_cbranch_vccnz .LBB117_4
; %bb.3:
	v_dual_mov_b32 v4, s3 :: v_dual_mov_b32 v3, s2
	flat_load_b64 v[3:4], v[3:4]
.LBB117_4:
	s_waitcnt vmcnt(0) lgkmcnt(0)
	v_cmp_neq_f64_e32 vcc_lo, 0, v[1:2]
	v_cmp_neq_f64_e64 s2, 1.0, v[3:4]
	s_delay_alu instid0(VALU_DEP_1) | instskip(NEXT) | instid1(SALU_CYCLE_1)
	s_or_b32 s2, vcc_lo, s2
	s_and_saveexec_b32 s3, s2
	s_cbranch_execz .LBB117_23
; %bb.5:
	s_load_b64 s[2:3], s[0:1], 0x0
	v_lshrrev_b32_e32 v5, 3, v0
	s_delay_alu instid0(VALU_DEP_1) | instskip(SKIP_1) | instid1(VALU_DEP_1)
	v_lshl_or_b32 v5, s15, 4, v5
	s_waitcnt lgkmcnt(0)
	v_cmp_gt_i32_e32 vcc_lo, s2, v5
	s_and_b32 exec_lo, exec_lo, vcc_lo
	s_cbranch_execz .LBB117_23
; %bb.6:
	s_load_b256 s[4:11], s[0:1], 0x10
	v_ashrrev_i32_e32 v6, 31, v5
	v_and_b32_e32 v0, 7, v0
	s_cmp_lg_u32 s3, 0
	s_delay_alu instid0(VALU_DEP_2) | instskip(SKIP_1) | instid1(VALU_DEP_1)
	v_lshlrev_b64 v[6:7], 2, v[5:6]
	s_waitcnt lgkmcnt(0)
	v_add_co_u32 v6, vcc_lo, s4, v6
	s_delay_alu instid0(VALU_DEP_2) | instskip(SKIP_4) | instid1(VALU_DEP_2)
	v_add_co_ci_u32_e32 v7, vcc_lo, s5, v7, vcc_lo
	global_load_b64 v[6:7], v[6:7], off
	s_waitcnt vmcnt(0)
	v_subrev_nc_u32_e32 v6, s12, v6
	v_subrev_nc_u32_e32 v17, s12, v7
	v_add_nc_u32_e32 v6, v6, v0
	s_delay_alu instid0(VALU_DEP_1)
	v_cmp_lt_i32_e64 s2, v6, v17
	s_cbranch_scc0 .LBB117_12
; %bb.7:
	v_mov_b32_e32 v8, 0
	v_mov_b32_e32 v9, 0
	s_delay_alu instid0(VALU_DEP_1)
	v_dual_mov_b32 v11, v9 :: v_dual_mov_b32 v10, v8
	s_and_saveexec_b32 s3, s2
	s_cbranch_execz .LBB117_11
; %bb.8:
	v_dual_mov_b32 v8, 0 :: v_dual_mov_b32 v15, v6
	v_dual_mov_b32 v9, 0 :: v_dual_mov_b32 v14, 0
	v_mad_u64_u32 v[12:13], null, v6, 20, 18
	s_mov_b32 s4, 0
	s_delay_alu instid0(VALU_DEP_2)
	v_dual_mov_b32 v11, v9 :: v_dual_mov_b32 v10, v8
.LBB117_9:                              ; =>This Inner Loop Header: Depth=1
	v_ashrrev_i32_e32 v16, 31, v15
	s_delay_alu instid0(VALU_DEP_3) | instskip(SKIP_1) | instid1(VALU_DEP_3)
	v_subrev_nc_u32_e32 v13, 18, v12
	v_mov_b32_e32 v67, v14
	v_lshlrev_b64 v[18:19], 2, v[15:16]
	v_add_nc_u32_e32 v15, 8, v15
	s_delay_alu instid0(VALU_DEP_2) | instskip(NEXT) | instid1(VALU_DEP_3)
	v_add_co_u32 v18, vcc_lo, s6, v18
	v_add_co_ci_u32_e32 v19, vcc_lo, s7, v19, vcc_lo
	global_load_b32 v7, v[18:19], off
	v_lshlrev_b64 v[18:19], 3, v[13:14]
	v_add_nc_u32_e32 v13, -14, v12
	s_delay_alu instid0(VALU_DEP_1) | instskip(NEXT) | instid1(VALU_DEP_3)
	v_lshlrev_b64 v[30:31], 3, v[13:14]
	v_add_co_u32 v22, vcc_lo, s8, v18
	s_delay_alu instid0(VALU_DEP_4) | instskip(SKIP_2) | instid1(VALU_DEP_1)
	v_add_co_ci_u32_e32 v23, vcc_lo, s9, v19, vcc_lo
	s_waitcnt vmcnt(0)
	v_subrev_nc_u32_e32 v7, s12, v7
	v_mul_lo_u32 v66, v7, 10
	s_delay_alu instid0(VALU_DEP_1) | instskip(SKIP_1) | instid1(VALU_DEP_1)
	v_lshlrev_b64 v[20:21], 3, v[66:67]
	v_add_nc_u32_e32 v13, 2, v66
	v_lshlrev_b64 v[32:33], 3, v[13:14]
	s_delay_alu instid0(VALU_DEP_3) | instskip(NEXT) | instid1(VALU_DEP_4)
	v_add_co_u32 v26, vcc_lo, s10, v20
	v_add_co_ci_u32_e32 v27, vcc_lo, s11, v21, vcc_lo
	s_clause 0x1
	global_load_b128 v[18:21], v[22:23], off offset:16
	global_load_b128 v[22:25], v[22:23], off
	global_load_b128 v[26:29], v[26:27], off
	v_add_co_u32 v30, vcc_lo, s8, v30
	v_add_co_ci_u32_e32 v31, vcc_lo, s9, v31, vcc_lo
	v_add_co_u32 v34, vcc_lo, s10, v32
	v_add_co_ci_u32_e32 v35, vcc_lo, s11, v33, vcc_lo
	global_load_b128 v[30:33], v[30:31], off
	global_load_b128 v[34:37], v[34:35], off
	v_add_nc_u32_e32 v13, -12, v12
	s_delay_alu instid0(VALU_DEP_1) | instskip(SKIP_1) | instid1(VALU_DEP_2)
	v_lshlrev_b64 v[38:39], 3, v[13:14]
	v_add_nc_u32_e32 v13, -10, v12
	v_add_co_u32 v38, vcc_lo, s8, v38
	s_delay_alu instid0(VALU_DEP_3) | instskip(NEXT) | instid1(VALU_DEP_3)
	v_add_co_ci_u32_e32 v39, vcc_lo, s9, v39, vcc_lo
	v_lshlrev_b64 v[42:43], 3, v[13:14]
	v_add_nc_u32_e32 v13, 4, v66
	global_load_b128 v[38:41], v[38:39], off
	v_lshlrev_b64 v[44:45], 3, v[13:14]
	v_add_co_u32 v42, vcc_lo, s8, v42
	v_add_co_ci_u32_e32 v43, vcc_lo, s9, v43, vcc_lo
	v_add_nc_u32_e32 v13, -8, v12
	s_delay_alu instid0(VALU_DEP_4)
	v_add_co_u32 v46, vcc_lo, s10, v44
	v_add_co_ci_u32_e32 v47, vcc_lo, s11, v45, vcc_lo
	global_load_b128 v[42:45], v[42:43], off
	global_load_b128 v[46:49], v[46:47], off
	v_lshlrev_b64 v[50:51], 3, v[13:14]
	v_add_nc_u32_e32 v13, -6, v12
	s_delay_alu instid0(VALU_DEP_2) | instskip(NEXT) | instid1(VALU_DEP_3)
	v_add_co_u32 v50, vcc_lo, s8, v50
	v_add_co_ci_u32_e32 v51, vcc_lo, s9, v51, vcc_lo
	s_delay_alu instid0(VALU_DEP_3)
	v_lshlrev_b64 v[54:55], 3, v[13:14]
	v_add_nc_u32_e32 v13, 6, v66
	global_load_b128 v[50:53], v[50:51], off
	v_lshlrev_b64 v[56:57], 3, v[13:14]
	v_add_co_u32 v54, vcc_lo, s8, v54
	v_add_co_ci_u32_e32 v55, vcc_lo, s9, v55, vcc_lo
	v_add_nc_u32_e32 v13, -4, v12
	s_delay_alu instid0(VALU_DEP_4)
	v_add_co_u32 v58, vcc_lo, s10, v56
	v_add_co_ci_u32_e32 v59, vcc_lo, s11, v57, vcc_lo
	global_load_b128 v[54:57], v[54:55], off
	global_load_b128 v[58:61], v[58:59], off
	v_lshlrev_b64 v[62:63], 3, v[13:14]
	v_add_nc_u32_e32 v13, -2, v12
	s_delay_alu instid0(VALU_DEP_2) | instskip(NEXT) | instid1(VALU_DEP_3)
	v_add_co_u32 v62, vcc_lo, s8, v62
	v_add_co_ci_u32_e32 v63, vcc_lo, s9, v63, vcc_lo
	s_delay_alu instid0(VALU_DEP_3)
	v_lshlrev_b64 v[67:68], 3, v[13:14]
	v_add_nc_u32_e32 v13, 8, v66
	global_load_b128 v[62:65], v[62:63], off
	v_lshlrev_b64 v[69:70], 3, v[13:14]
	v_add_co_u32 v66, vcc_lo, s8, v67
	v_add_co_ci_u32_e32 v67, vcc_lo, s9, v68, vcc_lo
	v_mov_b32_e32 v13, v14
	s_delay_alu instid0(VALU_DEP_4)
	v_add_co_u32 v71, vcc_lo, s10, v69
	v_add_co_ci_u32_e32 v72, vcc_lo, s11, v70, vcc_lo
	global_load_b128 v[66:69], v[66:67], off
	global_load_b128 v[70:73], v[71:72], off
	s_waitcnt vmcnt(11)
	v_fma_f64 v[22:23], v[22:23], v[26:27], v[8:9]
	v_fma_f64 v[24:25], v[24:25], v[26:27], v[10:11]
	v_lshlrev_b64 v[7:8], 3, v[12:13]
	v_add_nc_u32_e32 v12, 0xa0, v12
	s_delay_alu instid0(VALU_DEP_2) | instskip(NEXT) | instid1(VALU_DEP_3)
	v_add_co_u32 v7, vcc_lo, s8, v7
	v_add_co_ci_u32_e32 v8, vcc_lo, s9, v8, vcc_lo
	v_cmp_ge_i32_e32 vcc_lo, v15, v17
	global_load_b128 v[8:11], v[7:8], off
	s_or_b32 s4, vcc_lo, s4
	v_fma_f64 v[18:19], v[18:19], v[28:29], v[22:23]
	v_fma_f64 v[20:21], v[20:21], v[28:29], v[24:25]
	s_waitcnt vmcnt(10)
	s_delay_alu instid0(VALU_DEP_2) | instskip(NEXT) | instid1(VALU_DEP_2)
	v_fma_f64 v[18:19], v[30:31], v[34:35], v[18:19]
	v_fma_f64 v[20:21], v[32:33], v[34:35], v[20:21]
	s_waitcnt vmcnt(9)
	s_delay_alu instid0(VALU_DEP_2) | instskip(NEXT) | instid1(VALU_DEP_2)
	;; [unrolled: 4-line block ×8, first 2 shown]
	v_fma_f64 v[8:9], v[8:9], v[72:73], v[18:19]
	v_fma_f64 v[10:11], v[10:11], v[72:73], v[20:21]
	s_and_not1_b32 exec_lo, exec_lo, s4
	s_cbranch_execnz .LBB117_9
; %bb.10:
	s_or_b32 exec_lo, exec_lo, s4
.LBB117_11:
	s_delay_alu instid0(SALU_CYCLE_1)
	s_or_b32 exec_lo, exec_lo, s3
	s_cbranch_execz .LBB117_13
	s_branch .LBB117_18
.LBB117_12:
                                        ; implicit-def: $vgpr8_vgpr9
                                        ; implicit-def: $vgpr10_vgpr11
.LBB117_13:
	v_mov_b32_e32 v8, 0
	v_mov_b32_e32 v9, 0
	s_delay_alu instid0(VALU_DEP_1)
	v_dual_mov_b32 v11, v9 :: v_dual_mov_b32 v10, v8
	s_and_saveexec_b32 s3, s2
	s_cbranch_execz .LBB117_17
; %bb.14:
	v_mov_b32_e32 v8, 0
	v_dual_mov_b32 v9, 0 :: v_dual_mov_b32 v14, 0
	v_mad_u64_u32 v[12:13], null, v6, 20, 19
	s_mov_b32 s2, 0
	s_delay_alu instid0(VALU_DEP_2)
	v_dual_mov_b32 v11, v9 :: v_dual_mov_b32 v10, v8
.LBB117_15:                             ; =>This Inner Loop Header: Depth=1
	v_ashrrev_i32_e32 v7, 31, v6
	s_delay_alu instid0(VALU_DEP_3) | instskip(SKIP_1) | instid1(VALU_DEP_3)
	v_subrev_nc_u32_e32 v13, 19, v12
	v_mov_b32_e32 v43, v14
	v_lshlrev_b64 v[15:16], 2, v[6:7]
	v_add_nc_u32_e32 v6, 8, v6
	s_delay_alu instid0(VALU_DEP_4) | instskip(SKIP_1) | instid1(VALU_DEP_4)
	v_lshlrev_b64 v[18:19], 3, v[13:14]
	v_add_nc_u32_e32 v13, -8, v12
	v_add_co_u32 v15, vcc_lo, s6, v15
	v_add_co_ci_u32_e32 v16, vcc_lo, s7, v16, vcc_lo
	s_delay_alu instid0(VALU_DEP_4) | instskip(SKIP_4) | instid1(VALU_DEP_2)
	v_add_co_u32 v22, vcc_lo, s8, v18
	v_add_co_ci_u32_e32 v23, vcc_lo, s9, v19, vcc_lo
	global_load_b32 v7, v[15:16], off
	v_dual_mov_b32 v16, v14 :: v_dual_add_nc_u32 v15, -9, v12
	v_lshlrev_b64 v[30:31], 3, v[13:14]
	v_lshlrev_b64 v[15:16], 3, v[15:16]
	s_delay_alu instid0(VALU_DEP_1) | instskip(NEXT) | instid1(VALU_DEP_2)
	v_add_co_u32 v15, vcc_lo, s8, v15
	v_add_co_ci_u32_e32 v16, vcc_lo, s9, v16, vcc_lo
	s_waitcnt vmcnt(0)
	v_subrev_nc_u32_e32 v7, s12, v7
	s_delay_alu instid0(VALU_DEP_1) | instskip(NEXT) | instid1(VALU_DEP_1)
	v_mul_lo_u32 v42, v7, 10
	v_lshlrev_b64 v[18:19], 3, v[42:43]
	v_add_nc_u32_e32 v13, 2, v42
	s_delay_alu instid0(VALU_DEP_2) | instskip(NEXT) | instid1(VALU_DEP_3)
	v_add_co_u32 v26, vcc_lo, s10, v18
	v_add_co_ci_u32_e32 v27, vcc_lo, s11, v19, vcc_lo
	s_clause 0x2
	global_load_b128 v[18:21], v[22:23], off offset:16
	global_load_b128 v[22:25], v[22:23], off
	global_load_b64 v[15:16], v[15:16], off
	global_load_b128 v[26:29], v[26:27], off
	v_add_co_u32 v30, vcc_lo, s8, v30
	v_add_co_ci_u32_e32 v31, vcc_lo, s9, v31, vcc_lo
	global_load_b64 v[46:47], v[30:31], off
	v_lshlrev_b64 v[30:31], 3, v[13:14]
	v_add_nc_u32_e32 v13, -7, v12
	s_delay_alu instid0(VALU_DEP_1) | instskip(NEXT) | instid1(VALU_DEP_3)
	v_lshlrev_b64 v[32:33], 3, v[13:14]
	v_add_co_u32 v30, vcc_lo, s10, v30
	s_delay_alu instid0(VALU_DEP_4) | instskip(SKIP_1) | instid1(VALU_DEP_4)
	v_add_co_ci_u32_e32 v31, vcc_lo, s11, v31, vcc_lo
	v_add_nc_u32_e32 v13, -6, v12
	v_add_co_u32 v34, vcc_lo, s8, v32
	v_add_co_ci_u32_e32 v35, vcc_lo, s9, v33, vcc_lo
	global_load_b128 v[30:33], v[30:31], off
	global_load_b64 v[48:49], v[34:35], off
	v_lshlrev_b64 v[34:35], 3, v[13:14]
	v_add_nc_u32_e32 v13, -15, v12
	s_delay_alu instid0(VALU_DEP_2) | instskip(NEXT) | instid1(VALU_DEP_3)
	v_add_co_u32 v34, vcc_lo, s8, v34
	v_add_co_ci_u32_e32 v35, vcc_lo, s9, v35, vcc_lo
	global_load_b64 v[50:51], v[34:35], off
	v_lshlrev_b64 v[34:35], 3, v[13:14]
	v_add_nc_u32_e32 v13, 4, v42
	s_delay_alu instid0(VALU_DEP_1) | instskip(SKIP_1) | instid1(VALU_DEP_4)
	v_lshlrev_b64 v[36:37], 3, v[13:14]
	v_add_nc_u32_e32 v13, -5, v12
	v_add_co_u32 v34, vcc_lo, s8, v34
	v_add_co_ci_u32_e32 v35, vcc_lo, s9, v35, vcc_lo
	s_delay_alu instid0(VALU_DEP_3) | instskip(SKIP_3) | instid1(VALU_DEP_4)
	v_lshlrev_b64 v[38:39], 3, v[13:14]
	v_add_co_u32 v36, vcc_lo, s10, v36
	v_add_co_ci_u32_e32 v37, vcc_lo, s11, v37, vcc_lo
	v_add_nc_u32_e32 v13, -14, v12
	v_add_co_u32 v38, vcc_lo, s8, v38
	v_add_co_ci_u32_e32 v39, vcc_lo, s9, v39, vcc_lo
	global_load_b64 v[52:53], v[34:35], off
	global_load_b128 v[34:37], v[36:37], off
	global_load_b64 v[54:55], v[38:39], off
	v_lshlrev_b64 v[38:39], 3, v[13:14]
	v_add_nc_u32_e32 v13, -4, v12
	s_delay_alu instid0(VALU_DEP_1) | instskip(NEXT) | instid1(VALU_DEP_3)
	v_lshlrev_b64 v[40:41], 3, v[13:14]
	v_add_co_u32 v38, vcc_lo, s8, v38
	s_delay_alu instid0(VALU_DEP_4) | instskip(SKIP_1) | instid1(VALU_DEP_4)
	v_add_co_ci_u32_e32 v39, vcc_lo, s9, v39, vcc_lo
	v_add_nc_u32_e32 v13, -13, v12
	v_add_co_u32 v40, vcc_lo, s8, v40
	v_add_co_ci_u32_e32 v41, vcc_lo, s9, v41, vcc_lo
	s_clause 0x1
	global_load_b64 v[56:57], v[38:39], off
	global_load_b64 v[58:59], v[40:41], off
	v_lshlrev_b64 v[38:39], 3, v[13:14]
	v_add_nc_u32_e32 v13, 6, v42
	s_delay_alu instid0(VALU_DEP_1) | instskip(SKIP_1) | instid1(VALU_DEP_4)
	v_lshlrev_b64 v[40:41], 3, v[13:14]
	v_add_nc_u32_e32 v13, -3, v12
	v_add_co_u32 v38, vcc_lo, s8, v38
	v_add_co_ci_u32_e32 v39, vcc_lo, s9, v39, vcc_lo
	s_delay_alu instid0(VALU_DEP_3) | instskip(SKIP_3) | instid1(VALU_DEP_4)
	v_lshlrev_b64 v[43:44], 3, v[13:14]
	v_add_co_u32 v40, vcc_lo, s10, v40
	v_add_co_ci_u32_e32 v41, vcc_lo, s11, v41, vcc_lo
	v_add_nc_u32_e32 v13, -12, v12
	v_add_co_u32 v43, vcc_lo, s8, v43
	v_add_co_ci_u32_e32 v44, vcc_lo, s9, v44, vcc_lo
	global_load_b64 v[60:61], v[38:39], off
	global_load_b128 v[38:41], v[40:41], off
	global_load_b64 v[62:63], v[43:44], off
	v_lshlrev_b64 v[43:44], 3, v[13:14]
	v_add_nc_u32_e32 v13, -2, v12
	s_delay_alu instid0(VALU_DEP_1) | instskip(NEXT) | instid1(VALU_DEP_3)
	v_lshlrev_b64 v[64:65], 3, v[13:14]
	v_add_co_u32 v43, vcc_lo, s8, v43
	s_delay_alu instid0(VALU_DEP_4) | instskip(SKIP_1) | instid1(VALU_DEP_4)
	v_add_co_ci_u32_e32 v44, vcc_lo, s9, v44, vcc_lo
	v_add_nc_u32_e32 v13, -11, v12
	v_add_co_u32 v64, vcc_lo, s8, v64
	v_add_co_ci_u32_e32 v65, vcc_lo, s9, v65, vcc_lo
	s_clause 0x1
	global_load_b64 v[66:67], v[43:44], off
	global_load_b64 v[64:65], v[64:65], off
	v_lshlrev_b64 v[43:44], 3, v[13:14]
	v_add_nc_u32_e32 v13, 8, v42
	s_delay_alu instid0(VALU_DEP_1) | instskip(SKIP_1) | instid1(VALU_DEP_4)
	v_lshlrev_b64 v[68:69], 3, v[13:14]
	v_add_nc_u32_e32 v13, -1, v12
	v_add_co_u32 v42, vcc_lo, s8, v43
	v_add_co_ci_u32_e32 v43, vcc_lo, s9, v44, vcc_lo
	s_delay_alu instid0(VALU_DEP_3) | instskip(SKIP_3) | instid1(VALU_DEP_4)
	v_lshlrev_b64 v[44:45], 3, v[13:14]
	v_add_co_u32 v68, vcc_lo, s10, v68
	v_add_co_ci_u32_e32 v69, vcc_lo, s11, v69, vcc_lo
	v_mov_b32_e32 v13, v14
	v_add_co_u32 v70, vcc_lo, s8, v44
	v_add_co_ci_u32_e32 v71, vcc_lo, s9, v45, vcc_lo
	global_load_b64 v[72:73], v[42:43], off
	global_load_b128 v[42:45], v[68:69], off
	global_load_b64 v[68:69], v[70:71], off
	s_waitcnt vmcnt(17)
	v_fma_f64 v[7:8], v[22:23], v[26:27], v[8:9]
	v_fma_f64 v[9:10], v[15:16], v[26:27], v[10:11]
	v_lshlrev_b64 v[15:16], 3, v[12:13]
	v_add_nc_u32_e32 v13, -10, v12
	v_add_nc_u32_e32 v12, 0xa0, v12
	s_delay_alu instid0(VALU_DEP_2) | instskip(NEXT) | instid1(VALU_DEP_4)
	v_lshlrev_b64 v[22:23], 3, v[13:14]
	v_add_co_u32 v15, vcc_lo, s8, v15
	v_add_co_ci_u32_e32 v16, vcc_lo, s9, v16, vcc_lo
	s_delay_alu instid0(VALU_DEP_3) | instskip(NEXT) | instid1(VALU_DEP_4)
	v_add_co_u32 v22, vcc_lo, s8, v22
	v_add_co_ci_u32_e32 v23, vcc_lo, s9, v23, vcc_lo
	s_clause 0x1
	global_load_b64 v[22:23], v[22:23], off
	global_load_b64 v[15:16], v[15:16], off
	v_cmp_ge_i32_e32 vcc_lo, v6, v17
	s_or_b32 s2, vcc_lo, s2
	v_fma_f64 v[7:8], v[24:25], v[28:29], v[7:8]
	s_waitcnt vmcnt(18)
	v_fma_f64 v[9:10], v[46:47], v[28:29], v[9:10]
	s_waitcnt vmcnt(17)
	s_delay_alu instid0(VALU_DEP_2) | instskip(SKIP_1) | instid1(VALU_DEP_2)
	v_fma_f64 v[7:8], v[18:19], v[30:31], v[7:8]
	s_waitcnt vmcnt(16)
	v_fma_f64 v[9:10], v[48:49], v[30:31], v[9:10]
	s_delay_alu instid0(VALU_DEP_2) | instskip(SKIP_1) | instid1(VALU_DEP_2)
	v_fma_f64 v[7:8], v[20:21], v[32:33], v[7:8]
	s_waitcnt vmcnt(15)
	v_fma_f64 v[9:10], v[50:51], v[32:33], v[9:10]
	s_waitcnt vmcnt(13)
	s_delay_alu instid0(VALU_DEP_2) | instskip(SKIP_1) | instid1(VALU_DEP_2)
	v_fma_f64 v[7:8], v[52:53], v[34:35], v[7:8]
	s_waitcnt vmcnt(12)
	v_fma_f64 v[9:10], v[54:55], v[34:35], v[9:10]
	s_waitcnt vmcnt(11)
	;; [unrolled: 5-line block ×6, first 2 shown]
	s_delay_alu instid0(VALU_DEP_2) | instskip(SKIP_1) | instid1(VALU_DEP_2)
	v_fma_f64 v[8:9], v[22:23], v[44:45], v[7:8]
	s_waitcnt vmcnt(0)
	v_fma_f64 v[10:11], v[15:16], v[44:45], v[10:11]
	s_and_not1_b32 exec_lo, exec_lo, s2
	s_cbranch_execnz .LBB117_15
; %bb.16:
	s_or_b32 exec_lo, exec_lo, s2
.LBB117_17:
	s_delay_alu instid0(SALU_CYCLE_1)
	s_or_b32 exec_lo, exec_lo, s3
.LBB117_18:
	v_mbcnt_lo_u32_b32 v14, -1, 0
	s_delay_alu instid0(VALU_DEP_1) | instskip(NEXT) | instid1(VALU_DEP_1)
	v_xor_b32_e32 v6, 4, v14
	v_cmp_gt_i32_e32 vcc_lo, 32, v6
	v_cndmask_b32_e32 v6, v14, v6, vcc_lo
	s_delay_alu instid0(VALU_DEP_1)
	v_lshlrev_b32_e32 v13, 2, v6
	ds_bpermute_b32 v6, v13, v8
	ds_bpermute_b32 v7, v13, v9
	;; [unrolled: 1-line block ×4, first 2 shown]
	s_waitcnt lgkmcnt(2)
	v_add_f64 v[6:7], v[8:9], v[6:7]
	s_waitcnt lgkmcnt(0)
	v_add_f64 v[8:9], v[10:11], v[12:13]
	v_xor_b32_e32 v10, 2, v14
	s_delay_alu instid0(VALU_DEP_1) | instskip(SKIP_1) | instid1(VALU_DEP_1)
	v_cmp_gt_i32_e32 vcc_lo, 32, v10
	v_cndmask_b32_e32 v10, v14, v10, vcc_lo
	v_lshlrev_b32_e32 v13, 2, v10
	ds_bpermute_b32 v10, v13, v6
	ds_bpermute_b32 v11, v13, v7
	;; [unrolled: 1-line block ×4, first 2 shown]
	s_waitcnt lgkmcnt(2)
	v_add_f64 v[6:7], v[6:7], v[10:11]
	s_waitcnt lgkmcnt(0)
	v_add_f64 v[10:11], v[8:9], v[12:13]
	v_xor_b32_e32 v8, 1, v14
	s_delay_alu instid0(VALU_DEP_1) | instskip(SKIP_2) | instid1(VALU_DEP_2)
	v_cmp_gt_i32_e32 vcc_lo, 32, v8
	v_cndmask_b32_e32 v8, v14, v8, vcc_lo
	v_cmp_eq_u32_e32 vcc_lo, 7, v0
	v_lshlrev_b32_e32 v13, 2, v8
	ds_bpermute_b32 v8, v13, v6
	ds_bpermute_b32 v9, v13, v7
	;; [unrolled: 1-line block ×4, first 2 shown]
	s_and_b32 exec_lo, exec_lo, vcc_lo
	s_cbranch_execz .LBB117_23
; %bb.19:
	s_waitcnt lgkmcnt(2)
	v_add_f64 v[8:9], v[6:7], v[8:9]
	s_waitcnt lgkmcnt(0)
	v_add_f64 v[6:7], v[10:11], v[12:13]
	s_load_b64 s[0:1], s[0:1], 0x38
	s_mov_b32 s2, exec_lo
	v_cmpx_eq_f64_e32 0, v[3:4]
	s_xor_b32 s2, exec_lo, s2
	s_cbranch_execz .LBB117_21
; %bb.20:
	s_delay_alu instid0(VALU_DEP_3) | instskip(NEXT) | instid1(VALU_DEP_3)
	v_mul_f64 v[8:9], v[1:2], v[8:9]
	v_mul_f64 v[10:11], v[1:2], v[6:7]
	v_lshlrev_b32_e32 v0, 1, v5
                                        ; implicit-def: $vgpr5
                                        ; implicit-def: $vgpr3_vgpr4
                                        ; implicit-def: $vgpr6_vgpr7
	s_delay_alu instid0(VALU_DEP_1) | instskip(NEXT) | instid1(VALU_DEP_1)
	v_ashrrev_i32_e32 v1, 31, v0
	v_lshlrev_b64 v[0:1], 3, v[0:1]
	s_waitcnt lgkmcnt(0)
	s_delay_alu instid0(VALU_DEP_1) | instskip(NEXT) | instid1(VALU_DEP_2)
	v_add_co_u32 v0, vcc_lo, s0, v0
	v_add_co_ci_u32_e32 v1, vcc_lo, s1, v1, vcc_lo
	global_store_b128 v[0:1], v[8:11], off
                                        ; implicit-def: $vgpr1_vgpr2
                                        ; implicit-def: $vgpr8_vgpr9
.LBB117_21:
	s_and_not1_saveexec_b32 s2, s2
	s_cbranch_execz .LBB117_23
; %bb.22:
	v_lshlrev_b32_e32 v10, 1, v5
	s_delay_alu instid0(VALU_DEP_4) | instskip(NEXT) | instid1(VALU_DEP_4)
	v_mul_f64 v[8:9], v[1:2], v[8:9]
	v_mul_f64 v[5:6], v[1:2], v[6:7]
	s_delay_alu instid0(VALU_DEP_3) | instskip(NEXT) | instid1(VALU_DEP_1)
	v_ashrrev_i32_e32 v11, 31, v10
	v_lshlrev_b64 v[10:11], 3, v[10:11]
	s_waitcnt lgkmcnt(0)
	s_delay_alu instid0(VALU_DEP_1) | instskip(NEXT) | instid1(VALU_DEP_2)
	v_add_co_u32 v14, vcc_lo, s0, v10
	v_add_co_ci_u32_e32 v15, vcc_lo, s1, v11, vcc_lo
	global_load_b128 v[10:13], v[14:15], off
	s_waitcnt vmcnt(0)
	v_fma_f64 v[0:1], v[3:4], v[10:11], v[8:9]
	v_fma_f64 v[2:3], v[3:4], v[12:13], v[5:6]
	global_store_b128 v[14:15], v[0:3], off
.LBB117_23:
	s_nop 0
	s_sendmsg sendmsg(MSG_DEALLOC_VGPRS)
	s_endpgm
	.section	.rodata,"a",@progbits
	.p2align	6, 0x0
	.amdhsa_kernel _ZN9rocsparseL19gebsrmvn_2xn_kernelILj128ELj10ELj8EdEEvi20rocsparse_direction_NS_24const_host_device_scalarIT2_EEPKiS6_PKS3_S8_S4_PS3_21rocsparse_index_base_b
		.amdhsa_group_segment_fixed_size 0
		.amdhsa_private_segment_fixed_size 0
		.amdhsa_kernarg_size 72
		.amdhsa_user_sgpr_count 15
		.amdhsa_user_sgpr_dispatch_ptr 0
		.amdhsa_user_sgpr_queue_ptr 0
		.amdhsa_user_sgpr_kernarg_segment_ptr 1
		.amdhsa_user_sgpr_dispatch_id 0
		.amdhsa_user_sgpr_private_segment_size 0
		.amdhsa_wavefront_size32 1
		.amdhsa_uses_dynamic_stack 0
		.amdhsa_enable_private_segment 0
		.amdhsa_system_sgpr_workgroup_id_x 1
		.amdhsa_system_sgpr_workgroup_id_y 0
		.amdhsa_system_sgpr_workgroup_id_z 0
		.amdhsa_system_sgpr_workgroup_info 0
		.amdhsa_system_vgpr_workitem_id 0
		.amdhsa_next_free_vgpr 74
		.amdhsa_next_free_sgpr 16
		.amdhsa_reserve_vcc 1
		.amdhsa_float_round_mode_32 0
		.amdhsa_float_round_mode_16_64 0
		.amdhsa_float_denorm_mode_32 3
		.amdhsa_float_denorm_mode_16_64 3
		.amdhsa_dx10_clamp 1
		.amdhsa_ieee_mode 1
		.amdhsa_fp16_overflow 0
		.amdhsa_workgroup_processor_mode 1
		.amdhsa_memory_ordered 1
		.amdhsa_forward_progress 0
		.amdhsa_shared_vgpr_count 0
		.amdhsa_exception_fp_ieee_invalid_op 0
		.amdhsa_exception_fp_denorm_src 0
		.amdhsa_exception_fp_ieee_div_zero 0
		.amdhsa_exception_fp_ieee_overflow 0
		.amdhsa_exception_fp_ieee_underflow 0
		.amdhsa_exception_fp_ieee_inexact 0
		.amdhsa_exception_int_div_zero 0
	.end_amdhsa_kernel
	.section	.text._ZN9rocsparseL19gebsrmvn_2xn_kernelILj128ELj10ELj8EdEEvi20rocsparse_direction_NS_24const_host_device_scalarIT2_EEPKiS6_PKS3_S8_S4_PS3_21rocsparse_index_base_b,"axG",@progbits,_ZN9rocsparseL19gebsrmvn_2xn_kernelILj128ELj10ELj8EdEEvi20rocsparse_direction_NS_24const_host_device_scalarIT2_EEPKiS6_PKS3_S8_S4_PS3_21rocsparse_index_base_b,comdat
.Lfunc_end117:
	.size	_ZN9rocsparseL19gebsrmvn_2xn_kernelILj128ELj10ELj8EdEEvi20rocsparse_direction_NS_24const_host_device_scalarIT2_EEPKiS6_PKS3_S8_S4_PS3_21rocsparse_index_base_b, .Lfunc_end117-_ZN9rocsparseL19gebsrmvn_2xn_kernelILj128ELj10ELj8EdEEvi20rocsparse_direction_NS_24const_host_device_scalarIT2_EEPKiS6_PKS3_S8_S4_PS3_21rocsparse_index_base_b
                                        ; -- End function
	.section	.AMDGPU.csdata,"",@progbits
; Kernel info:
; codeLenInByte = 2880
; NumSgprs: 18
; NumVgprs: 74
; ScratchSize: 0
; MemoryBound: 0
; FloatMode: 240
; IeeeMode: 1
; LDSByteSize: 0 bytes/workgroup (compile time only)
; SGPRBlocks: 2
; VGPRBlocks: 9
; NumSGPRsForWavesPerEU: 18
; NumVGPRsForWavesPerEU: 74
; Occupancy: 16
; WaveLimiterHint : 1
; COMPUTE_PGM_RSRC2:SCRATCH_EN: 0
; COMPUTE_PGM_RSRC2:USER_SGPR: 15
; COMPUTE_PGM_RSRC2:TRAP_HANDLER: 0
; COMPUTE_PGM_RSRC2:TGID_X_EN: 1
; COMPUTE_PGM_RSRC2:TGID_Y_EN: 0
; COMPUTE_PGM_RSRC2:TGID_Z_EN: 0
; COMPUTE_PGM_RSRC2:TIDIG_COMP_CNT: 0
	.section	.text._ZN9rocsparseL19gebsrmvn_2xn_kernelILj128ELj10ELj16EdEEvi20rocsparse_direction_NS_24const_host_device_scalarIT2_EEPKiS6_PKS3_S8_S4_PS3_21rocsparse_index_base_b,"axG",@progbits,_ZN9rocsparseL19gebsrmvn_2xn_kernelILj128ELj10ELj16EdEEvi20rocsparse_direction_NS_24const_host_device_scalarIT2_EEPKiS6_PKS3_S8_S4_PS3_21rocsparse_index_base_b,comdat
	.globl	_ZN9rocsparseL19gebsrmvn_2xn_kernelILj128ELj10ELj16EdEEvi20rocsparse_direction_NS_24const_host_device_scalarIT2_EEPKiS6_PKS3_S8_S4_PS3_21rocsparse_index_base_b ; -- Begin function _ZN9rocsparseL19gebsrmvn_2xn_kernelILj128ELj10ELj16EdEEvi20rocsparse_direction_NS_24const_host_device_scalarIT2_EEPKiS6_PKS3_S8_S4_PS3_21rocsparse_index_base_b
	.p2align	8
	.type	_ZN9rocsparseL19gebsrmvn_2xn_kernelILj128ELj10ELj16EdEEvi20rocsparse_direction_NS_24const_host_device_scalarIT2_EEPKiS6_PKS3_S8_S4_PS3_21rocsparse_index_base_b,@function
_ZN9rocsparseL19gebsrmvn_2xn_kernelILj128ELj10ELj16EdEEvi20rocsparse_direction_NS_24const_host_device_scalarIT2_EEPKiS6_PKS3_S8_S4_PS3_21rocsparse_index_base_b: ; @_ZN9rocsparseL19gebsrmvn_2xn_kernelILj128ELj10ELj16EdEEvi20rocsparse_direction_NS_24const_host_device_scalarIT2_EEPKiS6_PKS3_S8_S4_PS3_21rocsparse_index_base_b
; %bb.0:
	s_clause 0x2
	s_load_b64 s[12:13], s[0:1], 0x40
	s_load_b64 s[4:5], s[0:1], 0x8
	;; [unrolled: 1-line block ×3, first 2 shown]
	s_waitcnt lgkmcnt(0)
	s_bitcmp1_b32 s13, 0
	v_dual_mov_b32 v1, s4 :: v_dual_mov_b32 v2, s5
	s_cselect_b32 s6, -1, 0
	s_delay_alu instid0(SALU_CYCLE_1)
	s_and_b32 vcc_lo, exec_lo, s6
	s_xor_b32 s6, s6, -1
	s_cbranch_vccnz .LBB118_2
; %bb.1:
	v_dual_mov_b32 v1, s4 :: v_dual_mov_b32 v2, s5
	flat_load_b64 v[1:2], v[1:2]
.LBB118_2:
	v_dual_mov_b32 v4, s3 :: v_dual_mov_b32 v3, s2
	s_and_not1_b32 vcc_lo, exec_lo, s6
	s_cbranch_vccnz .LBB118_4
; %bb.3:
	v_dual_mov_b32 v4, s3 :: v_dual_mov_b32 v3, s2
	flat_load_b64 v[3:4], v[3:4]
.LBB118_4:
	s_waitcnt vmcnt(0) lgkmcnt(0)
	v_cmp_neq_f64_e32 vcc_lo, 0, v[1:2]
	v_cmp_neq_f64_e64 s2, 1.0, v[3:4]
	s_delay_alu instid0(VALU_DEP_1) | instskip(NEXT) | instid1(SALU_CYCLE_1)
	s_or_b32 s2, vcc_lo, s2
	s_and_saveexec_b32 s3, s2
	s_cbranch_execz .LBB118_23
; %bb.5:
	s_load_b64 s[2:3], s[0:1], 0x0
	v_lshrrev_b32_e32 v5, 4, v0
	s_delay_alu instid0(VALU_DEP_1) | instskip(SKIP_1) | instid1(VALU_DEP_1)
	v_lshl_or_b32 v5, s15, 3, v5
	s_waitcnt lgkmcnt(0)
	v_cmp_gt_i32_e32 vcc_lo, s2, v5
	s_and_b32 exec_lo, exec_lo, vcc_lo
	s_cbranch_execz .LBB118_23
; %bb.6:
	s_load_b256 s[4:11], s[0:1], 0x10
	v_ashrrev_i32_e32 v6, 31, v5
	v_and_b32_e32 v0, 15, v0
	s_cmp_lg_u32 s3, 0
	s_delay_alu instid0(VALU_DEP_2) | instskip(SKIP_1) | instid1(VALU_DEP_1)
	v_lshlrev_b64 v[6:7], 2, v[5:6]
	s_waitcnt lgkmcnt(0)
	v_add_co_u32 v6, vcc_lo, s4, v6
	s_delay_alu instid0(VALU_DEP_2) | instskip(SKIP_4) | instid1(VALU_DEP_2)
	v_add_co_ci_u32_e32 v7, vcc_lo, s5, v7, vcc_lo
	global_load_b64 v[6:7], v[6:7], off
	s_waitcnt vmcnt(0)
	v_subrev_nc_u32_e32 v6, s12, v6
	v_subrev_nc_u32_e32 v17, s12, v7
	v_add_nc_u32_e32 v6, v6, v0
	s_delay_alu instid0(VALU_DEP_1)
	v_cmp_lt_i32_e64 s2, v6, v17
	s_cbranch_scc0 .LBB118_12
; %bb.7:
	v_mov_b32_e32 v8, 0
	v_mov_b32_e32 v9, 0
	s_delay_alu instid0(VALU_DEP_1)
	v_dual_mov_b32 v11, v9 :: v_dual_mov_b32 v10, v8
	s_and_saveexec_b32 s3, s2
	s_cbranch_execz .LBB118_11
; %bb.8:
	v_dual_mov_b32 v8, 0 :: v_dual_mov_b32 v15, v6
	v_dual_mov_b32 v9, 0 :: v_dual_mov_b32 v14, 0
	v_mad_u64_u32 v[12:13], null, v6, 20, 18
	s_mov_b32 s4, 0
	s_delay_alu instid0(VALU_DEP_2)
	v_dual_mov_b32 v11, v9 :: v_dual_mov_b32 v10, v8
.LBB118_9:                              ; =>This Inner Loop Header: Depth=1
	v_ashrrev_i32_e32 v16, 31, v15
	s_delay_alu instid0(VALU_DEP_3) | instskip(SKIP_1) | instid1(VALU_DEP_3)
	v_subrev_nc_u32_e32 v13, 18, v12
	v_mov_b32_e32 v67, v14
	v_lshlrev_b64 v[18:19], 2, v[15:16]
	v_add_nc_u32_e32 v15, 16, v15
	s_delay_alu instid0(VALU_DEP_2) | instskip(NEXT) | instid1(VALU_DEP_3)
	v_add_co_u32 v18, vcc_lo, s6, v18
	v_add_co_ci_u32_e32 v19, vcc_lo, s7, v19, vcc_lo
	global_load_b32 v7, v[18:19], off
	v_lshlrev_b64 v[18:19], 3, v[13:14]
	v_add_nc_u32_e32 v13, -14, v12
	s_delay_alu instid0(VALU_DEP_1) | instskip(NEXT) | instid1(VALU_DEP_3)
	v_lshlrev_b64 v[30:31], 3, v[13:14]
	v_add_co_u32 v22, vcc_lo, s8, v18
	s_delay_alu instid0(VALU_DEP_4) | instskip(SKIP_2) | instid1(VALU_DEP_1)
	v_add_co_ci_u32_e32 v23, vcc_lo, s9, v19, vcc_lo
	s_waitcnt vmcnt(0)
	v_subrev_nc_u32_e32 v7, s12, v7
	v_mul_lo_u32 v66, v7, 10
	s_delay_alu instid0(VALU_DEP_1) | instskip(SKIP_1) | instid1(VALU_DEP_1)
	v_lshlrev_b64 v[20:21], 3, v[66:67]
	v_add_nc_u32_e32 v13, 2, v66
	v_lshlrev_b64 v[32:33], 3, v[13:14]
	s_delay_alu instid0(VALU_DEP_3) | instskip(NEXT) | instid1(VALU_DEP_4)
	v_add_co_u32 v26, vcc_lo, s10, v20
	v_add_co_ci_u32_e32 v27, vcc_lo, s11, v21, vcc_lo
	s_clause 0x1
	global_load_b128 v[18:21], v[22:23], off offset:16
	global_load_b128 v[22:25], v[22:23], off
	global_load_b128 v[26:29], v[26:27], off
	v_add_co_u32 v30, vcc_lo, s8, v30
	v_add_co_ci_u32_e32 v31, vcc_lo, s9, v31, vcc_lo
	v_add_co_u32 v34, vcc_lo, s10, v32
	v_add_co_ci_u32_e32 v35, vcc_lo, s11, v33, vcc_lo
	global_load_b128 v[30:33], v[30:31], off
	global_load_b128 v[34:37], v[34:35], off
	v_add_nc_u32_e32 v13, -12, v12
	s_delay_alu instid0(VALU_DEP_1) | instskip(SKIP_1) | instid1(VALU_DEP_2)
	v_lshlrev_b64 v[38:39], 3, v[13:14]
	v_add_nc_u32_e32 v13, -10, v12
	v_add_co_u32 v38, vcc_lo, s8, v38
	s_delay_alu instid0(VALU_DEP_3) | instskip(NEXT) | instid1(VALU_DEP_3)
	v_add_co_ci_u32_e32 v39, vcc_lo, s9, v39, vcc_lo
	v_lshlrev_b64 v[42:43], 3, v[13:14]
	v_add_nc_u32_e32 v13, 4, v66
	global_load_b128 v[38:41], v[38:39], off
	v_lshlrev_b64 v[44:45], 3, v[13:14]
	v_add_co_u32 v42, vcc_lo, s8, v42
	v_add_co_ci_u32_e32 v43, vcc_lo, s9, v43, vcc_lo
	v_add_nc_u32_e32 v13, -8, v12
	s_delay_alu instid0(VALU_DEP_4)
	v_add_co_u32 v46, vcc_lo, s10, v44
	v_add_co_ci_u32_e32 v47, vcc_lo, s11, v45, vcc_lo
	global_load_b128 v[42:45], v[42:43], off
	global_load_b128 v[46:49], v[46:47], off
	v_lshlrev_b64 v[50:51], 3, v[13:14]
	v_add_nc_u32_e32 v13, -6, v12
	s_delay_alu instid0(VALU_DEP_2) | instskip(NEXT) | instid1(VALU_DEP_3)
	v_add_co_u32 v50, vcc_lo, s8, v50
	v_add_co_ci_u32_e32 v51, vcc_lo, s9, v51, vcc_lo
	s_delay_alu instid0(VALU_DEP_3)
	v_lshlrev_b64 v[54:55], 3, v[13:14]
	v_add_nc_u32_e32 v13, 6, v66
	global_load_b128 v[50:53], v[50:51], off
	v_lshlrev_b64 v[56:57], 3, v[13:14]
	v_add_co_u32 v54, vcc_lo, s8, v54
	v_add_co_ci_u32_e32 v55, vcc_lo, s9, v55, vcc_lo
	v_add_nc_u32_e32 v13, -4, v12
	s_delay_alu instid0(VALU_DEP_4)
	v_add_co_u32 v58, vcc_lo, s10, v56
	v_add_co_ci_u32_e32 v59, vcc_lo, s11, v57, vcc_lo
	global_load_b128 v[54:57], v[54:55], off
	global_load_b128 v[58:61], v[58:59], off
	v_lshlrev_b64 v[62:63], 3, v[13:14]
	v_add_nc_u32_e32 v13, -2, v12
	s_delay_alu instid0(VALU_DEP_2) | instskip(NEXT) | instid1(VALU_DEP_3)
	v_add_co_u32 v62, vcc_lo, s8, v62
	v_add_co_ci_u32_e32 v63, vcc_lo, s9, v63, vcc_lo
	s_delay_alu instid0(VALU_DEP_3)
	v_lshlrev_b64 v[67:68], 3, v[13:14]
	v_add_nc_u32_e32 v13, 8, v66
	global_load_b128 v[62:65], v[62:63], off
	v_lshlrev_b64 v[69:70], 3, v[13:14]
	v_add_co_u32 v66, vcc_lo, s8, v67
	v_add_co_ci_u32_e32 v67, vcc_lo, s9, v68, vcc_lo
	v_mov_b32_e32 v13, v14
	s_delay_alu instid0(VALU_DEP_4)
	v_add_co_u32 v71, vcc_lo, s10, v69
	v_add_co_ci_u32_e32 v72, vcc_lo, s11, v70, vcc_lo
	global_load_b128 v[66:69], v[66:67], off
	global_load_b128 v[70:73], v[71:72], off
	s_waitcnt vmcnt(11)
	v_fma_f64 v[22:23], v[22:23], v[26:27], v[8:9]
	v_fma_f64 v[24:25], v[24:25], v[26:27], v[10:11]
	v_lshlrev_b64 v[7:8], 3, v[12:13]
	v_add_nc_u32_e32 v12, 0x140, v12
	s_delay_alu instid0(VALU_DEP_2) | instskip(NEXT) | instid1(VALU_DEP_3)
	v_add_co_u32 v7, vcc_lo, s8, v7
	v_add_co_ci_u32_e32 v8, vcc_lo, s9, v8, vcc_lo
	v_cmp_ge_i32_e32 vcc_lo, v15, v17
	global_load_b128 v[8:11], v[7:8], off
	s_or_b32 s4, vcc_lo, s4
	v_fma_f64 v[18:19], v[18:19], v[28:29], v[22:23]
	v_fma_f64 v[20:21], v[20:21], v[28:29], v[24:25]
	s_waitcnt vmcnt(10)
	s_delay_alu instid0(VALU_DEP_2) | instskip(NEXT) | instid1(VALU_DEP_2)
	v_fma_f64 v[18:19], v[30:31], v[34:35], v[18:19]
	v_fma_f64 v[20:21], v[32:33], v[34:35], v[20:21]
	s_waitcnt vmcnt(9)
	s_delay_alu instid0(VALU_DEP_2) | instskip(NEXT) | instid1(VALU_DEP_2)
	;; [unrolled: 4-line block ×8, first 2 shown]
	v_fma_f64 v[8:9], v[8:9], v[72:73], v[18:19]
	v_fma_f64 v[10:11], v[10:11], v[72:73], v[20:21]
	s_and_not1_b32 exec_lo, exec_lo, s4
	s_cbranch_execnz .LBB118_9
; %bb.10:
	s_or_b32 exec_lo, exec_lo, s4
.LBB118_11:
	s_delay_alu instid0(SALU_CYCLE_1)
	s_or_b32 exec_lo, exec_lo, s3
	s_cbranch_execz .LBB118_13
	s_branch .LBB118_18
.LBB118_12:
                                        ; implicit-def: $vgpr8_vgpr9
                                        ; implicit-def: $vgpr10_vgpr11
.LBB118_13:
	v_mov_b32_e32 v8, 0
	v_mov_b32_e32 v9, 0
	s_delay_alu instid0(VALU_DEP_1)
	v_dual_mov_b32 v11, v9 :: v_dual_mov_b32 v10, v8
	s_and_saveexec_b32 s3, s2
	s_cbranch_execz .LBB118_17
; %bb.14:
	v_mov_b32_e32 v8, 0
	v_dual_mov_b32 v9, 0 :: v_dual_mov_b32 v14, 0
	v_mad_u64_u32 v[12:13], null, v6, 20, 19
	s_mov_b32 s2, 0
	s_delay_alu instid0(VALU_DEP_2)
	v_dual_mov_b32 v11, v9 :: v_dual_mov_b32 v10, v8
.LBB118_15:                             ; =>This Inner Loop Header: Depth=1
	v_ashrrev_i32_e32 v7, 31, v6
	s_delay_alu instid0(VALU_DEP_3) | instskip(SKIP_1) | instid1(VALU_DEP_3)
	v_subrev_nc_u32_e32 v13, 19, v12
	v_mov_b32_e32 v43, v14
	v_lshlrev_b64 v[15:16], 2, v[6:7]
	v_add_nc_u32_e32 v6, 16, v6
	s_delay_alu instid0(VALU_DEP_4) | instskip(SKIP_1) | instid1(VALU_DEP_4)
	v_lshlrev_b64 v[18:19], 3, v[13:14]
	v_add_nc_u32_e32 v13, -8, v12
	v_add_co_u32 v15, vcc_lo, s6, v15
	v_add_co_ci_u32_e32 v16, vcc_lo, s7, v16, vcc_lo
	s_delay_alu instid0(VALU_DEP_4) | instskip(SKIP_4) | instid1(VALU_DEP_2)
	v_add_co_u32 v22, vcc_lo, s8, v18
	v_add_co_ci_u32_e32 v23, vcc_lo, s9, v19, vcc_lo
	global_load_b32 v7, v[15:16], off
	v_dual_mov_b32 v16, v14 :: v_dual_add_nc_u32 v15, -9, v12
	v_lshlrev_b64 v[30:31], 3, v[13:14]
	v_lshlrev_b64 v[15:16], 3, v[15:16]
	s_delay_alu instid0(VALU_DEP_1) | instskip(NEXT) | instid1(VALU_DEP_2)
	v_add_co_u32 v15, vcc_lo, s8, v15
	v_add_co_ci_u32_e32 v16, vcc_lo, s9, v16, vcc_lo
	s_waitcnt vmcnt(0)
	v_subrev_nc_u32_e32 v7, s12, v7
	s_delay_alu instid0(VALU_DEP_1) | instskip(NEXT) | instid1(VALU_DEP_1)
	v_mul_lo_u32 v42, v7, 10
	v_lshlrev_b64 v[18:19], 3, v[42:43]
	v_add_nc_u32_e32 v13, 2, v42
	s_delay_alu instid0(VALU_DEP_2) | instskip(NEXT) | instid1(VALU_DEP_3)
	v_add_co_u32 v26, vcc_lo, s10, v18
	v_add_co_ci_u32_e32 v27, vcc_lo, s11, v19, vcc_lo
	s_clause 0x2
	global_load_b128 v[18:21], v[22:23], off offset:16
	global_load_b128 v[22:25], v[22:23], off
	global_load_b64 v[15:16], v[15:16], off
	global_load_b128 v[26:29], v[26:27], off
	v_add_co_u32 v30, vcc_lo, s8, v30
	v_add_co_ci_u32_e32 v31, vcc_lo, s9, v31, vcc_lo
	global_load_b64 v[46:47], v[30:31], off
	v_lshlrev_b64 v[30:31], 3, v[13:14]
	v_add_nc_u32_e32 v13, -7, v12
	s_delay_alu instid0(VALU_DEP_1) | instskip(NEXT) | instid1(VALU_DEP_3)
	v_lshlrev_b64 v[32:33], 3, v[13:14]
	v_add_co_u32 v30, vcc_lo, s10, v30
	s_delay_alu instid0(VALU_DEP_4) | instskip(SKIP_1) | instid1(VALU_DEP_4)
	v_add_co_ci_u32_e32 v31, vcc_lo, s11, v31, vcc_lo
	v_add_nc_u32_e32 v13, -6, v12
	v_add_co_u32 v34, vcc_lo, s8, v32
	v_add_co_ci_u32_e32 v35, vcc_lo, s9, v33, vcc_lo
	global_load_b128 v[30:33], v[30:31], off
	global_load_b64 v[48:49], v[34:35], off
	v_lshlrev_b64 v[34:35], 3, v[13:14]
	v_add_nc_u32_e32 v13, -15, v12
	s_delay_alu instid0(VALU_DEP_2) | instskip(NEXT) | instid1(VALU_DEP_3)
	v_add_co_u32 v34, vcc_lo, s8, v34
	v_add_co_ci_u32_e32 v35, vcc_lo, s9, v35, vcc_lo
	global_load_b64 v[50:51], v[34:35], off
	v_lshlrev_b64 v[34:35], 3, v[13:14]
	v_add_nc_u32_e32 v13, 4, v42
	s_delay_alu instid0(VALU_DEP_1) | instskip(SKIP_1) | instid1(VALU_DEP_4)
	v_lshlrev_b64 v[36:37], 3, v[13:14]
	v_add_nc_u32_e32 v13, -5, v12
	v_add_co_u32 v34, vcc_lo, s8, v34
	v_add_co_ci_u32_e32 v35, vcc_lo, s9, v35, vcc_lo
	s_delay_alu instid0(VALU_DEP_3) | instskip(SKIP_3) | instid1(VALU_DEP_4)
	v_lshlrev_b64 v[38:39], 3, v[13:14]
	v_add_co_u32 v36, vcc_lo, s10, v36
	v_add_co_ci_u32_e32 v37, vcc_lo, s11, v37, vcc_lo
	v_add_nc_u32_e32 v13, -14, v12
	v_add_co_u32 v38, vcc_lo, s8, v38
	v_add_co_ci_u32_e32 v39, vcc_lo, s9, v39, vcc_lo
	global_load_b64 v[52:53], v[34:35], off
	global_load_b128 v[34:37], v[36:37], off
	global_load_b64 v[54:55], v[38:39], off
	v_lshlrev_b64 v[38:39], 3, v[13:14]
	v_add_nc_u32_e32 v13, -4, v12
	s_delay_alu instid0(VALU_DEP_1) | instskip(NEXT) | instid1(VALU_DEP_3)
	v_lshlrev_b64 v[40:41], 3, v[13:14]
	v_add_co_u32 v38, vcc_lo, s8, v38
	s_delay_alu instid0(VALU_DEP_4) | instskip(SKIP_1) | instid1(VALU_DEP_4)
	v_add_co_ci_u32_e32 v39, vcc_lo, s9, v39, vcc_lo
	v_add_nc_u32_e32 v13, -13, v12
	v_add_co_u32 v40, vcc_lo, s8, v40
	v_add_co_ci_u32_e32 v41, vcc_lo, s9, v41, vcc_lo
	s_clause 0x1
	global_load_b64 v[56:57], v[38:39], off
	global_load_b64 v[58:59], v[40:41], off
	v_lshlrev_b64 v[38:39], 3, v[13:14]
	v_add_nc_u32_e32 v13, 6, v42
	s_delay_alu instid0(VALU_DEP_1) | instskip(SKIP_1) | instid1(VALU_DEP_4)
	v_lshlrev_b64 v[40:41], 3, v[13:14]
	v_add_nc_u32_e32 v13, -3, v12
	v_add_co_u32 v38, vcc_lo, s8, v38
	v_add_co_ci_u32_e32 v39, vcc_lo, s9, v39, vcc_lo
	s_delay_alu instid0(VALU_DEP_3) | instskip(SKIP_3) | instid1(VALU_DEP_4)
	v_lshlrev_b64 v[43:44], 3, v[13:14]
	v_add_co_u32 v40, vcc_lo, s10, v40
	v_add_co_ci_u32_e32 v41, vcc_lo, s11, v41, vcc_lo
	v_add_nc_u32_e32 v13, -12, v12
	v_add_co_u32 v43, vcc_lo, s8, v43
	v_add_co_ci_u32_e32 v44, vcc_lo, s9, v44, vcc_lo
	global_load_b64 v[60:61], v[38:39], off
	global_load_b128 v[38:41], v[40:41], off
	global_load_b64 v[62:63], v[43:44], off
	v_lshlrev_b64 v[43:44], 3, v[13:14]
	v_add_nc_u32_e32 v13, -2, v12
	s_delay_alu instid0(VALU_DEP_1) | instskip(NEXT) | instid1(VALU_DEP_3)
	v_lshlrev_b64 v[64:65], 3, v[13:14]
	v_add_co_u32 v43, vcc_lo, s8, v43
	s_delay_alu instid0(VALU_DEP_4) | instskip(SKIP_1) | instid1(VALU_DEP_4)
	v_add_co_ci_u32_e32 v44, vcc_lo, s9, v44, vcc_lo
	v_add_nc_u32_e32 v13, -11, v12
	v_add_co_u32 v64, vcc_lo, s8, v64
	v_add_co_ci_u32_e32 v65, vcc_lo, s9, v65, vcc_lo
	s_clause 0x1
	global_load_b64 v[66:67], v[43:44], off
	global_load_b64 v[64:65], v[64:65], off
	v_lshlrev_b64 v[43:44], 3, v[13:14]
	v_add_nc_u32_e32 v13, 8, v42
	s_delay_alu instid0(VALU_DEP_1) | instskip(SKIP_1) | instid1(VALU_DEP_4)
	v_lshlrev_b64 v[68:69], 3, v[13:14]
	v_add_nc_u32_e32 v13, -1, v12
	v_add_co_u32 v42, vcc_lo, s8, v43
	v_add_co_ci_u32_e32 v43, vcc_lo, s9, v44, vcc_lo
	s_delay_alu instid0(VALU_DEP_3) | instskip(SKIP_3) | instid1(VALU_DEP_4)
	v_lshlrev_b64 v[44:45], 3, v[13:14]
	v_add_co_u32 v68, vcc_lo, s10, v68
	v_add_co_ci_u32_e32 v69, vcc_lo, s11, v69, vcc_lo
	v_mov_b32_e32 v13, v14
	v_add_co_u32 v70, vcc_lo, s8, v44
	v_add_co_ci_u32_e32 v71, vcc_lo, s9, v45, vcc_lo
	global_load_b64 v[72:73], v[42:43], off
	global_load_b128 v[42:45], v[68:69], off
	global_load_b64 v[68:69], v[70:71], off
	s_waitcnt vmcnt(17)
	v_fma_f64 v[7:8], v[22:23], v[26:27], v[8:9]
	v_fma_f64 v[9:10], v[15:16], v[26:27], v[10:11]
	v_lshlrev_b64 v[15:16], 3, v[12:13]
	v_add_nc_u32_e32 v13, -10, v12
	v_add_nc_u32_e32 v12, 0x140, v12
	s_delay_alu instid0(VALU_DEP_2) | instskip(NEXT) | instid1(VALU_DEP_4)
	v_lshlrev_b64 v[22:23], 3, v[13:14]
	v_add_co_u32 v15, vcc_lo, s8, v15
	v_add_co_ci_u32_e32 v16, vcc_lo, s9, v16, vcc_lo
	s_delay_alu instid0(VALU_DEP_3) | instskip(NEXT) | instid1(VALU_DEP_4)
	v_add_co_u32 v22, vcc_lo, s8, v22
	v_add_co_ci_u32_e32 v23, vcc_lo, s9, v23, vcc_lo
	s_clause 0x1
	global_load_b64 v[22:23], v[22:23], off
	global_load_b64 v[15:16], v[15:16], off
	v_cmp_ge_i32_e32 vcc_lo, v6, v17
	s_or_b32 s2, vcc_lo, s2
	v_fma_f64 v[7:8], v[24:25], v[28:29], v[7:8]
	s_waitcnt vmcnt(18)
	v_fma_f64 v[9:10], v[46:47], v[28:29], v[9:10]
	s_waitcnt vmcnt(17)
	s_delay_alu instid0(VALU_DEP_2) | instskip(SKIP_1) | instid1(VALU_DEP_2)
	v_fma_f64 v[7:8], v[18:19], v[30:31], v[7:8]
	s_waitcnt vmcnt(16)
	v_fma_f64 v[9:10], v[48:49], v[30:31], v[9:10]
	s_delay_alu instid0(VALU_DEP_2) | instskip(SKIP_1) | instid1(VALU_DEP_2)
	v_fma_f64 v[7:8], v[20:21], v[32:33], v[7:8]
	s_waitcnt vmcnt(15)
	v_fma_f64 v[9:10], v[50:51], v[32:33], v[9:10]
	s_waitcnt vmcnt(13)
	s_delay_alu instid0(VALU_DEP_2) | instskip(SKIP_1) | instid1(VALU_DEP_2)
	v_fma_f64 v[7:8], v[52:53], v[34:35], v[7:8]
	s_waitcnt vmcnt(12)
	v_fma_f64 v[9:10], v[54:55], v[34:35], v[9:10]
	s_waitcnt vmcnt(11)
	;; [unrolled: 5-line block ×6, first 2 shown]
	s_delay_alu instid0(VALU_DEP_2) | instskip(SKIP_1) | instid1(VALU_DEP_2)
	v_fma_f64 v[8:9], v[22:23], v[44:45], v[7:8]
	s_waitcnt vmcnt(0)
	v_fma_f64 v[10:11], v[15:16], v[44:45], v[10:11]
	s_and_not1_b32 exec_lo, exec_lo, s2
	s_cbranch_execnz .LBB118_15
; %bb.16:
	s_or_b32 exec_lo, exec_lo, s2
.LBB118_17:
	s_delay_alu instid0(SALU_CYCLE_1)
	s_or_b32 exec_lo, exec_lo, s3
.LBB118_18:
	v_mbcnt_lo_u32_b32 v14, -1, 0
	s_delay_alu instid0(VALU_DEP_1) | instskip(NEXT) | instid1(VALU_DEP_1)
	v_xor_b32_e32 v6, 8, v14
	v_cmp_gt_i32_e32 vcc_lo, 32, v6
	v_cndmask_b32_e32 v6, v14, v6, vcc_lo
	s_delay_alu instid0(VALU_DEP_1)
	v_lshlrev_b32_e32 v13, 2, v6
	ds_bpermute_b32 v6, v13, v8
	ds_bpermute_b32 v7, v13, v9
	;; [unrolled: 1-line block ×4, first 2 shown]
	s_waitcnt lgkmcnt(2)
	v_add_f64 v[6:7], v[8:9], v[6:7]
	s_waitcnt lgkmcnt(0)
	v_add_f64 v[8:9], v[10:11], v[12:13]
	v_xor_b32_e32 v10, 4, v14
	s_delay_alu instid0(VALU_DEP_1) | instskip(SKIP_1) | instid1(VALU_DEP_1)
	v_cmp_gt_i32_e32 vcc_lo, 32, v10
	v_cndmask_b32_e32 v10, v14, v10, vcc_lo
	v_lshlrev_b32_e32 v13, 2, v10
	ds_bpermute_b32 v10, v13, v6
	ds_bpermute_b32 v11, v13, v7
	;; [unrolled: 1-line block ×4, first 2 shown]
	s_waitcnt lgkmcnt(2)
	v_add_f64 v[6:7], v[6:7], v[10:11]
	v_xor_b32_e32 v10, 2, v14
	s_waitcnt lgkmcnt(0)
	v_add_f64 v[8:9], v[8:9], v[12:13]
	s_delay_alu instid0(VALU_DEP_2) | instskip(SKIP_1) | instid1(VALU_DEP_1)
	v_cmp_gt_i32_e32 vcc_lo, 32, v10
	v_cndmask_b32_e32 v10, v14, v10, vcc_lo
	v_lshlrev_b32_e32 v13, 2, v10
	ds_bpermute_b32 v10, v13, v6
	ds_bpermute_b32 v11, v13, v7
	;; [unrolled: 1-line block ×4, first 2 shown]
	s_waitcnt lgkmcnt(2)
	v_add_f64 v[6:7], v[6:7], v[10:11]
	s_waitcnt lgkmcnt(0)
	v_add_f64 v[10:11], v[8:9], v[12:13]
	v_xor_b32_e32 v8, 1, v14
	s_delay_alu instid0(VALU_DEP_1) | instskip(SKIP_2) | instid1(VALU_DEP_2)
	v_cmp_gt_i32_e32 vcc_lo, 32, v8
	v_cndmask_b32_e32 v8, v14, v8, vcc_lo
	v_cmp_eq_u32_e32 vcc_lo, 15, v0
	v_lshlrev_b32_e32 v13, 2, v8
	ds_bpermute_b32 v8, v13, v6
	ds_bpermute_b32 v9, v13, v7
	;; [unrolled: 1-line block ×4, first 2 shown]
	s_and_b32 exec_lo, exec_lo, vcc_lo
	s_cbranch_execz .LBB118_23
; %bb.19:
	s_waitcnt lgkmcnt(2)
	v_add_f64 v[8:9], v[6:7], v[8:9]
	s_waitcnt lgkmcnt(0)
	v_add_f64 v[6:7], v[10:11], v[12:13]
	s_load_b64 s[0:1], s[0:1], 0x38
	s_mov_b32 s2, exec_lo
	v_cmpx_eq_f64_e32 0, v[3:4]
	s_xor_b32 s2, exec_lo, s2
	s_cbranch_execz .LBB118_21
; %bb.20:
	s_delay_alu instid0(VALU_DEP_3) | instskip(NEXT) | instid1(VALU_DEP_3)
	v_mul_f64 v[8:9], v[1:2], v[8:9]
	v_mul_f64 v[10:11], v[1:2], v[6:7]
	v_lshlrev_b32_e32 v0, 1, v5
                                        ; implicit-def: $vgpr5
                                        ; implicit-def: $vgpr3_vgpr4
                                        ; implicit-def: $vgpr6_vgpr7
	s_delay_alu instid0(VALU_DEP_1) | instskip(NEXT) | instid1(VALU_DEP_1)
	v_ashrrev_i32_e32 v1, 31, v0
	v_lshlrev_b64 v[0:1], 3, v[0:1]
	s_waitcnt lgkmcnt(0)
	s_delay_alu instid0(VALU_DEP_1) | instskip(NEXT) | instid1(VALU_DEP_2)
	v_add_co_u32 v0, vcc_lo, s0, v0
	v_add_co_ci_u32_e32 v1, vcc_lo, s1, v1, vcc_lo
	global_store_b128 v[0:1], v[8:11], off
                                        ; implicit-def: $vgpr1_vgpr2
                                        ; implicit-def: $vgpr8_vgpr9
.LBB118_21:
	s_and_not1_saveexec_b32 s2, s2
	s_cbranch_execz .LBB118_23
; %bb.22:
	v_lshlrev_b32_e32 v10, 1, v5
	s_delay_alu instid0(VALU_DEP_4) | instskip(NEXT) | instid1(VALU_DEP_4)
	v_mul_f64 v[8:9], v[1:2], v[8:9]
	v_mul_f64 v[5:6], v[1:2], v[6:7]
	s_delay_alu instid0(VALU_DEP_3) | instskip(NEXT) | instid1(VALU_DEP_1)
	v_ashrrev_i32_e32 v11, 31, v10
	v_lshlrev_b64 v[10:11], 3, v[10:11]
	s_waitcnt lgkmcnt(0)
	s_delay_alu instid0(VALU_DEP_1) | instskip(NEXT) | instid1(VALU_DEP_2)
	v_add_co_u32 v14, vcc_lo, s0, v10
	v_add_co_ci_u32_e32 v15, vcc_lo, s1, v11, vcc_lo
	global_load_b128 v[10:13], v[14:15], off
	s_waitcnt vmcnt(0)
	v_fma_f64 v[0:1], v[3:4], v[10:11], v[8:9]
	v_fma_f64 v[2:3], v[3:4], v[12:13], v[5:6]
	global_store_b128 v[14:15], v[0:3], off
.LBB118_23:
	s_nop 0
	s_sendmsg sendmsg(MSG_DEALLOC_VGPRS)
	s_endpgm
	.section	.rodata,"a",@progbits
	.p2align	6, 0x0
	.amdhsa_kernel _ZN9rocsparseL19gebsrmvn_2xn_kernelILj128ELj10ELj16EdEEvi20rocsparse_direction_NS_24const_host_device_scalarIT2_EEPKiS6_PKS3_S8_S4_PS3_21rocsparse_index_base_b
		.amdhsa_group_segment_fixed_size 0
		.amdhsa_private_segment_fixed_size 0
		.amdhsa_kernarg_size 72
		.amdhsa_user_sgpr_count 15
		.amdhsa_user_sgpr_dispatch_ptr 0
		.amdhsa_user_sgpr_queue_ptr 0
		.amdhsa_user_sgpr_kernarg_segment_ptr 1
		.amdhsa_user_sgpr_dispatch_id 0
		.amdhsa_user_sgpr_private_segment_size 0
		.amdhsa_wavefront_size32 1
		.amdhsa_uses_dynamic_stack 0
		.amdhsa_enable_private_segment 0
		.amdhsa_system_sgpr_workgroup_id_x 1
		.amdhsa_system_sgpr_workgroup_id_y 0
		.amdhsa_system_sgpr_workgroup_id_z 0
		.amdhsa_system_sgpr_workgroup_info 0
		.amdhsa_system_vgpr_workitem_id 0
		.amdhsa_next_free_vgpr 74
		.amdhsa_next_free_sgpr 16
		.amdhsa_reserve_vcc 1
		.amdhsa_float_round_mode_32 0
		.amdhsa_float_round_mode_16_64 0
		.amdhsa_float_denorm_mode_32 3
		.amdhsa_float_denorm_mode_16_64 3
		.amdhsa_dx10_clamp 1
		.amdhsa_ieee_mode 1
		.amdhsa_fp16_overflow 0
		.amdhsa_workgroup_processor_mode 1
		.amdhsa_memory_ordered 1
		.amdhsa_forward_progress 0
		.amdhsa_shared_vgpr_count 0
		.amdhsa_exception_fp_ieee_invalid_op 0
		.amdhsa_exception_fp_denorm_src 0
		.amdhsa_exception_fp_ieee_div_zero 0
		.amdhsa_exception_fp_ieee_overflow 0
		.amdhsa_exception_fp_ieee_underflow 0
		.amdhsa_exception_fp_ieee_inexact 0
		.amdhsa_exception_int_div_zero 0
	.end_amdhsa_kernel
	.section	.text._ZN9rocsparseL19gebsrmvn_2xn_kernelILj128ELj10ELj16EdEEvi20rocsparse_direction_NS_24const_host_device_scalarIT2_EEPKiS6_PKS3_S8_S4_PS3_21rocsparse_index_base_b,"axG",@progbits,_ZN9rocsparseL19gebsrmvn_2xn_kernelILj128ELj10ELj16EdEEvi20rocsparse_direction_NS_24const_host_device_scalarIT2_EEPKiS6_PKS3_S8_S4_PS3_21rocsparse_index_base_b,comdat
.Lfunc_end118:
	.size	_ZN9rocsparseL19gebsrmvn_2xn_kernelILj128ELj10ELj16EdEEvi20rocsparse_direction_NS_24const_host_device_scalarIT2_EEPKiS6_PKS3_S8_S4_PS3_21rocsparse_index_base_b, .Lfunc_end118-_ZN9rocsparseL19gebsrmvn_2xn_kernelILj128ELj10ELj16EdEEvi20rocsparse_direction_NS_24const_host_device_scalarIT2_EEPKiS6_PKS3_S8_S4_PS3_21rocsparse_index_base_b
                                        ; -- End function
	.section	.AMDGPU.csdata,"",@progbits
; Kernel info:
; codeLenInByte = 2956
; NumSgprs: 18
; NumVgprs: 74
; ScratchSize: 0
; MemoryBound: 0
; FloatMode: 240
; IeeeMode: 1
; LDSByteSize: 0 bytes/workgroup (compile time only)
; SGPRBlocks: 2
; VGPRBlocks: 9
; NumSGPRsForWavesPerEU: 18
; NumVGPRsForWavesPerEU: 74
; Occupancy: 16
; WaveLimiterHint : 1
; COMPUTE_PGM_RSRC2:SCRATCH_EN: 0
; COMPUTE_PGM_RSRC2:USER_SGPR: 15
; COMPUTE_PGM_RSRC2:TRAP_HANDLER: 0
; COMPUTE_PGM_RSRC2:TGID_X_EN: 1
; COMPUTE_PGM_RSRC2:TGID_Y_EN: 0
; COMPUTE_PGM_RSRC2:TGID_Z_EN: 0
; COMPUTE_PGM_RSRC2:TIDIG_COMP_CNT: 0
	.section	.text._ZN9rocsparseL19gebsrmvn_2xn_kernelILj128ELj10ELj32EdEEvi20rocsparse_direction_NS_24const_host_device_scalarIT2_EEPKiS6_PKS3_S8_S4_PS3_21rocsparse_index_base_b,"axG",@progbits,_ZN9rocsparseL19gebsrmvn_2xn_kernelILj128ELj10ELj32EdEEvi20rocsparse_direction_NS_24const_host_device_scalarIT2_EEPKiS6_PKS3_S8_S4_PS3_21rocsparse_index_base_b,comdat
	.globl	_ZN9rocsparseL19gebsrmvn_2xn_kernelILj128ELj10ELj32EdEEvi20rocsparse_direction_NS_24const_host_device_scalarIT2_EEPKiS6_PKS3_S8_S4_PS3_21rocsparse_index_base_b ; -- Begin function _ZN9rocsparseL19gebsrmvn_2xn_kernelILj128ELj10ELj32EdEEvi20rocsparse_direction_NS_24const_host_device_scalarIT2_EEPKiS6_PKS3_S8_S4_PS3_21rocsparse_index_base_b
	.p2align	8
	.type	_ZN9rocsparseL19gebsrmvn_2xn_kernelILj128ELj10ELj32EdEEvi20rocsparse_direction_NS_24const_host_device_scalarIT2_EEPKiS6_PKS3_S8_S4_PS3_21rocsparse_index_base_b,@function
_ZN9rocsparseL19gebsrmvn_2xn_kernelILj128ELj10ELj32EdEEvi20rocsparse_direction_NS_24const_host_device_scalarIT2_EEPKiS6_PKS3_S8_S4_PS3_21rocsparse_index_base_b: ; @_ZN9rocsparseL19gebsrmvn_2xn_kernelILj128ELj10ELj32EdEEvi20rocsparse_direction_NS_24const_host_device_scalarIT2_EEPKiS6_PKS3_S8_S4_PS3_21rocsparse_index_base_b
; %bb.0:
	s_clause 0x2
	s_load_b64 s[12:13], s[0:1], 0x40
	s_load_b64 s[4:5], s[0:1], 0x8
	;; [unrolled: 1-line block ×3, first 2 shown]
	s_waitcnt lgkmcnt(0)
	s_bitcmp1_b32 s13, 0
	v_dual_mov_b32 v1, s4 :: v_dual_mov_b32 v2, s5
	s_cselect_b32 s6, -1, 0
	s_delay_alu instid0(SALU_CYCLE_1)
	s_and_b32 vcc_lo, exec_lo, s6
	s_xor_b32 s6, s6, -1
	s_cbranch_vccnz .LBB119_2
; %bb.1:
	v_dual_mov_b32 v1, s4 :: v_dual_mov_b32 v2, s5
	flat_load_b64 v[1:2], v[1:2]
.LBB119_2:
	v_dual_mov_b32 v4, s3 :: v_dual_mov_b32 v3, s2
	s_and_not1_b32 vcc_lo, exec_lo, s6
	s_cbranch_vccnz .LBB119_4
; %bb.3:
	v_dual_mov_b32 v4, s3 :: v_dual_mov_b32 v3, s2
	flat_load_b64 v[3:4], v[3:4]
.LBB119_4:
	s_waitcnt vmcnt(0) lgkmcnt(0)
	v_cmp_neq_f64_e32 vcc_lo, 0, v[1:2]
	v_cmp_neq_f64_e64 s2, 1.0, v[3:4]
	s_delay_alu instid0(VALU_DEP_1) | instskip(NEXT) | instid1(SALU_CYCLE_1)
	s_or_b32 s2, vcc_lo, s2
	s_and_saveexec_b32 s3, s2
	s_cbranch_execz .LBB119_23
; %bb.5:
	s_load_b64 s[2:3], s[0:1], 0x0
	v_lshrrev_b32_e32 v5, 5, v0
	s_delay_alu instid0(VALU_DEP_1) | instskip(SKIP_1) | instid1(VALU_DEP_1)
	v_lshl_or_b32 v5, s15, 2, v5
	s_waitcnt lgkmcnt(0)
	v_cmp_gt_i32_e32 vcc_lo, s2, v5
	s_and_b32 exec_lo, exec_lo, vcc_lo
	s_cbranch_execz .LBB119_23
; %bb.6:
	s_load_b256 s[4:11], s[0:1], 0x10
	v_ashrrev_i32_e32 v6, 31, v5
	v_and_b32_e32 v0, 31, v0
	s_cmp_lg_u32 s3, 0
	s_delay_alu instid0(VALU_DEP_2) | instskip(SKIP_1) | instid1(VALU_DEP_1)
	v_lshlrev_b64 v[6:7], 2, v[5:6]
	s_waitcnt lgkmcnt(0)
	v_add_co_u32 v6, vcc_lo, s4, v6
	s_delay_alu instid0(VALU_DEP_2) | instskip(SKIP_4) | instid1(VALU_DEP_2)
	v_add_co_ci_u32_e32 v7, vcc_lo, s5, v7, vcc_lo
	global_load_b64 v[6:7], v[6:7], off
	s_waitcnt vmcnt(0)
	v_subrev_nc_u32_e32 v6, s12, v6
	v_subrev_nc_u32_e32 v17, s12, v7
	v_add_nc_u32_e32 v6, v6, v0
	s_delay_alu instid0(VALU_DEP_1)
	v_cmp_lt_i32_e64 s2, v6, v17
	s_cbranch_scc0 .LBB119_12
; %bb.7:
	v_mov_b32_e32 v8, 0
	v_mov_b32_e32 v9, 0
	s_delay_alu instid0(VALU_DEP_1)
	v_dual_mov_b32 v11, v9 :: v_dual_mov_b32 v10, v8
	s_and_saveexec_b32 s3, s2
	s_cbranch_execz .LBB119_11
; %bb.8:
	v_dual_mov_b32 v8, 0 :: v_dual_mov_b32 v15, v6
	v_dual_mov_b32 v9, 0 :: v_dual_mov_b32 v14, 0
	v_mad_u64_u32 v[12:13], null, v6, 20, 18
	s_mov_b32 s4, 0
	s_delay_alu instid0(VALU_DEP_2)
	v_dual_mov_b32 v11, v9 :: v_dual_mov_b32 v10, v8
.LBB119_9:                              ; =>This Inner Loop Header: Depth=1
	v_ashrrev_i32_e32 v16, 31, v15
	s_delay_alu instid0(VALU_DEP_3) | instskip(SKIP_1) | instid1(VALU_DEP_3)
	v_subrev_nc_u32_e32 v13, 18, v12
	v_mov_b32_e32 v67, v14
	v_lshlrev_b64 v[18:19], 2, v[15:16]
	v_add_nc_u32_e32 v15, 32, v15
	s_delay_alu instid0(VALU_DEP_2) | instskip(NEXT) | instid1(VALU_DEP_3)
	v_add_co_u32 v18, vcc_lo, s6, v18
	v_add_co_ci_u32_e32 v19, vcc_lo, s7, v19, vcc_lo
	global_load_b32 v7, v[18:19], off
	v_lshlrev_b64 v[18:19], 3, v[13:14]
	v_add_nc_u32_e32 v13, -14, v12
	s_delay_alu instid0(VALU_DEP_1) | instskip(NEXT) | instid1(VALU_DEP_3)
	v_lshlrev_b64 v[30:31], 3, v[13:14]
	v_add_co_u32 v22, vcc_lo, s8, v18
	s_delay_alu instid0(VALU_DEP_4) | instskip(SKIP_2) | instid1(VALU_DEP_1)
	v_add_co_ci_u32_e32 v23, vcc_lo, s9, v19, vcc_lo
	s_waitcnt vmcnt(0)
	v_subrev_nc_u32_e32 v7, s12, v7
	v_mul_lo_u32 v66, v7, 10
	s_delay_alu instid0(VALU_DEP_1) | instskip(SKIP_1) | instid1(VALU_DEP_1)
	v_lshlrev_b64 v[20:21], 3, v[66:67]
	v_add_nc_u32_e32 v13, 2, v66
	v_lshlrev_b64 v[32:33], 3, v[13:14]
	s_delay_alu instid0(VALU_DEP_3) | instskip(NEXT) | instid1(VALU_DEP_4)
	v_add_co_u32 v26, vcc_lo, s10, v20
	v_add_co_ci_u32_e32 v27, vcc_lo, s11, v21, vcc_lo
	s_clause 0x1
	global_load_b128 v[18:21], v[22:23], off offset:16
	global_load_b128 v[22:25], v[22:23], off
	global_load_b128 v[26:29], v[26:27], off
	v_add_co_u32 v30, vcc_lo, s8, v30
	v_add_co_ci_u32_e32 v31, vcc_lo, s9, v31, vcc_lo
	v_add_co_u32 v34, vcc_lo, s10, v32
	v_add_co_ci_u32_e32 v35, vcc_lo, s11, v33, vcc_lo
	global_load_b128 v[30:33], v[30:31], off
	global_load_b128 v[34:37], v[34:35], off
	v_add_nc_u32_e32 v13, -12, v12
	s_delay_alu instid0(VALU_DEP_1) | instskip(SKIP_1) | instid1(VALU_DEP_2)
	v_lshlrev_b64 v[38:39], 3, v[13:14]
	v_add_nc_u32_e32 v13, -10, v12
	v_add_co_u32 v38, vcc_lo, s8, v38
	s_delay_alu instid0(VALU_DEP_3) | instskip(NEXT) | instid1(VALU_DEP_3)
	v_add_co_ci_u32_e32 v39, vcc_lo, s9, v39, vcc_lo
	v_lshlrev_b64 v[42:43], 3, v[13:14]
	v_add_nc_u32_e32 v13, 4, v66
	global_load_b128 v[38:41], v[38:39], off
	v_lshlrev_b64 v[44:45], 3, v[13:14]
	v_add_co_u32 v42, vcc_lo, s8, v42
	v_add_co_ci_u32_e32 v43, vcc_lo, s9, v43, vcc_lo
	v_add_nc_u32_e32 v13, -8, v12
	s_delay_alu instid0(VALU_DEP_4)
	v_add_co_u32 v46, vcc_lo, s10, v44
	v_add_co_ci_u32_e32 v47, vcc_lo, s11, v45, vcc_lo
	global_load_b128 v[42:45], v[42:43], off
	global_load_b128 v[46:49], v[46:47], off
	v_lshlrev_b64 v[50:51], 3, v[13:14]
	v_add_nc_u32_e32 v13, -6, v12
	s_delay_alu instid0(VALU_DEP_2) | instskip(NEXT) | instid1(VALU_DEP_3)
	v_add_co_u32 v50, vcc_lo, s8, v50
	v_add_co_ci_u32_e32 v51, vcc_lo, s9, v51, vcc_lo
	s_delay_alu instid0(VALU_DEP_3)
	v_lshlrev_b64 v[54:55], 3, v[13:14]
	v_add_nc_u32_e32 v13, 6, v66
	global_load_b128 v[50:53], v[50:51], off
	v_lshlrev_b64 v[56:57], 3, v[13:14]
	v_add_co_u32 v54, vcc_lo, s8, v54
	v_add_co_ci_u32_e32 v55, vcc_lo, s9, v55, vcc_lo
	v_add_nc_u32_e32 v13, -4, v12
	s_delay_alu instid0(VALU_DEP_4)
	v_add_co_u32 v58, vcc_lo, s10, v56
	v_add_co_ci_u32_e32 v59, vcc_lo, s11, v57, vcc_lo
	global_load_b128 v[54:57], v[54:55], off
	global_load_b128 v[58:61], v[58:59], off
	v_lshlrev_b64 v[62:63], 3, v[13:14]
	v_add_nc_u32_e32 v13, -2, v12
	s_delay_alu instid0(VALU_DEP_2) | instskip(NEXT) | instid1(VALU_DEP_3)
	v_add_co_u32 v62, vcc_lo, s8, v62
	v_add_co_ci_u32_e32 v63, vcc_lo, s9, v63, vcc_lo
	s_delay_alu instid0(VALU_DEP_3)
	v_lshlrev_b64 v[67:68], 3, v[13:14]
	v_add_nc_u32_e32 v13, 8, v66
	global_load_b128 v[62:65], v[62:63], off
	v_lshlrev_b64 v[69:70], 3, v[13:14]
	v_add_co_u32 v66, vcc_lo, s8, v67
	v_add_co_ci_u32_e32 v67, vcc_lo, s9, v68, vcc_lo
	v_mov_b32_e32 v13, v14
	s_delay_alu instid0(VALU_DEP_4)
	v_add_co_u32 v71, vcc_lo, s10, v69
	v_add_co_ci_u32_e32 v72, vcc_lo, s11, v70, vcc_lo
	global_load_b128 v[66:69], v[66:67], off
	global_load_b128 v[70:73], v[71:72], off
	s_waitcnt vmcnt(11)
	v_fma_f64 v[22:23], v[22:23], v[26:27], v[8:9]
	v_fma_f64 v[24:25], v[24:25], v[26:27], v[10:11]
	v_lshlrev_b64 v[7:8], 3, v[12:13]
	v_add_nc_u32_e32 v12, 0x280, v12
	s_delay_alu instid0(VALU_DEP_2) | instskip(NEXT) | instid1(VALU_DEP_3)
	v_add_co_u32 v7, vcc_lo, s8, v7
	v_add_co_ci_u32_e32 v8, vcc_lo, s9, v8, vcc_lo
	v_cmp_ge_i32_e32 vcc_lo, v15, v17
	global_load_b128 v[8:11], v[7:8], off
	s_or_b32 s4, vcc_lo, s4
	v_fma_f64 v[18:19], v[18:19], v[28:29], v[22:23]
	v_fma_f64 v[20:21], v[20:21], v[28:29], v[24:25]
	s_waitcnt vmcnt(10)
	s_delay_alu instid0(VALU_DEP_2) | instskip(NEXT) | instid1(VALU_DEP_2)
	v_fma_f64 v[18:19], v[30:31], v[34:35], v[18:19]
	v_fma_f64 v[20:21], v[32:33], v[34:35], v[20:21]
	s_waitcnt vmcnt(9)
	s_delay_alu instid0(VALU_DEP_2) | instskip(NEXT) | instid1(VALU_DEP_2)
	;; [unrolled: 4-line block ×8, first 2 shown]
	v_fma_f64 v[8:9], v[8:9], v[72:73], v[18:19]
	v_fma_f64 v[10:11], v[10:11], v[72:73], v[20:21]
	s_and_not1_b32 exec_lo, exec_lo, s4
	s_cbranch_execnz .LBB119_9
; %bb.10:
	s_or_b32 exec_lo, exec_lo, s4
.LBB119_11:
	s_delay_alu instid0(SALU_CYCLE_1)
	s_or_b32 exec_lo, exec_lo, s3
	s_cbranch_execz .LBB119_13
	s_branch .LBB119_18
.LBB119_12:
                                        ; implicit-def: $vgpr8_vgpr9
                                        ; implicit-def: $vgpr10_vgpr11
.LBB119_13:
	v_mov_b32_e32 v8, 0
	v_mov_b32_e32 v9, 0
	s_delay_alu instid0(VALU_DEP_1)
	v_dual_mov_b32 v11, v9 :: v_dual_mov_b32 v10, v8
	s_and_saveexec_b32 s3, s2
	s_cbranch_execz .LBB119_17
; %bb.14:
	v_mov_b32_e32 v8, 0
	v_dual_mov_b32 v9, 0 :: v_dual_mov_b32 v14, 0
	v_mad_u64_u32 v[12:13], null, v6, 20, 19
	s_mov_b32 s2, 0
	s_delay_alu instid0(VALU_DEP_2)
	v_dual_mov_b32 v11, v9 :: v_dual_mov_b32 v10, v8
.LBB119_15:                             ; =>This Inner Loop Header: Depth=1
	v_ashrrev_i32_e32 v7, 31, v6
	s_delay_alu instid0(VALU_DEP_3) | instskip(SKIP_1) | instid1(VALU_DEP_3)
	v_subrev_nc_u32_e32 v13, 19, v12
	v_mov_b32_e32 v43, v14
	v_lshlrev_b64 v[15:16], 2, v[6:7]
	v_add_nc_u32_e32 v6, 32, v6
	s_delay_alu instid0(VALU_DEP_4) | instskip(SKIP_1) | instid1(VALU_DEP_4)
	v_lshlrev_b64 v[18:19], 3, v[13:14]
	v_add_nc_u32_e32 v13, -8, v12
	v_add_co_u32 v15, vcc_lo, s6, v15
	v_add_co_ci_u32_e32 v16, vcc_lo, s7, v16, vcc_lo
	s_delay_alu instid0(VALU_DEP_4) | instskip(SKIP_4) | instid1(VALU_DEP_2)
	v_add_co_u32 v22, vcc_lo, s8, v18
	v_add_co_ci_u32_e32 v23, vcc_lo, s9, v19, vcc_lo
	global_load_b32 v7, v[15:16], off
	v_dual_mov_b32 v16, v14 :: v_dual_add_nc_u32 v15, -9, v12
	v_lshlrev_b64 v[30:31], 3, v[13:14]
	v_lshlrev_b64 v[15:16], 3, v[15:16]
	s_delay_alu instid0(VALU_DEP_1) | instskip(NEXT) | instid1(VALU_DEP_2)
	v_add_co_u32 v15, vcc_lo, s8, v15
	v_add_co_ci_u32_e32 v16, vcc_lo, s9, v16, vcc_lo
	s_waitcnt vmcnt(0)
	v_subrev_nc_u32_e32 v7, s12, v7
	s_delay_alu instid0(VALU_DEP_1) | instskip(NEXT) | instid1(VALU_DEP_1)
	v_mul_lo_u32 v42, v7, 10
	v_lshlrev_b64 v[18:19], 3, v[42:43]
	v_add_nc_u32_e32 v13, 2, v42
	s_delay_alu instid0(VALU_DEP_2) | instskip(NEXT) | instid1(VALU_DEP_3)
	v_add_co_u32 v26, vcc_lo, s10, v18
	v_add_co_ci_u32_e32 v27, vcc_lo, s11, v19, vcc_lo
	s_clause 0x2
	global_load_b128 v[18:21], v[22:23], off offset:16
	global_load_b128 v[22:25], v[22:23], off
	global_load_b64 v[15:16], v[15:16], off
	global_load_b128 v[26:29], v[26:27], off
	v_add_co_u32 v30, vcc_lo, s8, v30
	v_add_co_ci_u32_e32 v31, vcc_lo, s9, v31, vcc_lo
	global_load_b64 v[46:47], v[30:31], off
	v_lshlrev_b64 v[30:31], 3, v[13:14]
	v_add_nc_u32_e32 v13, -7, v12
	s_delay_alu instid0(VALU_DEP_1) | instskip(NEXT) | instid1(VALU_DEP_3)
	v_lshlrev_b64 v[32:33], 3, v[13:14]
	v_add_co_u32 v30, vcc_lo, s10, v30
	s_delay_alu instid0(VALU_DEP_4) | instskip(SKIP_1) | instid1(VALU_DEP_4)
	v_add_co_ci_u32_e32 v31, vcc_lo, s11, v31, vcc_lo
	v_add_nc_u32_e32 v13, -6, v12
	v_add_co_u32 v34, vcc_lo, s8, v32
	v_add_co_ci_u32_e32 v35, vcc_lo, s9, v33, vcc_lo
	global_load_b128 v[30:33], v[30:31], off
	global_load_b64 v[48:49], v[34:35], off
	v_lshlrev_b64 v[34:35], 3, v[13:14]
	v_add_nc_u32_e32 v13, -15, v12
	s_delay_alu instid0(VALU_DEP_2) | instskip(NEXT) | instid1(VALU_DEP_3)
	v_add_co_u32 v34, vcc_lo, s8, v34
	v_add_co_ci_u32_e32 v35, vcc_lo, s9, v35, vcc_lo
	global_load_b64 v[50:51], v[34:35], off
	v_lshlrev_b64 v[34:35], 3, v[13:14]
	v_add_nc_u32_e32 v13, 4, v42
	s_delay_alu instid0(VALU_DEP_1) | instskip(SKIP_1) | instid1(VALU_DEP_4)
	v_lshlrev_b64 v[36:37], 3, v[13:14]
	v_add_nc_u32_e32 v13, -5, v12
	v_add_co_u32 v34, vcc_lo, s8, v34
	v_add_co_ci_u32_e32 v35, vcc_lo, s9, v35, vcc_lo
	s_delay_alu instid0(VALU_DEP_3) | instskip(SKIP_3) | instid1(VALU_DEP_4)
	v_lshlrev_b64 v[38:39], 3, v[13:14]
	v_add_co_u32 v36, vcc_lo, s10, v36
	v_add_co_ci_u32_e32 v37, vcc_lo, s11, v37, vcc_lo
	v_add_nc_u32_e32 v13, -14, v12
	v_add_co_u32 v38, vcc_lo, s8, v38
	v_add_co_ci_u32_e32 v39, vcc_lo, s9, v39, vcc_lo
	global_load_b64 v[52:53], v[34:35], off
	global_load_b128 v[34:37], v[36:37], off
	global_load_b64 v[54:55], v[38:39], off
	v_lshlrev_b64 v[38:39], 3, v[13:14]
	v_add_nc_u32_e32 v13, -4, v12
	s_delay_alu instid0(VALU_DEP_1) | instskip(NEXT) | instid1(VALU_DEP_3)
	v_lshlrev_b64 v[40:41], 3, v[13:14]
	v_add_co_u32 v38, vcc_lo, s8, v38
	s_delay_alu instid0(VALU_DEP_4) | instskip(SKIP_1) | instid1(VALU_DEP_4)
	v_add_co_ci_u32_e32 v39, vcc_lo, s9, v39, vcc_lo
	v_add_nc_u32_e32 v13, -13, v12
	v_add_co_u32 v40, vcc_lo, s8, v40
	v_add_co_ci_u32_e32 v41, vcc_lo, s9, v41, vcc_lo
	s_clause 0x1
	global_load_b64 v[56:57], v[38:39], off
	global_load_b64 v[58:59], v[40:41], off
	v_lshlrev_b64 v[38:39], 3, v[13:14]
	v_add_nc_u32_e32 v13, 6, v42
	s_delay_alu instid0(VALU_DEP_1) | instskip(SKIP_1) | instid1(VALU_DEP_4)
	v_lshlrev_b64 v[40:41], 3, v[13:14]
	v_add_nc_u32_e32 v13, -3, v12
	v_add_co_u32 v38, vcc_lo, s8, v38
	v_add_co_ci_u32_e32 v39, vcc_lo, s9, v39, vcc_lo
	s_delay_alu instid0(VALU_DEP_3) | instskip(SKIP_3) | instid1(VALU_DEP_4)
	v_lshlrev_b64 v[43:44], 3, v[13:14]
	v_add_co_u32 v40, vcc_lo, s10, v40
	v_add_co_ci_u32_e32 v41, vcc_lo, s11, v41, vcc_lo
	v_add_nc_u32_e32 v13, -12, v12
	v_add_co_u32 v43, vcc_lo, s8, v43
	v_add_co_ci_u32_e32 v44, vcc_lo, s9, v44, vcc_lo
	global_load_b64 v[60:61], v[38:39], off
	global_load_b128 v[38:41], v[40:41], off
	global_load_b64 v[62:63], v[43:44], off
	v_lshlrev_b64 v[43:44], 3, v[13:14]
	v_add_nc_u32_e32 v13, -2, v12
	s_delay_alu instid0(VALU_DEP_1) | instskip(NEXT) | instid1(VALU_DEP_3)
	v_lshlrev_b64 v[64:65], 3, v[13:14]
	v_add_co_u32 v43, vcc_lo, s8, v43
	s_delay_alu instid0(VALU_DEP_4) | instskip(SKIP_1) | instid1(VALU_DEP_4)
	v_add_co_ci_u32_e32 v44, vcc_lo, s9, v44, vcc_lo
	v_add_nc_u32_e32 v13, -11, v12
	v_add_co_u32 v64, vcc_lo, s8, v64
	v_add_co_ci_u32_e32 v65, vcc_lo, s9, v65, vcc_lo
	s_clause 0x1
	global_load_b64 v[66:67], v[43:44], off
	global_load_b64 v[64:65], v[64:65], off
	v_lshlrev_b64 v[43:44], 3, v[13:14]
	v_add_nc_u32_e32 v13, 8, v42
	s_delay_alu instid0(VALU_DEP_1) | instskip(SKIP_1) | instid1(VALU_DEP_4)
	v_lshlrev_b64 v[68:69], 3, v[13:14]
	v_add_nc_u32_e32 v13, -1, v12
	v_add_co_u32 v42, vcc_lo, s8, v43
	v_add_co_ci_u32_e32 v43, vcc_lo, s9, v44, vcc_lo
	s_delay_alu instid0(VALU_DEP_3) | instskip(SKIP_3) | instid1(VALU_DEP_4)
	v_lshlrev_b64 v[44:45], 3, v[13:14]
	v_add_co_u32 v68, vcc_lo, s10, v68
	v_add_co_ci_u32_e32 v69, vcc_lo, s11, v69, vcc_lo
	v_mov_b32_e32 v13, v14
	v_add_co_u32 v70, vcc_lo, s8, v44
	v_add_co_ci_u32_e32 v71, vcc_lo, s9, v45, vcc_lo
	global_load_b64 v[72:73], v[42:43], off
	global_load_b128 v[42:45], v[68:69], off
	global_load_b64 v[68:69], v[70:71], off
	s_waitcnt vmcnt(17)
	v_fma_f64 v[7:8], v[22:23], v[26:27], v[8:9]
	v_fma_f64 v[9:10], v[15:16], v[26:27], v[10:11]
	v_lshlrev_b64 v[15:16], 3, v[12:13]
	v_add_nc_u32_e32 v13, -10, v12
	v_add_nc_u32_e32 v12, 0x280, v12
	s_delay_alu instid0(VALU_DEP_2) | instskip(NEXT) | instid1(VALU_DEP_4)
	v_lshlrev_b64 v[22:23], 3, v[13:14]
	v_add_co_u32 v15, vcc_lo, s8, v15
	v_add_co_ci_u32_e32 v16, vcc_lo, s9, v16, vcc_lo
	s_delay_alu instid0(VALU_DEP_3) | instskip(NEXT) | instid1(VALU_DEP_4)
	v_add_co_u32 v22, vcc_lo, s8, v22
	v_add_co_ci_u32_e32 v23, vcc_lo, s9, v23, vcc_lo
	s_clause 0x1
	global_load_b64 v[22:23], v[22:23], off
	global_load_b64 v[15:16], v[15:16], off
	v_cmp_ge_i32_e32 vcc_lo, v6, v17
	s_or_b32 s2, vcc_lo, s2
	v_fma_f64 v[7:8], v[24:25], v[28:29], v[7:8]
	s_waitcnt vmcnt(18)
	v_fma_f64 v[9:10], v[46:47], v[28:29], v[9:10]
	s_waitcnt vmcnt(17)
	s_delay_alu instid0(VALU_DEP_2) | instskip(SKIP_1) | instid1(VALU_DEP_2)
	v_fma_f64 v[7:8], v[18:19], v[30:31], v[7:8]
	s_waitcnt vmcnt(16)
	v_fma_f64 v[9:10], v[48:49], v[30:31], v[9:10]
	s_delay_alu instid0(VALU_DEP_2) | instskip(SKIP_1) | instid1(VALU_DEP_2)
	v_fma_f64 v[7:8], v[20:21], v[32:33], v[7:8]
	s_waitcnt vmcnt(15)
	v_fma_f64 v[9:10], v[50:51], v[32:33], v[9:10]
	s_waitcnt vmcnt(13)
	s_delay_alu instid0(VALU_DEP_2) | instskip(SKIP_1) | instid1(VALU_DEP_2)
	v_fma_f64 v[7:8], v[52:53], v[34:35], v[7:8]
	s_waitcnt vmcnt(12)
	v_fma_f64 v[9:10], v[54:55], v[34:35], v[9:10]
	s_waitcnt vmcnt(11)
	;; [unrolled: 5-line block ×6, first 2 shown]
	s_delay_alu instid0(VALU_DEP_2) | instskip(SKIP_1) | instid1(VALU_DEP_2)
	v_fma_f64 v[8:9], v[22:23], v[44:45], v[7:8]
	s_waitcnt vmcnt(0)
	v_fma_f64 v[10:11], v[15:16], v[44:45], v[10:11]
	s_and_not1_b32 exec_lo, exec_lo, s2
	s_cbranch_execnz .LBB119_15
; %bb.16:
	s_or_b32 exec_lo, exec_lo, s2
.LBB119_17:
	s_delay_alu instid0(SALU_CYCLE_1)
	s_or_b32 exec_lo, exec_lo, s3
.LBB119_18:
	v_mbcnt_lo_u32_b32 v14, -1, 0
	s_delay_alu instid0(VALU_DEP_1) | instskip(NEXT) | instid1(VALU_DEP_1)
	v_xor_b32_e32 v6, 16, v14
	v_cmp_gt_i32_e32 vcc_lo, 32, v6
	v_cndmask_b32_e32 v6, v14, v6, vcc_lo
	s_delay_alu instid0(VALU_DEP_1)
	v_lshlrev_b32_e32 v13, 2, v6
	ds_bpermute_b32 v6, v13, v8
	ds_bpermute_b32 v7, v13, v9
	;; [unrolled: 1-line block ×4, first 2 shown]
	s_waitcnt lgkmcnt(2)
	v_add_f64 v[6:7], v[8:9], v[6:7]
	s_waitcnt lgkmcnt(0)
	v_add_f64 v[8:9], v[10:11], v[12:13]
	v_xor_b32_e32 v10, 8, v14
	s_delay_alu instid0(VALU_DEP_1) | instskip(SKIP_1) | instid1(VALU_DEP_1)
	v_cmp_gt_i32_e32 vcc_lo, 32, v10
	v_cndmask_b32_e32 v10, v14, v10, vcc_lo
	v_lshlrev_b32_e32 v13, 2, v10
	ds_bpermute_b32 v10, v13, v6
	ds_bpermute_b32 v11, v13, v7
	;; [unrolled: 1-line block ×4, first 2 shown]
	s_waitcnt lgkmcnt(2)
	v_add_f64 v[6:7], v[6:7], v[10:11]
	v_xor_b32_e32 v10, 4, v14
	s_waitcnt lgkmcnt(0)
	v_add_f64 v[8:9], v[8:9], v[12:13]
	s_delay_alu instid0(VALU_DEP_2) | instskip(SKIP_1) | instid1(VALU_DEP_1)
	v_cmp_gt_i32_e32 vcc_lo, 32, v10
	v_cndmask_b32_e32 v10, v14, v10, vcc_lo
	v_lshlrev_b32_e32 v13, 2, v10
	ds_bpermute_b32 v10, v13, v6
	ds_bpermute_b32 v11, v13, v7
	;; [unrolled: 1-line block ×4, first 2 shown]
	s_waitcnt lgkmcnt(2)
	v_add_f64 v[6:7], v[6:7], v[10:11]
	v_xor_b32_e32 v10, 2, v14
	s_waitcnt lgkmcnt(0)
	v_add_f64 v[8:9], v[8:9], v[12:13]
	s_delay_alu instid0(VALU_DEP_2) | instskip(SKIP_1) | instid1(VALU_DEP_1)
	v_cmp_gt_i32_e32 vcc_lo, 32, v10
	v_cndmask_b32_e32 v10, v14, v10, vcc_lo
	v_lshlrev_b32_e32 v13, 2, v10
	ds_bpermute_b32 v10, v13, v6
	ds_bpermute_b32 v11, v13, v7
	;; [unrolled: 1-line block ×4, first 2 shown]
	s_waitcnt lgkmcnt(2)
	v_add_f64 v[6:7], v[6:7], v[10:11]
	s_waitcnt lgkmcnt(0)
	v_add_f64 v[10:11], v[8:9], v[12:13]
	v_xor_b32_e32 v8, 1, v14
	s_delay_alu instid0(VALU_DEP_1) | instskip(SKIP_2) | instid1(VALU_DEP_2)
	v_cmp_gt_i32_e32 vcc_lo, 32, v8
	v_cndmask_b32_e32 v8, v14, v8, vcc_lo
	v_cmp_eq_u32_e32 vcc_lo, 31, v0
	v_lshlrev_b32_e32 v13, 2, v8
	ds_bpermute_b32 v8, v13, v6
	ds_bpermute_b32 v9, v13, v7
	;; [unrolled: 1-line block ×4, first 2 shown]
	s_and_b32 exec_lo, exec_lo, vcc_lo
	s_cbranch_execz .LBB119_23
; %bb.19:
	s_waitcnt lgkmcnt(2)
	v_add_f64 v[8:9], v[6:7], v[8:9]
	s_waitcnt lgkmcnt(0)
	v_add_f64 v[6:7], v[10:11], v[12:13]
	s_load_b64 s[0:1], s[0:1], 0x38
	s_mov_b32 s2, exec_lo
	v_cmpx_eq_f64_e32 0, v[3:4]
	s_xor_b32 s2, exec_lo, s2
	s_cbranch_execz .LBB119_21
; %bb.20:
	s_delay_alu instid0(VALU_DEP_3) | instskip(NEXT) | instid1(VALU_DEP_3)
	v_mul_f64 v[8:9], v[1:2], v[8:9]
	v_mul_f64 v[10:11], v[1:2], v[6:7]
	v_lshlrev_b32_e32 v0, 1, v5
                                        ; implicit-def: $vgpr5
                                        ; implicit-def: $vgpr3_vgpr4
                                        ; implicit-def: $vgpr6_vgpr7
	s_delay_alu instid0(VALU_DEP_1) | instskip(NEXT) | instid1(VALU_DEP_1)
	v_ashrrev_i32_e32 v1, 31, v0
	v_lshlrev_b64 v[0:1], 3, v[0:1]
	s_waitcnt lgkmcnt(0)
	s_delay_alu instid0(VALU_DEP_1) | instskip(NEXT) | instid1(VALU_DEP_2)
	v_add_co_u32 v0, vcc_lo, s0, v0
	v_add_co_ci_u32_e32 v1, vcc_lo, s1, v1, vcc_lo
	global_store_b128 v[0:1], v[8:11], off
                                        ; implicit-def: $vgpr1_vgpr2
                                        ; implicit-def: $vgpr8_vgpr9
.LBB119_21:
	s_and_not1_saveexec_b32 s2, s2
	s_cbranch_execz .LBB119_23
; %bb.22:
	v_lshlrev_b32_e32 v10, 1, v5
	s_delay_alu instid0(VALU_DEP_4) | instskip(NEXT) | instid1(VALU_DEP_4)
	v_mul_f64 v[8:9], v[1:2], v[8:9]
	v_mul_f64 v[5:6], v[1:2], v[6:7]
	s_delay_alu instid0(VALU_DEP_3) | instskip(NEXT) | instid1(VALU_DEP_1)
	v_ashrrev_i32_e32 v11, 31, v10
	v_lshlrev_b64 v[10:11], 3, v[10:11]
	s_waitcnt lgkmcnt(0)
	s_delay_alu instid0(VALU_DEP_1) | instskip(NEXT) | instid1(VALU_DEP_2)
	v_add_co_u32 v14, vcc_lo, s0, v10
	v_add_co_ci_u32_e32 v15, vcc_lo, s1, v11, vcc_lo
	global_load_b128 v[10:13], v[14:15], off
	s_waitcnt vmcnt(0)
	v_fma_f64 v[0:1], v[3:4], v[10:11], v[8:9]
	v_fma_f64 v[2:3], v[3:4], v[12:13], v[5:6]
	global_store_b128 v[14:15], v[0:3], off
.LBB119_23:
	s_nop 0
	s_sendmsg sendmsg(MSG_DEALLOC_VGPRS)
	s_endpgm
	.section	.rodata,"a",@progbits
	.p2align	6, 0x0
	.amdhsa_kernel _ZN9rocsparseL19gebsrmvn_2xn_kernelILj128ELj10ELj32EdEEvi20rocsparse_direction_NS_24const_host_device_scalarIT2_EEPKiS6_PKS3_S8_S4_PS3_21rocsparse_index_base_b
		.amdhsa_group_segment_fixed_size 0
		.amdhsa_private_segment_fixed_size 0
		.amdhsa_kernarg_size 72
		.amdhsa_user_sgpr_count 15
		.amdhsa_user_sgpr_dispatch_ptr 0
		.amdhsa_user_sgpr_queue_ptr 0
		.amdhsa_user_sgpr_kernarg_segment_ptr 1
		.amdhsa_user_sgpr_dispatch_id 0
		.amdhsa_user_sgpr_private_segment_size 0
		.amdhsa_wavefront_size32 1
		.amdhsa_uses_dynamic_stack 0
		.amdhsa_enable_private_segment 0
		.amdhsa_system_sgpr_workgroup_id_x 1
		.amdhsa_system_sgpr_workgroup_id_y 0
		.amdhsa_system_sgpr_workgroup_id_z 0
		.amdhsa_system_sgpr_workgroup_info 0
		.amdhsa_system_vgpr_workitem_id 0
		.amdhsa_next_free_vgpr 74
		.amdhsa_next_free_sgpr 16
		.amdhsa_reserve_vcc 1
		.amdhsa_float_round_mode_32 0
		.amdhsa_float_round_mode_16_64 0
		.amdhsa_float_denorm_mode_32 3
		.amdhsa_float_denorm_mode_16_64 3
		.amdhsa_dx10_clamp 1
		.amdhsa_ieee_mode 1
		.amdhsa_fp16_overflow 0
		.amdhsa_workgroup_processor_mode 1
		.amdhsa_memory_ordered 1
		.amdhsa_forward_progress 0
		.amdhsa_shared_vgpr_count 0
		.amdhsa_exception_fp_ieee_invalid_op 0
		.amdhsa_exception_fp_denorm_src 0
		.amdhsa_exception_fp_ieee_div_zero 0
		.amdhsa_exception_fp_ieee_overflow 0
		.amdhsa_exception_fp_ieee_underflow 0
		.amdhsa_exception_fp_ieee_inexact 0
		.amdhsa_exception_int_div_zero 0
	.end_amdhsa_kernel
	.section	.text._ZN9rocsparseL19gebsrmvn_2xn_kernelILj128ELj10ELj32EdEEvi20rocsparse_direction_NS_24const_host_device_scalarIT2_EEPKiS6_PKS3_S8_S4_PS3_21rocsparse_index_base_b,"axG",@progbits,_ZN9rocsparseL19gebsrmvn_2xn_kernelILj128ELj10ELj32EdEEvi20rocsparse_direction_NS_24const_host_device_scalarIT2_EEPKiS6_PKS3_S8_S4_PS3_21rocsparse_index_base_b,comdat
.Lfunc_end119:
	.size	_ZN9rocsparseL19gebsrmvn_2xn_kernelILj128ELj10ELj32EdEEvi20rocsparse_direction_NS_24const_host_device_scalarIT2_EEPKiS6_PKS3_S8_S4_PS3_21rocsparse_index_base_b, .Lfunc_end119-_ZN9rocsparseL19gebsrmvn_2xn_kernelILj128ELj10ELj32EdEEvi20rocsparse_direction_NS_24const_host_device_scalarIT2_EEPKiS6_PKS3_S8_S4_PS3_21rocsparse_index_base_b
                                        ; -- End function
	.section	.AMDGPU.csdata,"",@progbits
; Kernel info:
; codeLenInByte = 3032
; NumSgprs: 18
; NumVgprs: 74
; ScratchSize: 0
; MemoryBound: 0
; FloatMode: 240
; IeeeMode: 1
; LDSByteSize: 0 bytes/workgroup (compile time only)
; SGPRBlocks: 2
; VGPRBlocks: 9
; NumSGPRsForWavesPerEU: 18
; NumVGPRsForWavesPerEU: 74
; Occupancy: 16
; WaveLimiterHint : 1
; COMPUTE_PGM_RSRC2:SCRATCH_EN: 0
; COMPUTE_PGM_RSRC2:USER_SGPR: 15
; COMPUTE_PGM_RSRC2:TRAP_HANDLER: 0
; COMPUTE_PGM_RSRC2:TGID_X_EN: 1
; COMPUTE_PGM_RSRC2:TGID_Y_EN: 0
; COMPUTE_PGM_RSRC2:TGID_Z_EN: 0
; COMPUTE_PGM_RSRC2:TIDIG_COMP_CNT: 0
	.section	.text._ZN9rocsparseL19gebsrmvn_2xn_kernelILj128ELj10ELj64EdEEvi20rocsparse_direction_NS_24const_host_device_scalarIT2_EEPKiS6_PKS3_S8_S4_PS3_21rocsparse_index_base_b,"axG",@progbits,_ZN9rocsparseL19gebsrmvn_2xn_kernelILj128ELj10ELj64EdEEvi20rocsparse_direction_NS_24const_host_device_scalarIT2_EEPKiS6_PKS3_S8_S4_PS3_21rocsparse_index_base_b,comdat
	.globl	_ZN9rocsparseL19gebsrmvn_2xn_kernelILj128ELj10ELj64EdEEvi20rocsparse_direction_NS_24const_host_device_scalarIT2_EEPKiS6_PKS3_S8_S4_PS3_21rocsparse_index_base_b ; -- Begin function _ZN9rocsparseL19gebsrmvn_2xn_kernelILj128ELj10ELj64EdEEvi20rocsparse_direction_NS_24const_host_device_scalarIT2_EEPKiS6_PKS3_S8_S4_PS3_21rocsparse_index_base_b
	.p2align	8
	.type	_ZN9rocsparseL19gebsrmvn_2xn_kernelILj128ELj10ELj64EdEEvi20rocsparse_direction_NS_24const_host_device_scalarIT2_EEPKiS6_PKS3_S8_S4_PS3_21rocsparse_index_base_b,@function
_ZN9rocsparseL19gebsrmvn_2xn_kernelILj128ELj10ELj64EdEEvi20rocsparse_direction_NS_24const_host_device_scalarIT2_EEPKiS6_PKS3_S8_S4_PS3_21rocsparse_index_base_b: ; @_ZN9rocsparseL19gebsrmvn_2xn_kernelILj128ELj10ELj64EdEEvi20rocsparse_direction_NS_24const_host_device_scalarIT2_EEPKiS6_PKS3_S8_S4_PS3_21rocsparse_index_base_b
; %bb.0:
	s_clause 0x2
	s_load_b64 s[12:13], s[0:1], 0x40
	s_load_b64 s[4:5], s[0:1], 0x8
	;; [unrolled: 1-line block ×3, first 2 shown]
	s_waitcnt lgkmcnt(0)
	s_bitcmp1_b32 s13, 0
	v_dual_mov_b32 v1, s4 :: v_dual_mov_b32 v2, s5
	s_cselect_b32 s6, -1, 0
	s_delay_alu instid0(SALU_CYCLE_1)
	s_and_b32 vcc_lo, exec_lo, s6
	s_xor_b32 s6, s6, -1
	s_cbranch_vccnz .LBB120_2
; %bb.1:
	v_dual_mov_b32 v1, s4 :: v_dual_mov_b32 v2, s5
	flat_load_b64 v[1:2], v[1:2]
.LBB120_2:
	v_dual_mov_b32 v4, s3 :: v_dual_mov_b32 v3, s2
	s_and_not1_b32 vcc_lo, exec_lo, s6
	s_cbranch_vccnz .LBB120_4
; %bb.3:
	v_dual_mov_b32 v4, s3 :: v_dual_mov_b32 v3, s2
	flat_load_b64 v[3:4], v[3:4]
.LBB120_4:
	s_waitcnt vmcnt(0) lgkmcnt(0)
	v_cmp_neq_f64_e32 vcc_lo, 0, v[1:2]
	v_cmp_neq_f64_e64 s2, 1.0, v[3:4]
	s_delay_alu instid0(VALU_DEP_1) | instskip(NEXT) | instid1(SALU_CYCLE_1)
	s_or_b32 s2, vcc_lo, s2
	s_and_saveexec_b32 s3, s2
	s_cbranch_execz .LBB120_23
; %bb.5:
	s_load_b64 s[2:3], s[0:1], 0x0
	v_lshrrev_b32_e32 v5, 6, v0
	s_delay_alu instid0(VALU_DEP_1) | instskip(SKIP_1) | instid1(VALU_DEP_1)
	v_lshl_or_b32 v5, s15, 1, v5
	s_waitcnt lgkmcnt(0)
	v_cmp_gt_i32_e32 vcc_lo, s2, v5
	s_and_b32 exec_lo, exec_lo, vcc_lo
	s_cbranch_execz .LBB120_23
; %bb.6:
	s_load_b256 s[4:11], s[0:1], 0x10
	v_ashrrev_i32_e32 v6, 31, v5
	v_and_b32_e32 v0, 63, v0
	s_cmp_lg_u32 s3, 0
	s_delay_alu instid0(VALU_DEP_2) | instskip(SKIP_1) | instid1(VALU_DEP_1)
	v_lshlrev_b64 v[6:7], 2, v[5:6]
	s_waitcnt lgkmcnt(0)
	v_add_co_u32 v6, vcc_lo, s4, v6
	s_delay_alu instid0(VALU_DEP_2) | instskip(SKIP_4) | instid1(VALU_DEP_2)
	v_add_co_ci_u32_e32 v7, vcc_lo, s5, v7, vcc_lo
	global_load_b64 v[6:7], v[6:7], off
	s_waitcnt vmcnt(0)
	v_subrev_nc_u32_e32 v6, s12, v6
	v_subrev_nc_u32_e32 v17, s12, v7
	v_add_nc_u32_e32 v6, v6, v0
	s_delay_alu instid0(VALU_DEP_1)
	v_cmp_lt_i32_e64 s2, v6, v17
	s_cbranch_scc0 .LBB120_12
; %bb.7:
	v_mov_b32_e32 v8, 0
	v_mov_b32_e32 v9, 0
	s_delay_alu instid0(VALU_DEP_1)
	v_dual_mov_b32 v11, v9 :: v_dual_mov_b32 v10, v8
	s_and_saveexec_b32 s3, s2
	s_cbranch_execz .LBB120_11
; %bb.8:
	v_dual_mov_b32 v8, 0 :: v_dual_mov_b32 v15, v6
	v_dual_mov_b32 v9, 0 :: v_dual_mov_b32 v14, 0
	v_mad_u64_u32 v[12:13], null, v6, 20, 18
	s_mov_b32 s4, 0
	s_delay_alu instid0(VALU_DEP_2)
	v_dual_mov_b32 v11, v9 :: v_dual_mov_b32 v10, v8
.LBB120_9:                              ; =>This Inner Loop Header: Depth=1
	v_ashrrev_i32_e32 v16, 31, v15
	s_delay_alu instid0(VALU_DEP_3) | instskip(SKIP_1) | instid1(VALU_DEP_3)
	v_subrev_nc_u32_e32 v13, 18, v12
	v_mov_b32_e32 v67, v14
	v_lshlrev_b64 v[18:19], 2, v[15:16]
	v_add_nc_u32_e32 v15, 64, v15
	s_delay_alu instid0(VALU_DEP_2) | instskip(NEXT) | instid1(VALU_DEP_3)
	v_add_co_u32 v18, vcc_lo, s6, v18
	v_add_co_ci_u32_e32 v19, vcc_lo, s7, v19, vcc_lo
	global_load_b32 v7, v[18:19], off
	v_lshlrev_b64 v[18:19], 3, v[13:14]
	v_add_nc_u32_e32 v13, -14, v12
	s_delay_alu instid0(VALU_DEP_1) | instskip(NEXT) | instid1(VALU_DEP_3)
	v_lshlrev_b64 v[30:31], 3, v[13:14]
	v_add_co_u32 v22, vcc_lo, s8, v18
	s_delay_alu instid0(VALU_DEP_4) | instskip(SKIP_2) | instid1(VALU_DEP_1)
	v_add_co_ci_u32_e32 v23, vcc_lo, s9, v19, vcc_lo
	s_waitcnt vmcnt(0)
	v_subrev_nc_u32_e32 v7, s12, v7
	v_mul_lo_u32 v66, v7, 10
	s_delay_alu instid0(VALU_DEP_1) | instskip(SKIP_1) | instid1(VALU_DEP_1)
	v_lshlrev_b64 v[20:21], 3, v[66:67]
	v_add_nc_u32_e32 v13, 2, v66
	v_lshlrev_b64 v[32:33], 3, v[13:14]
	s_delay_alu instid0(VALU_DEP_3) | instskip(NEXT) | instid1(VALU_DEP_4)
	v_add_co_u32 v26, vcc_lo, s10, v20
	v_add_co_ci_u32_e32 v27, vcc_lo, s11, v21, vcc_lo
	s_clause 0x1
	global_load_b128 v[18:21], v[22:23], off offset:16
	global_load_b128 v[22:25], v[22:23], off
	global_load_b128 v[26:29], v[26:27], off
	v_add_co_u32 v30, vcc_lo, s8, v30
	v_add_co_ci_u32_e32 v31, vcc_lo, s9, v31, vcc_lo
	v_add_co_u32 v34, vcc_lo, s10, v32
	v_add_co_ci_u32_e32 v35, vcc_lo, s11, v33, vcc_lo
	global_load_b128 v[30:33], v[30:31], off
	global_load_b128 v[34:37], v[34:35], off
	v_add_nc_u32_e32 v13, -12, v12
	s_delay_alu instid0(VALU_DEP_1) | instskip(SKIP_1) | instid1(VALU_DEP_2)
	v_lshlrev_b64 v[38:39], 3, v[13:14]
	v_add_nc_u32_e32 v13, -10, v12
	v_add_co_u32 v38, vcc_lo, s8, v38
	s_delay_alu instid0(VALU_DEP_3) | instskip(NEXT) | instid1(VALU_DEP_3)
	v_add_co_ci_u32_e32 v39, vcc_lo, s9, v39, vcc_lo
	v_lshlrev_b64 v[42:43], 3, v[13:14]
	v_add_nc_u32_e32 v13, 4, v66
	global_load_b128 v[38:41], v[38:39], off
	v_lshlrev_b64 v[44:45], 3, v[13:14]
	v_add_co_u32 v42, vcc_lo, s8, v42
	v_add_co_ci_u32_e32 v43, vcc_lo, s9, v43, vcc_lo
	v_add_nc_u32_e32 v13, -8, v12
	s_delay_alu instid0(VALU_DEP_4)
	v_add_co_u32 v46, vcc_lo, s10, v44
	v_add_co_ci_u32_e32 v47, vcc_lo, s11, v45, vcc_lo
	global_load_b128 v[42:45], v[42:43], off
	global_load_b128 v[46:49], v[46:47], off
	v_lshlrev_b64 v[50:51], 3, v[13:14]
	v_add_nc_u32_e32 v13, -6, v12
	s_delay_alu instid0(VALU_DEP_2) | instskip(NEXT) | instid1(VALU_DEP_3)
	v_add_co_u32 v50, vcc_lo, s8, v50
	v_add_co_ci_u32_e32 v51, vcc_lo, s9, v51, vcc_lo
	s_delay_alu instid0(VALU_DEP_3)
	v_lshlrev_b64 v[54:55], 3, v[13:14]
	v_add_nc_u32_e32 v13, 6, v66
	global_load_b128 v[50:53], v[50:51], off
	v_lshlrev_b64 v[56:57], 3, v[13:14]
	v_add_co_u32 v54, vcc_lo, s8, v54
	v_add_co_ci_u32_e32 v55, vcc_lo, s9, v55, vcc_lo
	v_add_nc_u32_e32 v13, -4, v12
	s_delay_alu instid0(VALU_DEP_4)
	v_add_co_u32 v58, vcc_lo, s10, v56
	v_add_co_ci_u32_e32 v59, vcc_lo, s11, v57, vcc_lo
	global_load_b128 v[54:57], v[54:55], off
	global_load_b128 v[58:61], v[58:59], off
	v_lshlrev_b64 v[62:63], 3, v[13:14]
	v_add_nc_u32_e32 v13, -2, v12
	s_delay_alu instid0(VALU_DEP_2) | instskip(NEXT) | instid1(VALU_DEP_3)
	v_add_co_u32 v62, vcc_lo, s8, v62
	v_add_co_ci_u32_e32 v63, vcc_lo, s9, v63, vcc_lo
	s_delay_alu instid0(VALU_DEP_3)
	v_lshlrev_b64 v[67:68], 3, v[13:14]
	v_add_nc_u32_e32 v13, 8, v66
	global_load_b128 v[62:65], v[62:63], off
	v_lshlrev_b64 v[69:70], 3, v[13:14]
	v_add_co_u32 v66, vcc_lo, s8, v67
	v_add_co_ci_u32_e32 v67, vcc_lo, s9, v68, vcc_lo
	v_mov_b32_e32 v13, v14
	s_delay_alu instid0(VALU_DEP_4)
	v_add_co_u32 v71, vcc_lo, s10, v69
	v_add_co_ci_u32_e32 v72, vcc_lo, s11, v70, vcc_lo
	global_load_b128 v[66:69], v[66:67], off
	global_load_b128 v[70:73], v[71:72], off
	s_waitcnt vmcnt(11)
	v_fma_f64 v[22:23], v[22:23], v[26:27], v[8:9]
	v_fma_f64 v[24:25], v[24:25], v[26:27], v[10:11]
	v_lshlrev_b64 v[7:8], 3, v[12:13]
	v_add_nc_u32_e32 v12, 0x500, v12
	s_delay_alu instid0(VALU_DEP_2) | instskip(NEXT) | instid1(VALU_DEP_3)
	v_add_co_u32 v7, vcc_lo, s8, v7
	v_add_co_ci_u32_e32 v8, vcc_lo, s9, v8, vcc_lo
	v_cmp_ge_i32_e32 vcc_lo, v15, v17
	global_load_b128 v[8:11], v[7:8], off
	s_or_b32 s4, vcc_lo, s4
	v_fma_f64 v[18:19], v[18:19], v[28:29], v[22:23]
	v_fma_f64 v[20:21], v[20:21], v[28:29], v[24:25]
	s_waitcnt vmcnt(10)
	s_delay_alu instid0(VALU_DEP_2) | instskip(NEXT) | instid1(VALU_DEP_2)
	v_fma_f64 v[18:19], v[30:31], v[34:35], v[18:19]
	v_fma_f64 v[20:21], v[32:33], v[34:35], v[20:21]
	s_waitcnt vmcnt(9)
	s_delay_alu instid0(VALU_DEP_2) | instskip(NEXT) | instid1(VALU_DEP_2)
	;; [unrolled: 4-line block ×8, first 2 shown]
	v_fma_f64 v[8:9], v[8:9], v[72:73], v[18:19]
	v_fma_f64 v[10:11], v[10:11], v[72:73], v[20:21]
	s_and_not1_b32 exec_lo, exec_lo, s4
	s_cbranch_execnz .LBB120_9
; %bb.10:
	s_or_b32 exec_lo, exec_lo, s4
.LBB120_11:
	s_delay_alu instid0(SALU_CYCLE_1)
	s_or_b32 exec_lo, exec_lo, s3
	s_cbranch_execz .LBB120_13
	s_branch .LBB120_18
.LBB120_12:
                                        ; implicit-def: $vgpr8_vgpr9
                                        ; implicit-def: $vgpr10_vgpr11
.LBB120_13:
	v_mov_b32_e32 v8, 0
	v_mov_b32_e32 v9, 0
	s_delay_alu instid0(VALU_DEP_1)
	v_dual_mov_b32 v11, v9 :: v_dual_mov_b32 v10, v8
	s_and_saveexec_b32 s3, s2
	s_cbranch_execz .LBB120_17
; %bb.14:
	v_mov_b32_e32 v8, 0
	v_dual_mov_b32 v9, 0 :: v_dual_mov_b32 v14, 0
	v_mad_u64_u32 v[12:13], null, v6, 20, 19
	s_mov_b32 s2, 0
	s_delay_alu instid0(VALU_DEP_2)
	v_dual_mov_b32 v11, v9 :: v_dual_mov_b32 v10, v8
.LBB120_15:                             ; =>This Inner Loop Header: Depth=1
	v_ashrrev_i32_e32 v7, 31, v6
	s_delay_alu instid0(VALU_DEP_3) | instskip(SKIP_1) | instid1(VALU_DEP_3)
	v_subrev_nc_u32_e32 v13, 19, v12
	v_mov_b32_e32 v43, v14
	v_lshlrev_b64 v[15:16], 2, v[6:7]
	v_add_nc_u32_e32 v6, 64, v6
	s_delay_alu instid0(VALU_DEP_4) | instskip(SKIP_1) | instid1(VALU_DEP_4)
	v_lshlrev_b64 v[18:19], 3, v[13:14]
	v_add_nc_u32_e32 v13, -8, v12
	v_add_co_u32 v15, vcc_lo, s6, v15
	v_add_co_ci_u32_e32 v16, vcc_lo, s7, v16, vcc_lo
	s_delay_alu instid0(VALU_DEP_4) | instskip(SKIP_4) | instid1(VALU_DEP_2)
	v_add_co_u32 v22, vcc_lo, s8, v18
	v_add_co_ci_u32_e32 v23, vcc_lo, s9, v19, vcc_lo
	global_load_b32 v7, v[15:16], off
	v_dual_mov_b32 v16, v14 :: v_dual_add_nc_u32 v15, -9, v12
	v_lshlrev_b64 v[30:31], 3, v[13:14]
	v_lshlrev_b64 v[15:16], 3, v[15:16]
	s_delay_alu instid0(VALU_DEP_1) | instskip(NEXT) | instid1(VALU_DEP_2)
	v_add_co_u32 v15, vcc_lo, s8, v15
	v_add_co_ci_u32_e32 v16, vcc_lo, s9, v16, vcc_lo
	s_waitcnt vmcnt(0)
	v_subrev_nc_u32_e32 v7, s12, v7
	s_delay_alu instid0(VALU_DEP_1) | instskip(NEXT) | instid1(VALU_DEP_1)
	v_mul_lo_u32 v42, v7, 10
	v_lshlrev_b64 v[18:19], 3, v[42:43]
	v_add_nc_u32_e32 v13, 2, v42
	s_delay_alu instid0(VALU_DEP_2) | instskip(NEXT) | instid1(VALU_DEP_3)
	v_add_co_u32 v26, vcc_lo, s10, v18
	v_add_co_ci_u32_e32 v27, vcc_lo, s11, v19, vcc_lo
	s_clause 0x2
	global_load_b128 v[18:21], v[22:23], off offset:16
	global_load_b128 v[22:25], v[22:23], off
	global_load_b64 v[15:16], v[15:16], off
	global_load_b128 v[26:29], v[26:27], off
	v_add_co_u32 v30, vcc_lo, s8, v30
	v_add_co_ci_u32_e32 v31, vcc_lo, s9, v31, vcc_lo
	global_load_b64 v[46:47], v[30:31], off
	v_lshlrev_b64 v[30:31], 3, v[13:14]
	v_add_nc_u32_e32 v13, -7, v12
	s_delay_alu instid0(VALU_DEP_1) | instskip(NEXT) | instid1(VALU_DEP_3)
	v_lshlrev_b64 v[32:33], 3, v[13:14]
	v_add_co_u32 v30, vcc_lo, s10, v30
	s_delay_alu instid0(VALU_DEP_4) | instskip(SKIP_1) | instid1(VALU_DEP_4)
	v_add_co_ci_u32_e32 v31, vcc_lo, s11, v31, vcc_lo
	v_add_nc_u32_e32 v13, -6, v12
	v_add_co_u32 v34, vcc_lo, s8, v32
	v_add_co_ci_u32_e32 v35, vcc_lo, s9, v33, vcc_lo
	global_load_b128 v[30:33], v[30:31], off
	global_load_b64 v[48:49], v[34:35], off
	v_lshlrev_b64 v[34:35], 3, v[13:14]
	v_add_nc_u32_e32 v13, -15, v12
	s_delay_alu instid0(VALU_DEP_2) | instskip(NEXT) | instid1(VALU_DEP_3)
	v_add_co_u32 v34, vcc_lo, s8, v34
	v_add_co_ci_u32_e32 v35, vcc_lo, s9, v35, vcc_lo
	global_load_b64 v[50:51], v[34:35], off
	v_lshlrev_b64 v[34:35], 3, v[13:14]
	v_add_nc_u32_e32 v13, 4, v42
	s_delay_alu instid0(VALU_DEP_1) | instskip(SKIP_1) | instid1(VALU_DEP_4)
	v_lshlrev_b64 v[36:37], 3, v[13:14]
	v_add_nc_u32_e32 v13, -5, v12
	v_add_co_u32 v34, vcc_lo, s8, v34
	v_add_co_ci_u32_e32 v35, vcc_lo, s9, v35, vcc_lo
	s_delay_alu instid0(VALU_DEP_3) | instskip(SKIP_3) | instid1(VALU_DEP_4)
	v_lshlrev_b64 v[38:39], 3, v[13:14]
	v_add_co_u32 v36, vcc_lo, s10, v36
	v_add_co_ci_u32_e32 v37, vcc_lo, s11, v37, vcc_lo
	v_add_nc_u32_e32 v13, -14, v12
	v_add_co_u32 v38, vcc_lo, s8, v38
	v_add_co_ci_u32_e32 v39, vcc_lo, s9, v39, vcc_lo
	global_load_b64 v[52:53], v[34:35], off
	global_load_b128 v[34:37], v[36:37], off
	global_load_b64 v[54:55], v[38:39], off
	v_lshlrev_b64 v[38:39], 3, v[13:14]
	v_add_nc_u32_e32 v13, -4, v12
	s_delay_alu instid0(VALU_DEP_1) | instskip(NEXT) | instid1(VALU_DEP_3)
	v_lshlrev_b64 v[40:41], 3, v[13:14]
	v_add_co_u32 v38, vcc_lo, s8, v38
	s_delay_alu instid0(VALU_DEP_4) | instskip(SKIP_1) | instid1(VALU_DEP_4)
	v_add_co_ci_u32_e32 v39, vcc_lo, s9, v39, vcc_lo
	v_add_nc_u32_e32 v13, -13, v12
	v_add_co_u32 v40, vcc_lo, s8, v40
	v_add_co_ci_u32_e32 v41, vcc_lo, s9, v41, vcc_lo
	s_clause 0x1
	global_load_b64 v[56:57], v[38:39], off
	global_load_b64 v[58:59], v[40:41], off
	v_lshlrev_b64 v[38:39], 3, v[13:14]
	v_add_nc_u32_e32 v13, 6, v42
	s_delay_alu instid0(VALU_DEP_1) | instskip(SKIP_1) | instid1(VALU_DEP_4)
	v_lshlrev_b64 v[40:41], 3, v[13:14]
	v_add_nc_u32_e32 v13, -3, v12
	v_add_co_u32 v38, vcc_lo, s8, v38
	v_add_co_ci_u32_e32 v39, vcc_lo, s9, v39, vcc_lo
	s_delay_alu instid0(VALU_DEP_3) | instskip(SKIP_3) | instid1(VALU_DEP_4)
	v_lshlrev_b64 v[43:44], 3, v[13:14]
	v_add_co_u32 v40, vcc_lo, s10, v40
	v_add_co_ci_u32_e32 v41, vcc_lo, s11, v41, vcc_lo
	v_add_nc_u32_e32 v13, -12, v12
	v_add_co_u32 v43, vcc_lo, s8, v43
	v_add_co_ci_u32_e32 v44, vcc_lo, s9, v44, vcc_lo
	global_load_b64 v[60:61], v[38:39], off
	global_load_b128 v[38:41], v[40:41], off
	global_load_b64 v[62:63], v[43:44], off
	v_lshlrev_b64 v[43:44], 3, v[13:14]
	v_add_nc_u32_e32 v13, -2, v12
	s_delay_alu instid0(VALU_DEP_1) | instskip(NEXT) | instid1(VALU_DEP_3)
	v_lshlrev_b64 v[64:65], 3, v[13:14]
	v_add_co_u32 v43, vcc_lo, s8, v43
	s_delay_alu instid0(VALU_DEP_4) | instskip(SKIP_1) | instid1(VALU_DEP_4)
	v_add_co_ci_u32_e32 v44, vcc_lo, s9, v44, vcc_lo
	v_add_nc_u32_e32 v13, -11, v12
	v_add_co_u32 v64, vcc_lo, s8, v64
	v_add_co_ci_u32_e32 v65, vcc_lo, s9, v65, vcc_lo
	s_clause 0x1
	global_load_b64 v[66:67], v[43:44], off
	global_load_b64 v[64:65], v[64:65], off
	v_lshlrev_b64 v[43:44], 3, v[13:14]
	v_add_nc_u32_e32 v13, 8, v42
	s_delay_alu instid0(VALU_DEP_1) | instskip(SKIP_1) | instid1(VALU_DEP_4)
	v_lshlrev_b64 v[68:69], 3, v[13:14]
	v_add_nc_u32_e32 v13, -1, v12
	v_add_co_u32 v42, vcc_lo, s8, v43
	v_add_co_ci_u32_e32 v43, vcc_lo, s9, v44, vcc_lo
	s_delay_alu instid0(VALU_DEP_3) | instskip(SKIP_3) | instid1(VALU_DEP_4)
	v_lshlrev_b64 v[44:45], 3, v[13:14]
	v_add_co_u32 v68, vcc_lo, s10, v68
	v_add_co_ci_u32_e32 v69, vcc_lo, s11, v69, vcc_lo
	v_mov_b32_e32 v13, v14
	v_add_co_u32 v70, vcc_lo, s8, v44
	v_add_co_ci_u32_e32 v71, vcc_lo, s9, v45, vcc_lo
	global_load_b64 v[72:73], v[42:43], off
	global_load_b128 v[42:45], v[68:69], off
	global_load_b64 v[68:69], v[70:71], off
	s_waitcnt vmcnt(17)
	v_fma_f64 v[7:8], v[22:23], v[26:27], v[8:9]
	v_fma_f64 v[9:10], v[15:16], v[26:27], v[10:11]
	v_lshlrev_b64 v[15:16], 3, v[12:13]
	v_add_nc_u32_e32 v13, -10, v12
	v_add_nc_u32_e32 v12, 0x500, v12
	s_delay_alu instid0(VALU_DEP_2) | instskip(NEXT) | instid1(VALU_DEP_4)
	v_lshlrev_b64 v[22:23], 3, v[13:14]
	v_add_co_u32 v15, vcc_lo, s8, v15
	v_add_co_ci_u32_e32 v16, vcc_lo, s9, v16, vcc_lo
	s_delay_alu instid0(VALU_DEP_3) | instskip(NEXT) | instid1(VALU_DEP_4)
	v_add_co_u32 v22, vcc_lo, s8, v22
	v_add_co_ci_u32_e32 v23, vcc_lo, s9, v23, vcc_lo
	s_clause 0x1
	global_load_b64 v[22:23], v[22:23], off
	global_load_b64 v[15:16], v[15:16], off
	v_cmp_ge_i32_e32 vcc_lo, v6, v17
	s_or_b32 s2, vcc_lo, s2
	v_fma_f64 v[7:8], v[24:25], v[28:29], v[7:8]
	s_waitcnt vmcnt(18)
	v_fma_f64 v[9:10], v[46:47], v[28:29], v[9:10]
	s_waitcnt vmcnt(17)
	s_delay_alu instid0(VALU_DEP_2) | instskip(SKIP_1) | instid1(VALU_DEP_2)
	v_fma_f64 v[7:8], v[18:19], v[30:31], v[7:8]
	s_waitcnt vmcnt(16)
	v_fma_f64 v[9:10], v[48:49], v[30:31], v[9:10]
	s_delay_alu instid0(VALU_DEP_2) | instskip(SKIP_1) | instid1(VALU_DEP_2)
	v_fma_f64 v[7:8], v[20:21], v[32:33], v[7:8]
	s_waitcnt vmcnt(15)
	v_fma_f64 v[9:10], v[50:51], v[32:33], v[9:10]
	s_waitcnt vmcnt(13)
	s_delay_alu instid0(VALU_DEP_2) | instskip(SKIP_1) | instid1(VALU_DEP_2)
	v_fma_f64 v[7:8], v[52:53], v[34:35], v[7:8]
	s_waitcnt vmcnt(12)
	v_fma_f64 v[9:10], v[54:55], v[34:35], v[9:10]
	s_waitcnt vmcnt(11)
	;; [unrolled: 5-line block ×6, first 2 shown]
	s_delay_alu instid0(VALU_DEP_2) | instskip(SKIP_1) | instid1(VALU_DEP_2)
	v_fma_f64 v[8:9], v[22:23], v[44:45], v[7:8]
	s_waitcnt vmcnt(0)
	v_fma_f64 v[10:11], v[15:16], v[44:45], v[10:11]
	s_and_not1_b32 exec_lo, exec_lo, s2
	s_cbranch_execnz .LBB120_15
; %bb.16:
	s_or_b32 exec_lo, exec_lo, s2
.LBB120_17:
	s_delay_alu instid0(SALU_CYCLE_1)
	s_or_b32 exec_lo, exec_lo, s3
.LBB120_18:
	v_mbcnt_lo_u32_b32 v14, -1, 0
	s_delay_alu instid0(VALU_DEP_1) | instskip(NEXT) | instid1(VALU_DEP_1)
	v_or_b32_e32 v6, 32, v14
	v_cmp_gt_i32_e32 vcc_lo, 32, v6
	v_cndmask_b32_e32 v6, v14, v6, vcc_lo
	s_delay_alu instid0(VALU_DEP_1)
	v_lshlrev_b32_e32 v13, 2, v6
	ds_bpermute_b32 v6, v13, v8
	ds_bpermute_b32 v7, v13, v9
	;; [unrolled: 1-line block ×4, first 2 shown]
	s_waitcnt lgkmcnt(2)
	v_add_f64 v[6:7], v[8:9], v[6:7]
	s_waitcnt lgkmcnt(0)
	v_add_f64 v[8:9], v[10:11], v[12:13]
	v_xor_b32_e32 v10, 16, v14
	s_delay_alu instid0(VALU_DEP_1) | instskip(SKIP_1) | instid1(VALU_DEP_1)
	v_cmp_gt_i32_e32 vcc_lo, 32, v10
	v_cndmask_b32_e32 v10, v14, v10, vcc_lo
	v_lshlrev_b32_e32 v13, 2, v10
	ds_bpermute_b32 v10, v13, v6
	ds_bpermute_b32 v11, v13, v7
	ds_bpermute_b32 v12, v13, v8
	ds_bpermute_b32 v13, v13, v9
	s_waitcnt lgkmcnt(2)
	v_add_f64 v[6:7], v[6:7], v[10:11]
	v_xor_b32_e32 v10, 8, v14
	s_waitcnt lgkmcnt(0)
	v_add_f64 v[8:9], v[8:9], v[12:13]
	s_delay_alu instid0(VALU_DEP_2) | instskip(SKIP_1) | instid1(VALU_DEP_1)
	v_cmp_gt_i32_e32 vcc_lo, 32, v10
	v_cndmask_b32_e32 v10, v14, v10, vcc_lo
	v_lshlrev_b32_e32 v13, 2, v10
	ds_bpermute_b32 v10, v13, v6
	ds_bpermute_b32 v11, v13, v7
	ds_bpermute_b32 v12, v13, v8
	ds_bpermute_b32 v13, v13, v9
	s_waitcnt lgkmcnt(2)
	v_add_f64 v[6:7], v[6:7], v[10:11]
	v_xor_b32_e32 v10, 4, v14
	s_waitcnt lgkmcnt(0)
	v_add_f64 v[8:9], v[8:9], v[12:13]
	s_delay_alu instid0(VALU_DEP_2) | instskip(SKIP_1) | instid1(VALU_DEP_1)
	;; [unrolled: 13-line block ×3, first 2 shown]
	v_cmp_gt_i32_e32 vcc_lo, 32, v10
	v_cndmask_b32_e32 v10, v14, v10, vcc_lo
	v_lshlrev_b32_e32 v13, 2, v10
	ds_bpermute_b32 v10, v13, v6
	ds_bpermute_b32 v11, v13, v7
	;; [unrolled: 1-line block ×4, first 2 shown]
	s_waitcnt lgkmcnt(2)
	v_add_f64 v[6:7], v[6:7], v[10:11]
	s_waitcnt lgkmcnt(0)
	v_add_f64 v[10:11], v[8:9], v[12:13]
	v_xor_b32_e32 v8, 1, v14
	s_delay_alu instid0(VALU_DEP_1) | instskip(SKIP_2) | instid1(VALU_DEP_2)
	v_cmp_gt_i32_e32 vcc_lo, 32, v8
	v_cndmask_b32_e32 v8, v14, v8, vcc_lo
	v_cmp_eq_u32_e32 vcc_lo, 63, v0
	v_lshlrev_b32_e32 v13, 2, v8
	ds_bpermute_b32 v8, v13, v6
	ds_bpermute_b32 v9, v13, v7
	;; [unrolled: 1-line block ×4, first 2 shown]
	s_and_b32 exec_lo, exec_lo, vcc_lo
	s_cbranch_execz .LBB120_23
; %bb.19:
	s_waitcnt lgkmcnt(2)
	v_add_f64 v[8:9], v[6:7], v[8:9]
	s_waitcnt lgkmcnt(0)
	v_add_f64 v[6:7], v[10:11], v[12:13]
	s_load_b64 s[0:1], s[0:1], 0x38
	s_mov_b32 s2, exec_lo
	v_cmpx_eq_f64_e32 0, v[3:4]
	s_xor_b32 s2, exec_lo, s2
	s_cbranch_execz .LBB120_21
; %bb.20:
	s_delay_alu instid0(VALU_DEP_3) | instskip(NEXT) | instid1(VALU_DEP_3)
	v_mul_f64 v[8:9], v[1:2], v[8:9]
	v_mul_f64 v[10:11], v[1:2], v[6:7]
	v_lshlrev_b32_e32 v0, 1, v5
                                        ; implicit-def: $vgpr5
                                        ; implicit-def: $vgpr3_vgpr4
                                        ; implicit-def: $vgpr6_vgpr7
	s_delay_alu instid0(VALU_DEP_1) | instskip(NEXT) | instid1(VALU_DEP_1)
	v_ashrrev_i32_e32 v1, 31, v0
	v_lshlrev_b64 v[0:1], 3, v[0:1]
	s_waitcnt lgkmcnt(0)
	s_delay_alu instid0(VALU_DEP_1) | instskip(NEXT) | instid1(VALU_DEP_2)
	v_add_co_u32 v0, vcc_lo, s0, v0
	v_add_co_ci_u32_e32 v1, vcc_lo, s1, v1, vcc_lo
	global_store_b128 v[0:1], v[8:11], off
                                        ; implicit-def: $vgpr1_vgpr2
                                        ; implicit-def: $vgpr8_vgpr9
.LBB120_21:
	s_and_not1_saveexec_b32 s2, s2
	s_cbranch_execz .LBB120_23
; %bb.22:
	v_lshlrev_b32_e32 v10, 1, v5
	s_delay_alu instid0(VALU_DEP_4) | instskip(NEXT) | instid1(VALU_DEP_4)
	v_mul_f64 v[8:9], v[1:2], v[8:9]
	v_mul_f64 v[5:6], v[1:2], v[6:7]
	s_delay_alu instid0(VALU_DEP_3) | instskip(NEXT) | instid1(VALU_DEP_1)
	v_ashrrev_i32_e32 v11, 31, v10
	v_lshlrev_b64 v[10:11], 3, v[10:11]
	s_waitcnt lgkmcnt(0)
	s_delay_alu instid0(VALU_DEP_1) | instskip(NEXT) | instid1(VALU_DEP_2)
	v_add_co_u32 v14, vcc_lo, s0, v10
	v_add_co_ci_u32_e32 v15, vcc_lo, s1, v11, vcc_lo
	global_load_b128 v[10:13], v[14:15], off
	s_waitcnt vmcnt(0)
	v_fma_f64 v[0:1], v[3:4], v[10:11], v[8:9]
	v_fma_f64 v[2:3], v[3:4], v[12:13], v[5:6]
	global_store_b128 v[14:15], v[0:3], off
.LBB120_23:
	s_nop 0
	s_sendmsg sendmsg(MSG_DEALLOC_VGPRS)
	s_endpgm
	.section	.rodata,"a",@progbits
	.p2align	6, 0x0
	.amdhsa_kernel _ZN9rocsparseL19gebsrmvn_2xn_kernelILj128ELj10ELj64EdEEvi20rocsparse_direction_NS_24const_host_device_scalarIT2_EEPKiS6_PKS3_S8_S4_PS3_21rocsparse_index_base_b
		.amdhsa_group_segment_fixed_size 0
		.amdhsa_private_segment_fixed_size 0
		.amdhsa_kernarg_size 72
		.amdhsa_user_sgpr_count 15
		.amdhsa_user_sgpr_dispatch_ptr 0
		.amdhsa_user_sgpr_queue_ptr 0
		.amdhsa_user_sgpr_kernarg_segment_ptr 1
		.amdhsa_user_sgpr_dispatch_id 0
		.amdhsa_user_sgpr_private_segment_size 0
		.amdhsa_wavefront_size32 1
		.amdhsa_uses_dynamic_stack 0
		.amdhsa_enable_private_segment 0
		.amdhsa_system_sgpr_workgroup_id_x 1
		.amdhsa_system_sgpr_workgroup_id_y 0
		.amdhsa_system_sgpr_workgroup_id_z 0
		.amdhsa_system_sgpr_workgroup_info 0
		.amdhsa_system_vgpr_workitem_id 0
		.amdhsa_next_free_vgpr 74
		.amdhsa_next_free_sgpr 16
		.amdhsa_reserve_vcc 1
		.amdhsa_float_round_mode_32 0
		.amdhsa_float_round_mode_16_64 0
		.amdhsa_float_denorm_mode_32 3
		.amdhsa_float_denorm_mode_16_64 3
		.amdhsa_dx10_clamp 1
		.amdhsa_ieee_mode 1
		.amdhsa_fp16_overflow 0
		.amdhsa_workgroup_processor_mode 1
		.amdhsa_memory_ordered 1
		.amdhsa_forward_progress 0
		.amdhsa_shared_vgpr_count 0
		.amdhsa_exception_fp_ieee_invalid_op 0
		.amdhsa_exception_fp_denorm_src 0
		.amdhsa_exception_fp_ieee_div_zero 0
		.amdhsa_exception_fp_ieee_overflow 0
		.amdhsa_exception_fp_ieee_underflow 0
		.amdhsa_exception_fp_ieee_inexact 0
		.amdhsa_exception_int_div_zero 0
	.end_amdhsa_kernel
	.section	.text._ZN9rocsparseL19gebsrmvn_2xn_kernelILj128ELj10ELj64EdEEvi20rocsparse_direction_NS_24const_host_device_scalarIT2_EEPKiS6_PKS3_S8_S4_PS3_21rocsparse_index_base_b,"axG",@progbits,_ZN9rocsparseL19gebsrmvn_2xn_kernelILj128ELj10ELj64EdEEvi20rocsparse_direction_NS_24const_host_device_scalarIT2_EEPKiS6_PKS3_S8_S4_PS3_21rocsparse_index_base_b,comdat
.Lfunc_end120:
	.size	_ZN9rocsparseL19gebsrmvn_2xn_kernelILj128ELj10ELj64EdEEvi20rocsparse_direction_NS_24const_host_device_scalarIT2_EEPKiS6_PKS3_S8_S4_PS3_21rocsparse_index_base_b, .Lfunc_end120-_ZN9rocsparseL19gebsrmvn_2xn_kernelILj128ELj10ELj64EdEEvi20rocsparse_direction_NS_24const_host_device_scalarIT2_EEPKiS6_PKS3_S8_S4_PS3_21rocsparse_index_base_b
                                        ; -- End function
	.section	.AMDGPU.csdata,"",@progbits
; Kernel info:
; codeLenInByte = 3108
; NumSgprs: 18
; NumVgprs: 74
; ScratchSize: 0
; MemoryBound: 0
; FloatMode: 240
; IeeeMode: 1
; LDSByteSize: 0 bytes/workgroup (compile time only)
; SGPRBlocks: 2
; VGPRBlocks: 9
; NumSGPRsForWavesPerEU: 18
; NumVGPRsForWavesPerEU: 74
; Occupancy: 16
; WaveLimiterHint : 1
; COMPUTE_PGM_RSRC2:SCRATCH_EN: 0
; COMPUTE_PGM_RSRC2:USER_SGPR: 15
; COMPUTE_PGM_RSRC2:TRAP_HANDLER: 0
; COMPUTE_PGM_RSRC2:TGID_X_EN: 1
; COMPUTE_PGM_RSRC2:TGID_Y_EN: 0
; COMPUTE_PGM_RSRC2:TGID_Z_EN: 0
; COMPUTE_PGM_RSRC2:TIDIG_COMP_CNT: 0
	.section	.text._ZN9rocsparseL19gebsrmvn_2xn_kernelILj128ELj11ELj4EdEEvi20rocsparse_direction_NS_24const_host_device_scalarIT2_EEPKiS6_PKS3_S8_S4_PS3_21rocsparse_index_base_b,"axG",@progbits,_ZN9rocsparseL19gebsrmvn_2xn_kernelILj128ELj11ELj4EdEEvi20rocsparse_direction_NS_24const_host_device_scalarIT2_EEPKiS6_PKS3_S8_S4_PS3_21rocsparse_index_base_b,comdat
	.globl	_ZN9rocsparseL19gebsrmvn_2xn_kernelILj128ELj11ELj4EdEEvi20rocsparse_direction_NS_24const_host_device_scalarIT2_EEPKiS6_PKS3_S8_S4_PS3_21rocsparse_index_base_b ; -- Begin function _ZN9rocsparseL19gebsrmvn_2xn_kernelILj128ELj11ELj4EdEEvi20rocsparse_direction_NS_24const_host_device_scalarIT2_EEPKiS6_PKS3_S8_S4_PS3_21rocsparse_index_base_b
	.p2align	8
	.type	_ZN9rocsparseL19gebsrmvn_2xn_kernelILj128ELj11ELj4EdEEvi20rocsparse_direction_NS_24const_host_device_scalarIT2_EEPKiS6_PKS3_S8_S4_PS3_21rocsparse_index_base_b,@function
_ZN9rocsparseL19gebsrmvn_2xn_kernelILj128ELj11ELj4EdEEvi20rocsparse_direction_NS_24const_host_device_scalarIT2_EEPKiS6_PKS3_S8_S4_PS3_21rocsparse_index_base_b: ; @_ZN9rocsparseL19gebsrmvn_2xn_kernelILj128ELj11ELj4EdEEvi20rocsparse_direction_NS_24const_host_device_scalarIT2_EEPKiS6_PKS3_S8_S4_PS3_21rocsparse_index_base_b
; %bb.0:
	s_clause 0x2
	s_load_b64 s[12:13], s[0:1], 0x40
	s_load_b64 s[4:5], s[0:1], 0x8
	;; [unrolled: 1-line block ×3, first 2 shown]
	s_waitcnt lgkmcnt(0)
	s_bitcmp1_b32 s13, 0
	v_dual_mov_b32 v1, s4 :: v_dual_mov_b32 v2, s5
	s_cselect_b32 s6, -1, 0
	s_delay_alu instid0(SALU_CYCLE_1)
	s_and_b32 vcc_lo, exec_lo, s6
	s_xor_b32 s6, s6, -1
	s_cbranch_vccnz .LBB121_2
; %bb.1:
	v_dual_mov_b32 v1, s4 :: v_dual_mov_b32 v2, s5
	flat_load_b64 v[1:2], v[1:2]
.LBB121_2:
	v_dual_mov_b32 v4, s3 :: v_dual_mov_b32 v3, s2
	s_and_not1_b32 vcc_lo, exec_lo, s6
	s_cbranch_vccnz .LBB121_4
; %bb.3:
	v_dual_mov_b32 v4, s3 :: v_dual_mov_b32 v3, s2
	flat_load_b64 v[3:4], v[3:4]
.LBB121_4:
	s_waitcnt vmcnt(0) lgkmcnt(0)
	v_cmp_neq_f64_e32 vcc_lo, 0, v[1:2]
	v_cmp_neq_f64_e64 s2, 1.0, v[3:4]
	s_delay_alu instid0(VALU_DEP_1) | instskip(NEXT) | instid1(SALU_CYCLE_1)
	s_or_b32 s2, vcc_lo, s2
	s_and_saveexec_b32 s3, s2
	s_cbranch_execz .LBB121_23
; %bb.5:
	s_load_b64 s[2:3], s[0:1], 0x0
	v_lshrrev_b32_e32 v5, 2, v0
	s_delay_alu instid0(VALU_DEP_1) | instskip(SKIP_1) | instid1(VALU_DEP_1)
	v_lshl_or_b32 v5, s15, 5, v5
	s_waitcnt lgkmcnt(0)
	v_cmp_gt_i32_e32 vcc_lo, s2, v5
	s_and_b32 exec_lo, exec_lo, vcc_lo
	s_cbranch_execz .LBB121_23
; %bb.6:
	s_load_b256 s[4:11], s[0:1], 0x10
	v_ashrrev_i32_e32 v6, 31, v5
	v_and_b32_e32 v0, 3, v0
	s_cmp_lg_u32 s3, 0
	s_delay_alu instid0(VALU_DEP_2) | instskip(SKIP_1) | instid1(VALU_DEP_1)
	v_lshlrev_b64 v[6:7], 2, v[5:6]
	s_waitcnt lgkmcnt(0)
	v_add_co_u32 v6, vcc_lo, s4, v6
	s_delay_alu instid0(VALU_DEP_2) | instskip(SKIP_4) | instid1(VALU_DEP_2)
	v_add_co_ci_u32_e32 v7, vcc_lo, s5, v7, vcc_lo
	global_load_b64 v[6:7], v[6:7], off
	s_waitcnt vmcnt(0)
	v_subrev_nc_u32_e32 v6, s12, v6
	v_subrev_nc_u32_e32 v17, s12, v7
	v_add_nc_u32_e32 v6, v6, v0
	s_delay_alu instid0(VALU_DEP_1)
	v_cmp_lt_i32_e64 s2, v6, v17
	s_cbranch_scc0 .LBB121_12
; %bb.7:
	v_mov_b32_e32 v8, 0
	v_mov_b32_e32 v9, 0
	s_delay_alu instid0(VALU_DEP_1)
	v_dual_mov_b32 v11, v9 :: v_dual_mov_b32 v10, v8
	s_and_saveexec_b32 s3, s2
	s_cbranch_execz .LBB121_11
; %bb.8:
	v_dual_mov_b32 v8, 0 :: v_dual_mov_b32 v15, v6
	v_dual_mov_b32 v9, 0 :: v_dual_mov_b32 v14, 0
	v_mad_u64_u32 v[12:13], null, v6, 22, 20
	s_mov_b32 s4, 0
	s_delay_alu instid0(VALU_DEP_2)
	v_dual_mov_b32 v11, v9 :: v_dual_mov_b32 v10, v8
.LBB121_9:                              ; =>This Inner Loop Header: Depth=1
	v_ashrrev_i32_e32 v16, 31, v15
	s_delay_alu instid0(VALU_DEP_3) | instskip(SKIP_1) | instid1(VALU_DEP_3)
	v_subrev_nc_u32_e32 v13, 20, v12
	v_mov_b32_e32 v55, v14
	v_lshlrev_b64 v[18:19], 2, v[15:16]
	v_add_nc_u32_e32 v15, 4, v15
	s_delay_alu instid0(VALU_DEP_2) | instskip(NEXT) | instid1(VALU_DEP_3)
	v_add_co_u32 v18, vcc_lo, s6, v18
	v_add_co_ci_u32_e32 v19, vcc_lo, s7, v19, vcc_lo
	global_load_b32 v7, v[18:19], off
	v_lshlrev_b64 v[18:19], 3, v[13:14]
	v_subrev_nc_u32_e32 v13, 18, v12
	s_delay_alu instid0(VALU_DEP_2) | instskip(NEXT) | instid1(VALU_DEP_3)
	v_add_co_u32 v18, vcc_lo, s8, v18
	v_add_co_ci_u32_e32 v19, vcc_lo, s9, v19, vcc_lo
	global_load_b128 v[18:21], v[18:19], off
	s_waitcnt vmcnt(1)
	v_subrev_nc_u32_e32 v7, s12, v7
	s_delay_alu instid0(VALU_DEP_1) | instskip(NEXT) | instid1(VALU_DEP_1)
	v_mul_lo_u32 v54, v7, 11
	v_lshlrev_b64 v[22:23], 3, v[54:55]
	s_delay_alu instid0(VALU_DEP_1) | instskip(NEXT) | instid1(VALU_DEP_2)
	v_add_co_u32 v22, vcc_lo, s10, v22
	v_add_co_ci_u32_e32 v23, vcc_lo, s11, v23, vcc_lo
	global_load_b64 v[55:56], v[22:23], off
	v_lshlrev_b64 v[22:23], 3, v[13:14]
	v_add_nc_u32_e32 v13, 1, v54
	s_delay_alu instid0(VALU_DEP_1) | instskip(NEXT) | instid1(VALU_DEP_3)
	v_lshlrev_b64 v[24:25], 3, v[13:14]
	v_add_co_u32 v22, vcc_lo, s8, v22
	s_delay_alu instid0(VALU_DEP_4) | instskip(SKIP_1) | instid1(VALU_DEP_4)
	v_add_co_ci_u32_e32 v23, vcc_lo, s9, v23, vcc_lo
	v_add_nc_u32_e32 v13, -16, v12
	v_add_co_u32 v26, vcc_lo, s10, v24
	v_add_co_ci_u32_e32 v27, vcc_lo, s11, v25, vcc_lo
	global_load_b128 v[22:25], v[22:23], off
	global_load_b64 v[57:58], v[26:27], off
	v_lshlrev_b64 v[26:27], 3, v[13:14]
	v_add_nc_u32_e32 v13, 2, v54
	s_delay_alu instid0(VALU_DEP_1) | instskip(NEXT) | instid1(VALU_DEP_3)
	v_lshlrev_b64 v[28:29], 3, v[13:14]
	v_add_co_u32 v26, vcc_lo, s8, v26
	s_delay_alu instid0(VALU_DEP_4) | instskip(SKIP_1) | instid1(VALU_DEP_4)
	v_add_co_ci_u32_e32 v27, vcc_lo, s9, v27, vcc_lo
	v_add_nc_u32_e32 v13, -14, v12
	v_add_co_u32 v30, vcc_lo, s10, v28
	v_add_co_ci_u32_e32 v31, vcc_lo, s11, v29, vcc_lo
	global_load_b128 v[26:29], v[26:27], off
	;; [unrolled: 12-line block ×8, first 2 shown]
	global_load_b64 v[71:72], v[71:72], off
	s_waitcnt vmcnt(16)
	v_fma_f64 v[18:19], v[18:19], v[55:56], v[8:9]
	v_fma_f64 v[20:21], v[20:21], v[55:56], v[10:11]
	v_lshlrev_b64 v[7:8], 3, v[13:14]
	v_add_nc_u32_e32 v13, 9, v54
	s_delay_alu instid0(VALU_DEP_1) | instskip(NEXT) | instid1(VALU_DEP_3)
	v_lshlrev_b64 v[9:10], 3, v[13:14]
	v_add_co_u32 v7, vcc_lo, s8, v7
	s_delay_alu instid0(VALU_DEP_4) | instskip(SKIP_1) | instid1(VALU_DEP_4)
	v_add_co_ci_u32_e32 v8, vcc_lo, s9, v8, vcc_lo
	v_mov_b32_e32 v13, v14
	v_add_co_u32 v55, vcc_lo, s10, v9
	v_add_co_ci_u32_e32 v56, vcc_lo, s11, v10, vcc_lo
	global_load_b128 v[7:10], v[7:8], off
	global_load_b64 v[55:56], v[55:56], off
	s_waitcnt vmcnt(16)
	v_fma_f64 v[22:23], v[22:23], v[57:58], v[18:19]
	v_fma_f64 v[24:25], v[24:25], v[57:58], v[20:21]
	v_lshlrev_b64 v[18:19], 3, v[12:13]
	v_add_nc_u32_e32 v12, 0x58, v12
	v_add_nc_u32_e32 v13, 10, v54
	s_delay_alu instid0(VALU_DEP_3) | instskip(NEXT) | instid1(VALU_DEP_2)
	v_add_co_u32 v18, vcc_lo, s8, v18
	v_lshlrev_b64 v[20:21], 3, v[13:14]
	v_add_co_ci_u32_e32 v19, vcc_lo, s9, v19, vcc_lo
	s_delay_alu instid0(VALU_DEP_2) | instskip(NEXT) | instid1(VALU_DEP_3)
	v_add_co_u32 v57, vcc_lo, s10, v20
	v_add_co_ci_u32_e32 v58, vcc_lo, s11, v21, vcc_lo
	global_load_b128 v[18:21], v[18:19], off
	global_load_b64 v[57:58], v[57:58], off
	v_cmp_ge_i32_e32 vcc_lo, v15, v17
	s_or_b32 s4, vcc_lo, s4
	s_waitcnt vmcnt(16)
	v_fma_f64 v[22:23], v[26:27], v[59:60], v[22:23]
	v_fma_f64 v[24:25], v[28:29], v[59:60], v[24:25]
	s_waitcnt vmcnt(14)
	s_delay_alu instid0(VALU_DEP_2) | instskip(NEXT) | instid1(VALU_DEP_2)
	v_fma_f64 v[22:23], v[30:31], v[61:62], v[22:23]
	v_fma_f64 v[24:25], v[32:33], v[61:62], v[24:25]
	s_waitcnt vmcnt(12)
	s_delay_alu instid0(VALU_DEP_2) | instskip(NEXT) | instid1(VALU_DEP_2)
	;; [unrolled: 4-line block ×8, first 2 shown]
	v_fma_f64 v[8:9], v[18:19], v[57:58], v[7:8]
	v_fma_f64 v[10:11], v[20:21], v[57:58], v[10:11]
	s_and_not1_b32 exec_lo, exec_lo, s4
	s_cbranch_execnz .LBB121_9
; %bb.10:
	s_or_b32 exec_lo, exec_lo, s4
.LBB121_11:
	s_delay_alu instid0(SALU_CYCLE_1)
	s_or_b32 exec_lo, exec_lo, s3
	s_cbranch_execz .LBB121_13
	s_branch .LBB121_18
.LBB121_12:
                                        ; implicit-def: $vgpr8_vgpr9
                                        ; implicit-def: $vgpr10_vgpr11
.LBB121_13:
	v_mov_b32_e32 v8, 0
	v_mov_b32_e32 v9, 0
	s_delay_alu instid0(VALU_DEP_1)
	v_dual_mov_b32 v11, v9 :: v_dual_mov_b32 v10, v8
	s_and_saveexec_b32 s3, s2
	s_cbranch_execz .LBB121_17
; %bb.14:
	v_mov_b32_e32 v8, 0
	v_dual_mov_b32 v9, 0 :: v_dual_mov_b32 v14, 0
	v_mad_u64_u32 v[12:13], null, v6, 22, 21
	s_mov_b32 s2, 0
	s_delay_alu instid0(VALU_DEP_2)
	v_dual_mov_b32 v11, v9 :: v_dual_mov_b32 v10, v8
.LBB121_15:                             ; =>This Inner Loop Header: Depth=1
	v_ashrrev_i32_e32 v7, 31, v6
	s_delay_alu instid0(VALU_DEP_3) | instskip(SKIP_1) | instid1(VALU_DEP_3)
	v_subrev_nc_u32_e32 v13, 21, v12
	v_mov_b32_e32 v23, v14
	v_lshlrev_b64 v[15:16], 2, v[6:7]
	v_add_nc_u32_e32 v6, 4, v6
	s_delay_alu instid0(VALU_DEP_4) | instskip(NEXT) | instid1(VALU_DEP_3)
	v_lshlrev_b64 v[18:19], 3, v[13:14]
	v_add_co_u32 v15, vcc_lo, s6, v15
	s_delay_alu instid0(VALU_DEP_4) | instskip(NEXT) | instid1(VALU_DEP_3)
	v_add_co_ci_u32_e32 v16, vcc_lo, s7, v16, vcc_lo
	v_add_co_u32 v18, vcc_lo, s8, v18
	s_delay_alu instid0(VALU_DEP_4) | instskip(SKIP_2) | instid1(VALU_DEP_1)
	v_add_co_ci_u32_e32 v19, vcc_lo, s9, v19, vcc_lo
	global_load_b32 v7, v[15:16], off
	v_dual_mov_b32 v16, v14 :: v_dual_add_nc_u32 v15, -10, v12
	v_lshlrev_b64 v[15:16], 3, v[15:16]
	s_delay_alu instid0(VALU_DEP_1) | instskip(NEXT) | instid1(VALU_DEP_2)
	v_add_co_u32 v15, vcc_lo, s8, v15
	v_add_co_ci_u32_e32 v16, vcc_lo, s9, v16, vcc_lo
	s_clause 0x1
	global_load_b128 v[18:21], v[18:19], off
	global_load_b64 v[15:16], v[15:16], off
	s_waitcnt vmcnt(2)
	v_subrev_nc_u32_e32 v7, s12, v7
	s_delay_alu instid0(VALU_DEP_1) | instskip(NEXT) | instid1(VALU_DEP_1)
	v_mul_lo_u32 v22, v7, 11
	v_lshlrev_b64 v[23:24], 3, v[22:23]
	v_add_nc_u32_e32 v13, 1, v22
	s_delay_alu instid0(VALU_DEP_1) | instskip(NEXT) | instid1(VALU_DEP_3)
	v_lshlrev_b64 v[25:26], 3, v[13:14]
	v_add_co_u32 v23, vcc_lo, s10, v23
	s_delay_alu instid0(VALU_DEP_4) | instskip(SKIP_1) | instid1(VALU_DEP_4)
	v_add_co_ci_u32_e32 v24, vcc_lo, s11, v24, vcc_lo
	v_add_nc_u32_e32 v13, -9, v12
	v_add_co_u32 v25, vcc_lo, s10, v25
	global_load_b64 v[23:24], v[23:24], off
	v_add_co_ci_u32_e32 v26, vcc_lo, s11, v26, vcc_lo
	v_lshlrev_b64 v[27:28], 3, v[13:14]
	v_subrev_nc_u32_e32 v13, 19, v12
	s_delay_alu instid0(VALU_DEP_2) | instskip(NEXT) | instid1(VALU_DEP_3)
	v_add_co_u32 v27, vcc_lo, s8, v27
	v_add_co_ci_u32_e32 v28, vcc_lo, s9, v28, vcc_lo
	global_load_b64 v[25:26], v[25:26], off
	global_load_b64 v[27:28], v[27:28], off
	v_lshlrev_b64 v[29:30], 3, v[13:14]
	v_add_nc_u32_e32 v13, 2, v22
	s_delay_alu instid0(VALU_DEP_1) | instskip(SKIP_1) | instid1(VALU_DEP_4)
	v_lshlrev_b64 v[31:32], 3, v[13:14]
	v_add_nc_u32_e32 v13, -8, v12
	v_add_co_u32 v29, vcc_lo, s8, v29
	v_add_co_ci_u32_e32 v30, vcc_lo, s9, v30, vcc_lo
	s_delay_alu instid0(VALU_DEP_3) | instskip(SKIP_3) | instid1(VALU_DEP_4)
	v_lshlrev_b64 v[33:34], 3, v[13:14]
	v_add_co_u32 v31, vcc_lo, s10, v31
	v_add_co_ci_u32_e32 v32, vcc_lo, s11, v32, vcc_lo
	v_subrev_nc_u32_e32 v13, 18, v12
	v_add_co_u32 v33, vcc_lo, s8, v33
	v_add_co_ci_u32_e32 v34, vcc_lo, s9, v34, vcc_lo
	global_load_b64 v[29:30], v[29:30], off
	global_load_b64 v[31:32], v[31:32], off
	;; [unrolled: 1-line block ×3, first 2 shown]
	v_lshlrev_b64 v[35:36], 3, v[13:14]
	v_add_nc_u32_e32 v13, 3, v22
	s_delay_alu instid0(VALU_DEP_1) | instskip(SKIP_1) | instid1(VALU_DEP_4)
	v_lshlrev_b64 v[37:38], 3, v[13:14]
	v_add_nc_u32_e32 v13, -7, v12
	v_add_co_u32 v35, vcc_lo, s8, v35
	v_add_co_ci_u32_e32 v36, vcc_lo, s9, v36, vcc_lo
	s_delay_alu instid0(VALU_DEP_3) | instskip(SKIP_3) | instid1(VALU_DEP_4)
	v_lshlrev_b64 v[39:40], 3, v[13:14]
	v_add_co_u32 v37, vcc_lo, s10, v37
	v_add_co_ci_u32_e32 v38, vcc_lo, s11, v38, vcc_lo
	v_subrev_nc_u32_e32 v13, 17, v12
	v_add_co_u32 v39, vcc_lo, s8, v39
	v_add_co_ci_u32_e32 v40, vcc_lo, s9, v40, vcc_lo
	global_load_b64 v[35:36], v[35:36], off
	global_load_b64 v[37:38], v[37:38], off
	global_load_b64 v[39:40], v[39:40], off
	v_lshlrev_b64 v[41:42], 3, v[13:14]
	v_add_nc_u32_e32 v13, 4, v22
	s_delay_alu instid0(VALU_DEP_1) | instskip(SKIP_1) | instid1(VALU_DEP_4)
	v_lshlrev_b64 v[43:44], 3, v[13:14]
	v_add_nc_u32_e32 v13, -6, v12
	v_add_co_u32 v41, vcc_lo, s8, v41
	v_add_co_ci_u32_e32 v42, vcc_lo, s9, v42, vcc_lo
	s_delay_alu instid0(VALU_DEP_3) | instskip(SKIP_3) | instid1(VALU_DEP_4)
	v_lshlrev_b64 v[45:46], 3, v[13:14]
	v_add_co_u32 v43, vcc_lo, s10, v43
	v_add_co_ci_u32_e32 v44, vcc_lo, s11, v44, vcc_lo
	v_add_nc_u32_e32 v13, -16, v12
	v_add_co_u32 v45, vcc_lo, s8, v45
	v_add_co_ci_u32_e32 v46, vcc_lo, s9, v46, vcc_lo
	global_load_b64 v[41:42], v[41:42], off
	global_load_b64 v[43:44], v[43:44], off
	global_load_b64 v[45:46], v[45:46], off
	v_lshlrev_b64 v[47:48], 3, v[13:14]
	v_add_nc_u32_e32 v13, 5, v22
	s_delay_alu instid0(VALU_DEP_1) | instskip(SKIP_1) | instid1(VALU_DEP_4)
	v_lshlrev_b64 v[49:50], 3, v[13:14]
	v_add_nc_u32_e32 v13, -5, v12
	v_add_co_u32 v47, vcc_lo, s8, v47
	v_add_co_ci_u32_e32 v48, vcc_lo, s9, v48, vcc_lo
	s_delay_alu instid0(VALU_DEP_3) | instskip(SKIP_3) | instid1(VALU_DEP_4)
	v_lshlrev_b64 v[51:52], 3, v[13:14]
	v_add_co_u32 v49, vcc_lo, s10, v49
	v_add_co_ci_u32_e32 v50, vcc_lo, s11, v50, vcc_lo
	v_add_nc_u32_e32 v13, -15, v12
	;; [unrolled: 17-line block ×5, first 2 shown]
	v_add_co_u32 v69, vcc_lo, s8, v69
	v_add_co_ci_u32_e32 v70, vcc_lo, s9, v70, vcc_lo
	global_load_b64 v[65:66], v[65:66], off
	global_load_b64 v[67:68], v[67:68], off
	;; [unrolled: 1-line block ×3, first 2 shown]
	v_lshlrev_b64 v[71:72], 3, v[13:14]
	v_add_nc_u32_e32 v13, 9, v22
	s_waitcnt vmcnt(23)
	v_fma_f64 v[7:8], v[18:19], v[23:24], v[8:9]
	v_fma_f64 v[9:10], v[15:16], v[23:24], v[10:11]
	s_delay_alu instid0(VALU_DEP_3) | instskip(SKIP_3) | instid1(VALU_DEP_3)
	v_lshlrev_b64 v[15:16], 3, v[13:14]
	v_add_nc_u32_e32 v13, -1, v12
	v_add_co_u32 v18, vcc_lo, s8, v71
	v_add_co_ci_u32_e32 v19, vcc_lo, s9, v72, vcc_lo
	v_lshlrev_b64 v[23:24], 3, v[13:14]
	v_add_co_u32 v15, vcc_lo, s10, v15
	v_add_co_ci_u32_e32 v16, vcc_lo, s11, v16, vcc_lo
	v_mov_b32_e32 v13, v14
	s_delay_alu instid0(VALU_DEP_4)
	v_add_co_u32 v23, vcc_lo, s8, v23
	v_add_co_ci_u32_e32 v24, vcc_lo, s9, v24, vcc_lo
	global_load_b64 v[18:19], v[18:19], off
	global_load_b64 v[15:16], v[15:16], off
	;; [unrolled: 1-line block ×3, first 2 shown]
	v_lshlrev_b64 v[71:72], 3, v[12:13]
	v_add_nc_u32_e32 v13, -11, v12
	v_add_nc_u32_e32 v12, 0x58, v12
	s_delay_alu instid0(VALU_DEP_3) | instskip(NEXT) | instid1(VALU_DEP_4)
	v_add_co_u32 v71, vcc_lo, s8, v71
	v_add_co_ci_u32_e32 v72, vcc_lo, s9, v72, vcc_lo
	s_waitcnt vmcnt(25)
	v_fma_f64 v[7:8], v[20:21], v[25:26], v[7:8]
	s_waitcnt vmcnt(24)
	v_fma_f64 v[9:10], v[27:28], v[25:26], v[9:10]
	v_lshlrev_b64 v[20:21], 3, v[13:14]
	v_add_nc_u32_e32 v13, 10, v22
	s_delay_alu instid0(VALU_DEP_1) | instskip(NEXT) | instid1(VALU_DEP_3)
	v_lshlrev_b64 v[25:26], 3, v[13:14]
	v_add_co_u32 v20, vcc_lo, s8, v20
	s_delay_alu instid0(VALU_DEP_4) | instskip(NEXT) | instid1(VALU_DEP_3)
	v_add_co_ci_u32_e32 v21, vcc_lo, s9, v21, vcc_lo
	v_add_co_u32 v25, vcc_lo, s10, v25
	s_delay_alu instid0(VALU_DEP_4)
	v_add_co_ci_u32_e32 v26, vcc_lo, s11, v26, vcc_lo
	s_clause 0x1
	global_load_b64 v[27:28], v[71:72], off
	global_load_b64 v[20:21], v[20:21], off
	;; [unrolled: 1-line block ×3, first 2 shown]
	v_cmp_ge_i32_e32 vcc_lo, v6, v17
	s_or_b32 s2, vcc_lo, s2
	s_waitcnt vmcnt(25)
	v_fma_f64 v[7:8], v[29:30], v[31:32], v[7:8]
	s_waitcnt vmcnt(24)
	v_fma_f64 v[9:10], v[33:34], v[31:32], v[9:10]
	s_waitcnt vmcnt(22)
	s_delay_alu instid0(VALU_DEP_2) | instskip(SKIP_1) | instid1(VALU_DEP_2)
	v_fma_f64 v[7:8], v[35:36], v[37:38], v[7:8]
	s_waitcnt vmcnt(21)
	v_fma_f64 v[9:10], v[39:40], v[37:38], v[9:10]
	s_waitcnt vmcnt(19)
	s_delay_alu instid0(VALU_DEP_2) | instskip(SKIP_1) | instid1(VALU_DEP_2)
	;; [unrolled: 5-line block ×7, first 2 shown]
	v_fma_f64 v[7:8], v[18:19], v[15:16], v[7:8]
	s_waitcnt vmcnt(3)
	v_fma_f64 v[10:11], v[23:24], v[15:16], v[9:10]
	s_waitcnt vmcnt(0)
	s_delay_alu instid0(VALU_DEP_2) | instskip(NEXT) | instid1(VALU_DEP_2)
	v_fma_f64 v[8:9], v[20:21], v[25:26], v[7:8]
	v_fma_f64 v[10:11], v[27:28], v[25:26], v[10:11]
	s_and_not1_b32 exec_lo, exec_lo, s2
	s_cbranch_execnz .LBB121_15
; %bb.16:
	s_or_b32 exec_lo, exec_lo, s2
.LBB121_17:
	s_delay_alu instid0(SALU_CYCLE_1)
	s_or_b32 exec_lo, exec_lo, s3
.LBB121_18:
	v_mbcnt_lo_u32_b32 v14, -1, 0
	s_delay_alu instid0(VALU_DEP_1) | instskip(NEXT) | instid1(VALU_DEP_1)
	v_xor_b32_e32 v6, 2, v14
	v_cmp_gt_i32_e32 vcc_lo, 32, v6
	v_cndmask_b32_e32 v6, v14, v6, vcc_lo
	s_delay_alu instid0(VALU_DEP_1)
	v_lshlrev_b32_e32 v13, 2, v6
	ds_bpermute_b32 v6, v13, v8
	ds_bpermute_b32 v7, v13, v9
	s_waitcnt lgkmcnt(0)
	v_add_f64 v[6:7], v[8:9], v[6:7]
	v_xor_b32_e32 v8, 1, v14
	s_delay_alu instid0(VALU_DEP_1)
	v_cmp_gt_i32_e32 vcc_lo, 32, v8
	v_cndmask_b32_e32 v8, v14, v8, vcc_lo
	ds_bpermute_b32 v12, v13, v10
	ds_bpermute_b32 v13, v13, v11
	v_cmp_eq_u32_e32 vcc_lo, 3, v0
	s_waitcnt lgkmcnt(0)
	v_add_f64 v[10:11], v[10:11], v[12:13]
	v_lshlrev_b32_e32 v13, 2, v8
	ds_bpermute_b32 v8, v13, v6
	ds_bpermute_b32 v9, v13, v7
	ds_bpermute_b32 v12, v13, v10
	ds_bpermute_b32 v13, v13, v11
	s_and_b32 exec_lo, exec_lo, vcc_lo
	s_cbranch_execz .LBB121_23
; %bb.19:
	s_waitcnt lgkmcnt(2)
	v_add_f64 v[8:9], v[6:7], v[8:9]
	s_waitcnt lgkmcnt(0)
	v_add_f64 v[6:7], v[10:11], v[12:13]
	s_load_b64 s[0:1], s[0:1], 0x38
	s_mov_b32 s2, exec_lo
	v_cmpx_eq_f64_e32 0, v[3:4]
	s_xor_b32 s2, exec_lo, s2
	s_cbranch_execz .LBB121_21
; %bb.20:
	s_delay_alu instid0(VALU_DEP_3) | instskip(NEXT) | instid1(VALU_DEP_3)
	v_mul_f64 v[8:9], v[1:2], v[8:9]
	v_mul_f64 v[10:11], v[1:2], v[6:7]
	v_lshlrev_b32_e32 v0, 1, v5
                                        ; implicit-def: $vgpr5
                                        ; implicit-def: $vgpr3_vgpr4
                                        ; implicit-def: $vgpr6_vgpr7
	s_delay_alu instid0(VALU_DEP_1) | instskip(NEXT) | instid1(VALU_DEP_1)
	v_ashrrev_i32_e32 v1, 31, v0
	v_lshlrev_b64 v[0:1], 3, v[0:1]
	s_waitcnt lgkmcnt(0)
	s_delay_alu instid0(VALU_DEP_1) | instskip(NEXT) | instid1(VALU_DEP_2)
	v_add_co_u32 v0, vcc_lo, s0, v0
	v_add_co_ci_u32_e32 v1, vcc_lo, s1, v1, vcc_lo
	global_store_b128 v[0:1], v[8:11], off
                                        ; implicit-def: $vgpr1_vgpr2
                                        ; implicit-def: $vgpr8_vgpr9
.LBB121_21:
	s_and_not1_saveexec_b32 s2, s2
	s_cbranch_execz .LBB121_23
; %bb.22:
	v_lshlrev_b32_e32 v10, 1, v5
	s_delay_alu instid0(VALU_DEP_4) | instskip(NEXT) | instid1(VALU_DEP_4)
	v_mul_f64 v[8:9], v[1:2], v[8:9]
	v_mul_f64 v[5:6], v[1:2], v[6:7]
	s_delay_alu instid0(VALU_DEP_3) | instskip(NEXT) | instid1(VALU_DEP_1)
	v_ashrrev_i32_e32 v11, 31, v10
	v_lshlrev_b64 v[10:11], 3, v[10:11]
	s_waitcnt lgkmcnt(0)
	s_delay_alu instid0(VALU_DEP_1) | instskip(NEXT) | instid1(VALU_DEP_2)
	v_add_co_u32 v14, vcc_lo, s0, v10
	v_add_co_ci_u32_e32 v15, vcc_lo, s1, v11, vcc_lo
	global_load_b128 v[10:13], v[14:15], off
	s_waitcnt vmcnt(0)
	v_fma_f64 v[0:1], v[3:4], v[10:11], v[8:9]
	v_fma_f64 v[2:3], v[3:4], v[12:13], v[5:6]
	global_store_b128 v[14:15], v[0:3], off
.LBB121_23:
	s_nop 0
	s_sendmsg sendmsg(MSG_DEALLOC_VGPRS)
	s_endpgm
	.section	.rodata,"a",@progbits
	.p2align	6, 0x0
	.amdhsa_kernel _ZN9rocsparseL19gebsrmvn_2xn_kernelILj128ELj11ELj4EdEEvi20rocsparse_direction_NS_24const_host_device_scalarIT2_EEPKiS6_PKS3_S8_S4_PS3_21rocsparse_index_base_b
		.amdhsa_group_segment_fixed_size 0
		.amdhsa_private_segment_fixed_size 0
		.amdhsa_kernarg_size 72
		.amdhsa_user_sgpr_count 15
		.amdhsa_user_sgpr_dispatch_ptr 0
		.amdhsa_user_sgpr_queue_ptr 0
		.amdhsa_user_sgpr_kernarg_segment_ptr 1
		.amdhsa_user_sgpr_dispatch_id 0
		.amdhsa_user_sgpr_private_segment_size 0
		.amdhsa_wavefront_size32 1
		.amdhsa_uses_dynamic_stack 0
		.amdhsa_enable_private_segment 0
		.amdhsa_system_sgpr_workgroup_id_x 1
		.amdhsa_system_sgpr_workgroup_id_y 0
		.amdhsa_system_sgpr_workgroup_id_z 0
		.amdhsa_system_sgpr_workgroup_info 0
		.amdhsa_system_vgpr_workitem_id 0
		.amdhsa_next_free_vgpr 73
		.amdhsa_next_free_sgpr 16
		.amdhsa_reserve_vcc 1
		.amdhsa_float_round_mode_32 0
		.amdhsa_float_round_mode_16_64 0
		.amdhsa_float_denorm_mode_32 3
		.amdhsa_float_denorm_mode_16_64 3
		.amdhsa_dx10_clamp 1
		.amdhsa_ieee_mode 1
		.amdhsa_fp16_overflow 0
		.amdhsa_workgroup_processor_mode 1
		.amdhsa_memory_ordered 1
		.amdhsa_forward_progress 0
		.amdhsa_shared_vgpr_count 0
		.amdhsa_exception_fp_ieee_invalid_op 0
		.amdhsa_exception_fp_denorm_src 0
		.amdhsa_exception_fp_ieee_div_zero 0
		.amdhsa_exception_fp_ieee_overflow 0
		.amdhsa_exception_fp_ieee_underflow 0
		.amdhsa_exception_fp_ieee_inexact 0
		.amdhsa_exception_int_div_zero 0
	.end_amdhsa_kernel
	.section	.text._ZN9rocsparseL19gebsrmvn_2xn_kernelILj128ELj11ELj4EdEEvi20rocsparse_direction_NS_24const_host_device_scalarIT2_EEPKiS6_PKS3_S8_S4_PS3_21rocsparse_index_base_b,"axG",@progbits,_ZN9rocsparseL19gebsrmvn_2xn_kernelILj128ELj11ELj4EdEEvi20rocsparse_direction_NS_24const_host_device_scalarIT2_EEPKiS6_PKS3_S8_S4_PS3_21rocsparse_index_base_b,comdat
.Lfunc_end121:
	.size	_ZN9rocsparseL19gebsrmvn_2xn_kernelILj128ELj11ELj4EdEEvi20rocsparse_direction_NS_24const_host_device_scalarIT2_EEPKiS6_PKS3_S8_S4_PS3_21rocsparse_index_base_b, .Lfunc_end121-_ZN9rocsparseL19gebsrmvn_2xn_kernelILj128ELj11ELj4EdEEvi20rocsparse_direction_NS_24const_host_device_scalarIT2_EEPKiS6_PKS3_S8_S4_PS3_21rocsparse_index_base_b
                                        ; -- End function
	.section	.AMDGPU.csdata,"",@progbits
; Kernel info:
; codeLenInByte = 3472
; NumSgprs: 18
; NumVgprs: 73
; ScratchSize: 0
; MemoryBound: 0
; FloatMode: 240
; IeeeMode: 1
; LDSByteSize: 0 bytes/workgroup (compile time only)
; SGPRBlocks: 2
; VGPRBlocks: 9
; NumSGPRsForWavesPerEU: 18
; NumVGPRsForWavesPerEU: 73
; Occupancy: 16
; WaveLimiterHint : 1
; COMPUTE_PGM_RSRC2:SCRATCH_EN: 0
; COMPUTE_PGM_RSRC2:USER_SGPR: 15
; COMPUTE_PGM_RSRC2:TRAP_HANDLER: 0
; COMPUTE_PGM_RSRC2:TGID_X_EN: 1
; COMPUTE_PGM_RSRC2:TGID_Y_EN: 0
; COMPUTE_PGM_RSRC2:TGID_Z_EN: 0
; COMPUTE_PGM_RSRC2:TIDIG_COMP_CNT: 0
	.section	.text._ZN9rocsparseL19gebsrmvn_2xn_kernelILj128ELj11ELj8EdEEvi20rocsparse_direction_NS_24const_host_device_scalarIT2_EEPKiS6_PKS3_S8_S4_PS3_21rocsparse_index_base_b,"axG",@progbits,_ZN9rocsparseL19gebsrmvn_2xn_kernelILj128ELj11ELj8EdEEvi20rocsparse_direction_NS_24const_host_device_scalarIT2_EEPKiS6_PKS3_S8_S4_PS3_21rocsparse_index_base_b,comdat
	.globl	_ZN9rocsparseL19gebsrmvn_2xn_kernelILj128ELj11ELj8EdEEvi20rocsparse_direction_NS_24const_host_device_scalarIT2_EEPKiS6_PKS3_S8_S4_PS3_21rocsparse_index_base_b ; -- Begin function _ZN9rocsparseL19gebsrmvn_2xn_kernelILj128ELj11ELj8EdEEvi20rocsparse_direction_NS_24const_host_device_scalarIT2_EEPKiS6_PKS3_S8_S4_PS3_21rocsparse_index_base_b
	.p2align	8
	.type	_ZN9rocsparseL19gebsrmvn_2xn_kernelILj128ELj11ELj8EdEEvi20rocsparse_direction_NS_24const_host_device_scalarIT2_EEPKiS6_PKS3_S8_S4_PS3_21rocsparse_index_base_b,@function
_ZN9rocsparseL19gebsrmvn_2xn_kernelILj128ELj11ELj8EdEEvi20rocsparse_direction_NS_24const_host_device_scalarIT2_EEPKiS6_PKS3_S8_S4_PS3_21rocsparse_index_base_b: ; @_ZN9rocsparseL19gebsrmvn_2xn_kernelILj128ELj11ELj8EdEEvi20rocsparse_direction_NS_24const_host_device_scalarIT2_EEPKiS6_PKS3_S8_S4_PS3_21rocsparse_index_base_b
; %bb.0:
	s_clause 0x2
	s_load_b64 s[12:13], s[0:1], 0x40
	s_load_b64 s[4:5], s[0:1], 0x8
	;; [unrolled: 1-line block ×3, first 2 shown]
	s_waitcnt lgkmcnt(0)
	s_bitcmp1_b32 s13, 0
	v_dual_mov_b32 v1, s4 :: v_dual_mov_b32 v2, s5
	s_cselect_b32 s6, -1, 0
	s_delay_alu instid0(SALU_CYCLE_1)
	s_and_b32 vcc_lo, exec_lo, s6
	s_xor_b32 s6, s6, -1
	s_cbranch_vccnz .LBB122_2
; %bb.1:
	v_dual_mov_b32 v1, s4 :: v_dual_mov_b32 v2, s5
	flat_load_b64 v[1:2], v[1:2]
.LBB122_2:
	v_dual_mov_b32 v4, s3 :: v_dual_mov_b32 v3, s2
	s_and_not1_b32 vcc_lo, exec_lo, s6
	s_cbranch_vccnz .LBB122_4
; %bb.3:
	v_dual_mov_b32 v4, s3 :: v_dual_mov_b32 v3, s2
	flat_load_b64 v[3:4], v[3:4]
.LBB122_4:
	s_waitcnt vmcnt(0) lgkmcnt(0)
	v_cmp_neq_f64_e32 vcc_lo, 0, v[1:2]
	v_cmp_neq_f64_e64 s2, 1.0, v[3:4]
	s_delay_alu instid0(VALU_DEP_1) | instskip(NEXT) | instid1(SALU_CYCLE_1)
	s_or_b32 s2, vcc_lo, s2
	s_and_saveexec_b32 s3, s2
	s_cbranch_execz .LBB122_23
; %bb.5:
	s_load_b64 s[2:3], s[0:1], 0x0
	v_lshrrev_b32_e32 v5, 3, v0
	s_delay_alu instid0(VALU_DEP_1) | instskip(SKIP_1) | instid1(VALU_DEP_1)
	v_lshl_or_b32 v5, s15, 4, v5
	s_waitcnt lgkmcnt(0)
	v_cmp_gt_i32_e32 vcc_lo, s2, v5
	s_and_b32 exec_lo, exec_lo, vcc_lo
	s_cbranch_execz .LBB122_23
; %bb.6:
	s_load_b256 s[4:11], s[0:1], 0x10
	v_ashrrev_i32_e32 v6, 31, v5
	v_and_b32_e32 v0, 7, v0
	s_cmp_lg_u32 s3, 0
	s_delay_alu instid0(VALU_DEP_2) | instskip(SKIP_1) | instid1(VALU_DEP_1)
	v_lshlrev_b64 v[6:7], 2, v[5:6]
	s_waitcnt lgkmcnt(0)
	v_add_co_u32 v6, vcc_lo, s4, v6
	s_delay_alu instid0(VALU_DEP_2) | instskip(SKIP_4) | instid1(VALU_DEP_2)
	v_add_co_ci_u32_e32 v7, vcc_lo, s5, v7, vcc_lo
	global_load_b64 v[6:7], v[6:7], off
	s_waitcnt vmcnt(0)
	v_subrev_nc_u32_e32 v6, s12, v6
	v_subrev_nc_u32_e32 v17, s12, v7
	v_add_nc_u32_e32 v6, v6, v0
	s_delay_alu instid0(VALU_DEP_1)
	v_cmp_lt_i32_e64 s2, v6, v17
	s_cbranch_scc0 .LBB122_12
; %bb.7:
	v_mov_b32_e32 v8, 0
	v_mov_b32_e32 v9, 0
	s_delay_alu instid0(VALU_DEP_1)
	v_dual_mov_b32 v11, v9 :: v_dual_mov_b32 v10, v8
	s_and_saveexec_b32 s3, s2
	s_cbranch_execz .LBB122_11
; %bb.8:
	v_dual_mov_b32 v8, 0 :: v_dual_mov_b32 v15, v6
	v_dual_mov_b32 v9, 0 :: v_dual_mov_b32 v14, 0
	v_mad_u64_u32 v[12:13], null, v6, 22, 20
	s_mov_b32 s4, 0
	s_delay_alu instid0(VALU_DEP_2)
	v_dual_mov_b32 v11, v9 :: v_dual_mov_b32 v10, v8
.LBB122_9:                              ; =>This Inner Loop Header: Depth=1
	v_ashrrev_i32_e32 v16, 31, v15
	s_delay_alu instid0(VALU_DEP_3) | instskip(SKIP_1) | instid1(VALU_DEP_3)
	v_subrev_nc_u32_e32 v13, 20, v12
	v_mov_b32_e32 v55, v14
	v_lshlrev_b64 v[18:19], 2, v[15:16]
	v_add_nc_u32_e32 v15, 8, v15
	s_delay_alu instid0(VALU_DEP_2) | instskip(NEXT) | instid1(VALU_DEP_3)
	v_add_co_u32 v18, vcc_lo, s6, v18
	v_add_co_ci_u32_e32 v19, vcc_lo, s7, v19, vcc_lo
	global_load_b32 v7, v[18:19], off
	v_lshlrev_b64 v[18:19], 3, v[13:14]
	v_subrev_nc_u32_e32 v13, 18, v12
	s_delay_alu instid0(VALU_DEP_2) | instskip(NEXT) | instid1(VALU_DEP_3)
	v_add_co_u32 v18, vcc_lo, s8, v18
	v_add_co_ci_u32_e32 v19, vcc_lo, s9, v19, vcc_lo
	global_load_b128 v[18:21], v[18:19], off
	s_waitcnt vmcnt(1)
	v_subrev_nc_u32_e32 v7, s12, v7
	s_delay_alu instid0(VALU_DEP_1) | instskip(NEXT) | instid1(VALU_DEP_1)
	v_mul_lo_u32 v54, v7, 11
	v_lshlrev_b64 v[22:23], 3, v[54:55]
	s_delay_alu instid0(VALU_DEP_1) | instskip(NEXT) | instid1(VALU_DEP_2)
	v_add_co_u32 v22, vcc_lo, s10, v22
	v_add_co_ci_u32_e32 v23, vcc_lo, s11, v23, vcc_lo
	global_load_b64 v[55:56], v[22:23], off
	v_lshlrev_b64 v[22:23], 3, v[13:14]
	v_add_nc_u32_e32 v13, 1, v54
	s_delay_alu instid0(VALU_DEP_1) | instskip(NEXT) | instid1(VALU_DEP_3)
	v_lshlrev_b64 v[24:25], 3, v[13:14]
	v_add_co_u32 v22, vcc_lo, s8, v22
	s_delay_alu instid0(VALU_DEP_4) | instskip(SKIP_1) | instid1(VALU_DEP_4)
	v_add_co_ci_u32_e32 v23, vcc_lo, s9, v23, vcc_lo
	v_add_nc_u32_e32 v13, -16, v12
	v_add_co_u32 v26, vcc_lo, s10, v24
	v_add_co_ci_u32_e32 v27, vcc_lo, s11, v25, vcc_lo
	global_load_b128 v[22:25], v[22:23], off
	global_load_b64 v[57:58], v[26:27], off
	v_lshlrev_b64 v[26:27], 3, v[13:14]
	v_add_nc_u32_e32 v13, 2, v54
	s_delay_alu instid0(VALU_DEP_1) | instskip(NEXT) | instid1(VALU_DEP_3)
	v_lshlrev_b64 v[28:29], 3, v[13:14]
	v_add_co_u32 v26, vcc_lo, s8, v26
	s_delay_alu instid0(VALU_DEP_4) | instskip(SKIP_1) | instid1(VALU_DEP_4)
	v_add_co_ci_u32_e32 v27, vcc_lo, s9, v27, vcc_lo
	v_add_nc_u32_e32 v13, -14, v12
	v_add_co_u32 v30, vcc_lo, s10, v28
	v_add_co_ci_u32_e32 v31, vcc_lo, s11, v29, vcc_lo
	global_load_b128 v[26:29], v[26:27], off
	;; [unrolled: 12-line block ×8, first 2 shown]
	global_load_b64 v[71:72], v[71:72], off
	s_waitcnt vmcnt(16)
	v_fma_f64 v[18:19], v[18:19], v[55:56], v[8:9]
	v_fma_f64 v[20:21], v[20:21], v[55:56], v[10:11]
	v_lshlrev_b64 v[7:8], 3, v[13:14]
	v_add_nc_u32_e32 v13, 9, v54
	s_delay_alu instid0(VALU_DEP_1) | instskip(NEXT) | instid1(VALU_DEP_3)
	v_lshlrev_b64 v[9:10], 3, v[13:14]
	v_add_co_u32 v7, vcc_lo, s8, v7
	s_delay_alu instid0(VALU_DEP_4) | instskip(SKIP_1) | instid1(VALU_DEP_4)
	v_add_co_ci_u32_e32 v8, vcc_lo, s9, v8, vcc_lo
	v_mov_b32_e32 v13, v14
	v_add_co_u32 v55, vcc_lo, s10, v9
	v_add_co_ci_u32_e32 v56, vcc_lo, s11, v10, vcc_lo
	global_load_b128 v[7:10], v[7:8], off
	global_load_b64 v[55:56], v[55:56], off
	s_waitcnt vmcnt(16)
	v_fma_f64 v[22:23], v[22:23], v[57:58], v[18:19]
	v_fma_f64 v[24:25], v[24:25], v[57:58], v[20:21]
	v_lshlrev_b64 v[18:19], 3, v[12:13]
	v_add_nc_u32_e32 v12, 0xb0, v12
	v_add_nc_u32_e32 v13, 10, v54
	s_delay_alu instid0(VALU_DEP_3) | instskip(NEXT) | instid1(VALU_DEP_2)
	v_add_co_u32 v18, vcc_lo, s8, v18
	v_lshlrev_b64 v[20:21], 3, v[13:14]
	v_add_co_ci_u32_e32 v19, vcc_lo, s9, v19, vcc_lo
	s_delay_alu instid0(VALU_DEP_2) | instskip(NEXT) | instid1(VALU_DEP_3)
	v_add_co_u32 v57, vcc_lo, s10, v20
	v_add_co_ci_u32_e32 v58, vcc_lo, s11, v21, vcc_lo
	global_load_b128 v[18:21], v[18:19], off
	global_load_b64 v[57:58], v[57:58], off
	v_cmp_ge_i32_e32 vcc_lo, v15, v17
	s_or_b32 s4, vcc_lo, s4
	s_waitcnt vmcnt(16)
	v_fma_f64 v[22:23], v[26:27], v[59:60], v[22:23]
	v_fma_f64 v[24:25], v[28:29], v[59:60], v[24:25]
	s_waitcnt vmcnt(14)
	s_delay_alu instid0(VALU_DEP_2) | instskip(NEXT) | instid1(VALU_DEP_2)
	v_fma_f64 v[22:23], v[30:31], v[61:62], v[22:23]
	v_fma_f64 v[24:25], v[32:33], v[61:62], v[24:25]
	s_waitcnt vmcnt(12)
	s_delay_alu instid0(VALU_DEP_2) | instskip(NEXT) | instid1(VALU_DEP_2)
	;; [unrolled: 4-line block ×8, first 2 shown]
	v_fma_f64 v[8:9], v[18:19], v[57:58], v[7:8]
	v_fma_f64 v[10:11], v[20:21], v[57:58], v[10:11]
	s_and_not1_b32 exec_lo, exec_lo, s4
	s_cbranch_execnz .LBB122_9
; %bb.10:
	s_or_b32 exec_lo, exec_lo, s4
.LBB122_11:
	s_delay_alu instid0(SALU_CYCLE_1)
	s_or_b32 exec_lo, exec_lo, s3
	s_cbranch_execz .LBB122_13
	s_branch .LBB122_18
.LBB122_12:
                                        ; implicit-def: $vgpr8_vgpr9
                                        ; implicit-def: $vgpr10_vgpr11
.LBB122_13:
	v_mov_b32_e32 v8, 0
	v_mov_b32_e32 v9, 0
	s_delay_alu instid0(VALU_DEP_1)
	v_dual_mov_b32 v11, v9 :: v_dual_mov_b32 v10, v8
	s_and_saveexec_b32 s3, s2
	s_cbranch_execz .LBB122_17
; %bb.14:
	v_mov_b32_e32 v8, 0
	v_dual_mov_b32 v9, 0 :: v_dual_mov_b32 v14, 0
	v_mad_u64_u32 v[12:13], null, v6, 22, 21
	s_mov_b32 s2, 0
	s_delay_alu instid0(VALU_DEP_2)
	v_dual_mov_b32 v11, v9 :: v_dual_mov_b32 v10, v8
.LBB122_15:                             ; =>This Inner Loop Header: Depth=1
	v_ashrrev_i32_e32 v7, 31, v6
	s_delay_alu instid0(VALU_DEP_3) | instskip(SKIP_1) | instid1(VALU_DEP_3)
	v_subrev_nc_u32_e32 v13, 21, v12
	v_mov_b32_e32 v23, v14
	v_lshlrev_b64 v[15:16], 2, v[6:7]
	v_add_nc_u32_e32 v6, 8, v6
	s_delay_alu instid0(VALU_DEP_4) | instskip(NEXT) | instid1(VALU_DEP_3)
	v_lshlrev_b64 v[18:19], 3, v[13:14]
	v_add_co_u32 v15, vcc_lo, s6, v15
	s_delay_alu instid0(VALU_DEP_4) | instskip(NEXT) | instid1(VALU_DEP_3)
	v_add_co_ci_u32_e32 v16, vcc_lo, s7, v16, vcc_lo
	v_add_co_u32 v18, vcc_lo, s8, v18
	s_delay_alu instid0(VALU_DEP_4) | instskip(SKIP_2) | instid1(VALU_DEP_1)
	v_add_co_ci_u32_e32 v19, vcc_lo, s9, v19, vcc_lo
	global_load_b32 v7, v[15:16], off
	v_dual_mov_b32 v16, v14 :: v_dual_add_nc_u32 v15, -10, v12
	v_lshlrev_b64 v[15:16], 3, v[15:16]
	s_delay_alu instid0(VALU_DEP_1) | instskip(NEXT) | instid1(VALU_DEP_2)
	v_add_co_u32 v15, vcc_lo, s8, v15
	v_add_co_ci_u32_e32 v16, vcc_lo, s9, v16, vcc_lo
	s_clause 0x1
	global_load_b128 v[18:21], v[18:19], off
	global_load_b64 v[15:16], v[15:16], off
	s_waitcnt vmcnt(2)
	v_subrev_nc_u32_e32 v7, s12, v7
	s_delay_alu instid0(VALU_DEP_1) | instskip(NEXT) | instid1(VALU_DEP_1)
	v_mul_lo_u32 v22, v7, 11
	v_lshlrev_b64 v[23:24], 3, v[22:23]
	v_add_nc_u32_e32 v13, 1, v22
	s_delay_alu instid0(VALU_DEP_1) | instskip(NEXT) | instid1(VALU_DEP_3)
	v_lshlrev_b64 v[25:26], 3, v[13:14]
	v_add_co_u32 v23, vcc_lo, s10, v23
	s_delay_alu instid0(VALU_DEP_4) | instskip(SKIP_1) | instid1(VALU_DEP_4)
	v_add_co_ci_u32_e32 v24, vcc_lo, s11, v24, vcc_lo
	v_add_nc_u32_e32 v13, -9, v12
	v_add_co_u32 v25, vcc_lo, s10, v25
	global_load_b64 v[23:24], v[23:24], off
	v_add_co_ci_u32_e32 v26, vcc_lo, s11, v26, vcc_lo
	v_lshlrev_b64 v[27:28], 3, v[13:14]
	v_subrev_nc_u32_e32 v13, 19, v12
	s_delay_alu instid0(VALU_DEP_2) | instskip(NEXT) | instid1(VALU_DEP_3)
	v_add_co_u32 v27, vcc_lo, s8, v27
	v_add_co_ci_u32_e32 v28, vcc_lo, s9, v28, vcc_lo
	global_load_b64 v[25:26], v[25:26], off
	global_load_b64 v[27:28], v[27:28], off
	v_lshlrev_b64 v[29:30], 3, v[13:14]
	v_add_nc_u32_e32 v13, 2, v22
	s_delay_alu instid0(VALU_DEP_1) | instskip(SKIP_1) | instid1(VALU_DEP_4)
	v_lshlrev_b64 v[31:32], 3, v[13:14]
	v_add_nc_u32_e32 v13, -8, v12
	v_add_co_u32 v29, vcc_lo, s8, v29
	v_add_co_ci_u32_e32 v30, vcc_lo, s9, v30, vcc_lo
	s_delay_alu instid0(VALU_DEP_3) | instskip(SKIP_3) | instid1(VALU_DEP_4)
	v_lshlrev_b64 v[33:34], 3, v[13:14]
	v_add_co_u32 v31, vcc_lo, s10, v31
	v_add_co_ci_u32_e32 v32, vcc_lo, s11, v32, vcc_lo
	v_subrev_nc_u32_e32 v13, 18, v12
	v_add_co_u32 v33, vcc_lo, s8, v33
	v_add_co_ci_u32_e32 v34, vcc_lo, s9, v34, vcc_lo
	global_load_b64 v[29:30], v[29:30], off
	global_load_b64 v[31:32], v[31:32], off
	;; [unrolled: 1-line block ×3, first 2 shown]
	v_lshlrev_b64 v[35:36], 3, v[13:14]
	v_add_nc_u32_e32 v13, 3, v22
	s_delay_alu instid0(VALU_DEP_1) | instskip(SKIP_1) | instid1(VALU_DEP_4)
	v_lshlrev_b64 v[37:38], 3, v[13:14]
	v_add_nc_u32_e32 v13, -7, v12
	v_add_co_u32 v35, vcc_lo, s8, v35
	v_add_co_ci_u32_e32 v36, vcc_lo, s9, v36, vcc_lo
	s_delay_alu instid0(VALU_DEP_3) | instskip(SKIP_3) | instid1(VALU_DEP_4)
	v_lshlrev_b64 v[39:40], 3, v[13:14]
	v_add_co_u32 v37, vcc_lo, s10, v37
	v_add_co_ci_u32_e32 v38, vcc_lo, s11, v38, vcc_lo
	v_subrev_nc_u32_e32 v13, 17, v12
	v_add_co_u32 v39, vcc_lo, s8, v39
	v_add_co_ci_u32_e32 v40, vcc_lo, s9, v40, vcc_lo
	global_load_b64 v[35:36], v[35:36], off
	global_load_b64 v[37:38], v[37:38], off
	global_load_b64 v[39:40], v[39:40], off
	v_lshlrev_b64 v[41:42], 3, v[13:14]
	v_add_nc_u32_e32 v13, 4, v22
	s_delay_alu instid0(VALU_DEP_1) | instskip(SKIP_1) | instid1(VALU_DEP_4)
	v_lshlrev_b64 v[43:44], 3, v[13:14]
	v_add_nc_u32_e32 v13, -6, v12
	v_add_co_u32 v41, vcc_lo, s8, v41
	v_add_co_ci_u32_e32 v42, vcc_lo, s9, v42, vcc_lo
	s_delay_alu instid0(VALU_DEP_3) | instskip(SKIP_3) | instid1(VALU_DEP_4)
	v_lshlrev_b64 v[45:46], 3, v[13:14]
	v_add_co_u32 v43, vcc_lo, s10, v43
	v_add_co_ci_u32_e32 v44, vcc_lo, s11, v44, vcc_lo
	v_add_nc_u32_e32 v13, -16, v12
	v_add_co_u32 v45, vcc_lo, s8, v45
	v_add_co_ci_u32_e32 v46, vcc_lo, s9, v46, vcc_lo
	global_load_b64 v[41:42], v[41:42], off
	global_load_b64 v[43:44], v[43:44], off
	global_load_b64 v[45:46], v[45:46], off
	v_lshlrev_b64 v[47:48], 3, v[13:14]
	v_add_nc_u32_e32 v13, 5, v22
	s_delay_alu instid0(VALU_DEP_1) | instskip(SKIP_1) | instid1(VALU_DEP_4)
	v_lshlrev_b64 v[49:50], 3, v[13:14]
	v_add_nc_u32_e32 v13, -5, v12
	v_add_co_u32 v47, vcc_lo, s8, v47
	v_add_co_ci_u32_e32 v48, vcc_lo, s9, v48, vcc_lo
	s_delay_alu instid0(VALU_DEP_3) | instskip(SKIP_3) | instid1(VALU_DEP_4)
	v_lshlrev_b64 v[51:52], 3, v[13:14]
	v_add_co_u32 v49, vcc_lo, s10, v49
	v_add_co_ci_u32_e32 v50, vcc_lo, s11, v50, vcc_lo
	v_add_nc_u32_e32 v13, -15, v12
	;; [unrolled: 17-line block ×5, first 2 shown]
	v_add_co_u32 v69, vcc_lo, s8, v69
	v_add_co_ci_u32_e32 v70, vcc_lo, s9, v70, vcc_lo
	global_load_b64 v[65:66], v[65:66], off
	global_load_b64 v[67:68], v[67:68], off
	;; [unrolled: 1-line block ×3, first 2 shown]
	v_lshlrev_b64 v[71:72], 3, v[13:14]
	v_add_nc_u32_e32 v13, 9, v22
	s_waitcnt vmcnt(23)
	v_fma_f64 v[7:8], v[18:19], v[23:24], v[8:9]
	v_fma_f64 v[9:10], v[15:16], v[23:24], v[10:11]
	s_delay_alu instid0(VALU_DEP_3) | instskip(SKIP_3) | instid1(VALU_DEP_3)
	v_lshlrev_b64 v[15:16], 3, v[13:14]
	v_add_nc_u32_e32 v13, -1, v12
	v_add_co_u32 v18, vcc_lo, s8, v71
	v_add_co_ci_u32_e32 v19, vcc_lo, s9, v72, vcc_lo
	v_lshlrev_b64 v[23:24], 3, v[13:14]
	v_add_co_u32 v15, vcc_lo, s10, v15
	v_add_co_ci_u32_e32 v16, vcc_lo, s11, v16, vcc_lo
	v_mov_b32_e32 v13, v14
	s_delay_alu instid0(VALU_DEP_4)
	v_add_co_u32 v23, vcc_lo, s8, v23
	v_add_co_ci_u32_e32 v24, vcc_lo, s9, v24, vcc_lo
	global_load_b64 v[18:19], v[18:19], off
	global_load_b64 v[15:16], v[15:16], off
	;; [unrolled: 1-line block ×3, first 2 shown]
	v_lshlrev_b64 v[71:72], 3, v[12:13]
	v_add_nc_u32_e32 v13, -11, v12
	v_add_nc_u32_e32 v12, 0xb0, v12
	s_delay_alu instid0(VALU_DEP_3) | instskip(NEXT) | instid1(VALU_DEP_4)
	v_add_co_u32 v71, vcc_lo, s8, v71
	v_add_co_ci_u32_e32 v72, vcc_lo, s9, v72, vcc_lo
	s_waitcnt vmcnt(25)
	v_fma_f64 v[7:8], v[20:21], v[25:26], v[7:8]
	s_waitcnt vmcnt(24)
	v_fma_f64 v[9:10], v[27:28], v[25:26], v[9:10]
	v_lshlrev_b64 v[20:21], 3, v[13:14]
	v_add_nc_u32_e32 v13, 10, v22
	s_delay_alu instid0(VALU_DEP_1) | instskip(NEXT) | instid1(VALU_DEP_3)
	v_lshlrev_b64 v[25:26], 3, v[13:14]
	v_add_co_u32 v20, vcc_lo, s8, v20
	s_delay_alu instid0(VALU_DEP_4) | instskip(NEXT) | instid1(VALU_DEP_3)
	v_add_co_ci_u32_e32 v21, vcc_lo, s9, v21, vcc_lo
	v_add_co_u32 v25, vcc_lo, s10, v25
	s_delay_alu instid0(VALU_DEP_4)
	v_add_co_ci_u32_e32 v26, vcc_lo, s11, v26, vcc_lo
	s_clause 0x1
	global_load_b64 v[27:28], v[71:72], off
	global_load_b64 v[20:21], v[20:21], off
	;; [unrolled: 1-line block ×3, first 2 shown]
	v_cmp_ge_i32_e32 vcc_lo, v6, v17
	s_or_b32 s2, vcc_lo, s2
	s_waitcnt vmcnt(25)
	v_fma_f64 v[7:8], v[29:30], v[31:32], v[7:8]
	s_waitcnt vmcnt(24)
	v_fma_f64 v[9:10], v[33:34], v[31:32], v[9:10]
	s_waitcnt vmcnt(22)
	s_delay_alu instid0(VALU_DEP_2) | instskip(SKIP_1) | instid1(VALU_DEP_2)
	v_fma_f64 v[7:8], v[35:36], v[37:38], v[7:8]
	s_waitcnt vmcnt(21)
	v_fma_f64 v[9:10], v[39:40], v[37:38], v[9:10]
	s_waitcnt vmcnt(19)
	s_delay_alu instid0(VALU_DEP_2) | instskip(SKIP_1) | instid1(VALU_DEP_2)
	;; [unrolled: 5-line block ×7, first 2 shown]
	v_fma_f64 v[7:8], v[18:19], v[15:16], v[7:8]
	s_waitcnt vmcnt(3)
	v_fma_f64 v[10:11], v[23:24], v[15:16], v[9:10]
	s_waitcnt vmcnt(0)
	s_delay_alu instid0(VALU_DEP_2) | instskip(NEXT) | instid1(VALU_DEP_2)
	v_fma_f64 v[8:9], v[20:21], v[25:26], v[7:8]
	v_fma_f64 v[10:11], v[27:28], v[25:26], v[10:11]
	s_and_not1_b32 exec_lo, exec_lo, s2
	s_cbranch_execnz .LBB122_15
; %bb.16:
	s_or_b32 exec_lo, exec_lo, s2
.LBB122_17:
	s_delay_alu instid0(SALU_CYCLE_1)
	s_or_b32 exec_lo, exec_lo, s3
.LBB122_18:
	v_mbcnt_lo_u32_b32 v14, -1, 0
	s_delay_alu instid0(VALU_DEP_1) | instskip(NEXT) | instid1(VALU_DEP_1)
	v_xor_b32_e32 v6, 4, v14
	v_cmp_gt_i32_e32 vcc_lo, 32, v6
	v_cndmask_b32_e32 v6, v14, v6, vcc_lo
	s_delay_alu instid0(VALU_DEP_1)
	v_lshlrev_b32_e32 v13, 2, v6
	ds_bpermute_b32 v6, v13, v8
	ds_bpermute_b32 v7, v13, v9
	ds_bpermute_b32 v12, v13, v10
	ds_bpermute_b32 v13, v13, v11
	s_waitcnt lgkmcnt(2)
	v_add_f64 v[6:7], v[8:9], v[6:7]
	s_waitcnt lgkmcnt(0)
	v_add_f64 v[8:9], v[10:11], v[12:13]
	v_xor_b32_e32 v10, 2, v14
	s_delay_alu instid0(VALU_DEP_1) | instskip(SKIP_1) | instid1(VALU_DEP_1)
	v_cmp_gt_i32_e32 vcc_lo, 32, v10
	v_cndmask_b32_e32 v10, v14, v10, vcc_lo
	v_lshlrev_b32_e32 v13, 2, v10
	ds_bpermute_b32 v10, v13, v6
	ds_bpermute_b32 v11, v13, v7
	;; [unrolled: 1-line block ×4, first 2 shown]
	s_waitcnt lgkmcnt(2)
	v_add_f64 v[6:7], v[6:7], v[10:11]
	s_waitcnt lgkmcnt(0)
	v_add_f64 v[10:11], v[8:9], v[12:13]
	v_xor_b32_e32 v8, 1, v14
	s_delay_alu instid0(VALU_DEP_1) | instskip(SKIP_2) | instid1(VALU_DEP_2)
	v_cmp_gt_i32_e32 vcc_lo, 32, v8
	v_cndmask_b32_e32 v8, v14, v8, vcc_lo
	v_cmp_eq_u32_e32 vcc_lo, 7, v0
	v_lshlrev_b32_e32 v13, 2, v8
	ds_bpermute_b32 v8, v13, v6
	ds_bpermute_b32 v9, v13, v7
	;; [unrolled: 1-line block ×4, first 2 shown]
	s_and_b32 exec_lo, exec_lo, vcc_lo
	s_cbranch_execz .LBB122_23
; %bb.19:
	s_waitcnt lgkmcnt(2)
	v_add_f64 v[8:9], v[6:7], v[8:9]
	s_waitcnt lgkmcnt(0)
	v_add_f64 v[6:7], v[10:11], v[12:13]
	s_load_b64 s[0:1], s[0:1], 0x38
	s_mov_b32 s2, exec_lo
	v_cmpx_eq_f64_e32 0, v[3:4]
	s_xor_b32 s2, exec_lo, s2
	s_cbranch_execz .LBB122_21
; %bb.20:
	s_delay_alu instid0(VALU_DEP_3) | instskip(NEXT) | instid1(VALU_DEP_3)
	v_mul_f64 v[8:9], v[1:2], v[8:9]
	v_mul_f64 v[10:11], v[1:2], v[6:7]
	v_lshlrev_b32_e32 v0, 1, v5
                                        ; implicit-def: $vgpr5
                                        ; implicit-def: $vgpr3_vgpr4
                                        ; implicit-def: $vgpr6_vgpr7
	s_delay_alu instid0(VALU_DEP_1) | instskip(NEXT) | instid1(VALU_DEP_1)
	v_ashrrev_i32_e32 v1, 31, v0
	v_lshlrev_b64 v[0:1], 3, v[0:1]
	s_waitcnt lgkmcnt(0)
	s_delay_alu instid0(VALU_DEP_1) | instskip(NEXT) | instid1(VALU_DEP_2)
	v_add_co_u32 v0, vcc_lo, s0, v0
	v_add_co_ci_u32_e32 v1, vcc_lo, s1, v1, vcc_lo
	global_store_b128 v[0:1], v[8:11], off
                                        ; implicit-def: $vgpr1_vgpr2
                                        ; implicit-def: $vgpr8_vgpr9
.LBB122_21:
	s_and_not1_saveexec_b32 s2, s2
	s_cbranch_execz .LBB122_23
; %bb.22:
	v_lshlrev_b32_e32 v10, 1, v5
	s_delay_alu instid0(VALU_DEP_4) | instskip(NEXT) | instid1(VALU_DEP_4)
	v_mul_f64 v[8:9], v[1:2], v[8:9]
	v_mul_f64 v[5:6], v[1:2], v[6:7]
	s_delay_alu instid0(VALU_DEP_3) | instskip(NEXT) | instid1(VALU_DEP_1)
	v_ashrrev_i32_e32 v11, 31, v10
	v_lshlrev_b64 v[10:11], 3, v[10:11]
	s_waitcnt lgkmcnt(0)
	s_delay_alu instid0(VALU_DEP_1) | instskip(NEXT) | instid1(VALU_DEP_2)
	v_add_co_u32 v14, vcc_lo, s0, v10
	v_add_co_ci_u32_e32 v15, vcc_lo, s1, v11, vcc_lo
	global_load_b128 v[10:13], v[14:15], off
	s_waitcnt vmcnt(0)
	v_fma_f64 v[0:1], v[3:4], v[10:11], v[8:9]
	v_fma_f64 v[2:3], v[3:4], v[12:13], v[5:6]
	global_store_b128 v[14:15], v[0:3], off
.LBB122_23:
	s_nop 0
	s_sendmsg sendmsg(MSG_DEALLOC_VGPRS)
	s_endpgm
	.section	.rodata,"a",@progbits
	.p2align	6, 0x0
	.amdhsa_kernel _ZN9rocsparseL19gebsrmvn_2xn_kernelILj128ELj11ELj8EdEEvi20rocsparse_direction_NS_24const_host_device_scalarIT2_EEPKiS6_PKS3_S8_S4_PS3_21rocsparse_index_base_b
		.amdhsa_group_segment_fixed_size 0
		.amdhsa_private_segment_fixed_size 0
		.amdhsa_kernarg_size 72
		.amdhsa_user_sgpr_count 15
		.amdhsa_user_sgpr_dispatch_ptr 0
		.amdhsa_user_sgpr_queue_ptr 0
		.amdhsa_user_sgpr_kernarg_segment_ptr 1
		.amdhsa_user_sgpr_dispatch_id 0
		.amdhsa_user_sgpr_private_segment_size 0
		.amdhsa_wavefront_size32 1
		.amdhsa_uses_dynamic_stack 0
		.amdhsa_enable_private_segment 0
		.amdhsa_system_sgpr_workgroup_id_x 1
		.amdhsa_system_sgpr_workgroup_id_y 0
		.amdhsa_system_sgpr_workgroup_id_z 0
		.amdhsa_system_sgpr_workgroup_info 0
		.amdhsa_system_vgpr_workitem_id 0
		.amdhsa_next_free_vgpr 73
		.amdhsa_next_free_sgpr 16
		.amdhsa_reserve_vcc 1
		.amdhsa_float_round_mode_32 0
		.amdhsa_float_round_mode_16_64 0
		.amdhsa_float_denorm_mode_32 3
		.amdhsa_float_denorm_mode_16_64 3
		.amdhsa_dx10_clamp 1
		.amdhsa_ieee_mode 1
		.amdhsa_fp16_overflow 0
		.amdhsa_workgroup_processor_mode 1
		.amdhsa_memory_ordered 1
		.amdhsa_forward_progress 0
		.amdhsa_shared_vgpr_count 0
		.amdhsa_exception_fp_ieee_invalid_op 0
		.amdhsa_exception_fp_denorm_src 0
		.amdhsa_exception_fp_ieee_div_zero 0
		.amdhsa_exception_fp_ieee_overflow 0
		.amdhsa_exception_fp_ieee_underflow 0
		.amdhsa_exception_fp_ieee_inexact 0
		.amdhsa_exception_int_div_zero 0
	.end_amdhsa_kernel
	.section	.text._ZN9rocsparseL19gebsrmvn_2xn_kernelILj128ELj11ELj8EdEEvi20rocsparse_direction_NS_24const_host_device_scalarIT2_EEPKiS6_PKS3_S8_S4_PS3_21rocsparse_index_base_b,"axG",@progbits,_ZN9rocsparseL19gebsrmvn_2xn_kernelILj128ELj11ELj8EdEEvi20rocsparse_direction_NS_24const_host_device_scalarIT2_EEPKiS6_PKS3_S8_S4_PS3_21rocsparse_index_base_b,comdat
.Lfunc_end122:
	.size	_ZN9rocsparseL19gebsrmvn_2xn_kernelILj128ELj11ELj8EdEEvi20rocsparse_direction_NS_24const_host_device_scalarIT2_EEPKiS6_PKS3_S8_S4_PS3_21rocsparse_index_base_b, .Lfunc_end122-_ZN9rocsparseL19gebsrmvn_2xn_kernelILj128ELj11ELj8EdEEvi20rocsparse_direction_NS_24const_host_device_scalarIT2_EEPKiS6_PKS3_S8_S4_PS3_21rocsparse_index_base_b
                                        ; -- End function
	.section	.AMDGPU.csdata,"",@progbits
; Kernel info:
; codeLenInByte = 3548
; NumSgprs: 18
; NumVgprs: 73
; ScratchSize: 0
; MemoryBound: 0
; FloatMode: 240
; IeeeMode: 1
; LDSByteSize: 0 bytes/workgroup (compile time only)
; SGPRBlocks: 2
; VGPRBlocks: 9
; NumSGPRsForWavesPerEU: 18
; NumVGPRsForWavesPerEU: 73
; Occupancy: 16
; WaveLimiterHint : 1
; COMPUTE_PGM_RSRC2:SCRATCH_EN: 0
; COMPUTE_PGM_RSRC2:USER_SGPR: 15
; COMPUTE_PGM_RSRC2:TRAP_HANDLER: 0
; COMPUTE_PGM_RSRC2:TGID_X_EN: 1
; COMPUTE_PGM_RSRC2:TGID_Y_EN: 0
; COMPUTE_PGM_RSRC2:TGID_Z_EN: 0
; COMPUTE_PGM_RSRC2:TIDIG_COMP_CNT: 0
	.section	.text._ZN9rocsparseL19gebsrmvn_2xn_kernelILj128ELj11ELj16EdEEvi20rocsparse_direction_NS_24const_host_device_scalarIT2_EEPKiS6_PKS3_S8_S4_PS3_21rocsparse_index_base_b,"axG",@progbits,_ZN9rocsparseL19gebsrmvn_2xn_kernelILj128ELj11ELj16EdEEvi20rocsparse_direction_NS_24const_host_device_scalarIT2_EEPKiS6_PKS3_S8_S4_PS3_21rocsparse_index_base_b,comdat
	.globl	_ZN9rocsparseL19gebsrmvn_2xn_kernelILj128ELj11ELj16EdEEvi20rocsparse_direction_NS_24const_host_device_scalarIT2_EEPKiS6_PKS3_S8_S4_PS3_21rocsparse_index_base_b ; -- Begin function _ZN9rocsparseL19gebsrmvn_2xn_kernelILj128ELj11ELj16EdEEvi20rocsparse_direction_NS_24const_host_device_scalarIT2_EEPKiS6_PKS3_S8_S4_PS3_21rocsparse_index_base_b
	.p2align	8
	.type	_ZN9rocsparseL19gebsrmvn_2xn_kernelILj128ELj11ELj16EdEEvi20rocsparse_direction_NS_24const_host_device_scalarIT2_EEPKiS6_PKS3_S8_S4_PS3_21rocsparse_index_base_b,@function
_ZN9rocsparseL19gebsrmvn_2xn_kernelILj128ELj11ELj16EdEEvi20rocsparse_direction_NS_24const_host_device_scalarIT2_EEPKiS6_PKS3_S8_S4_PS3_21rocsparse_index_base_b: ; @_ZN9rocsparseL19gebsrmvn_2xn_kernelILj128ELj11ELj16EdEEvi20rocsparse_direction_NS_24const_host_device_scalarIT2_EEPKiS6_PKS3_S8_S4_PS3_21rocsparse_index_base_b
; %bb.0:
	s_clause 0x2
	s_load_b64 s[12:13], s[0:1], 0x40
	s_load_b64 s[4:5], s[0:1], 0x8
	;; [unrolled: 1-line block ×3, first 2 shown]
	s_waitcnt lgkmcnt(0)
	s_bitcmp1_b32 s13, 0
	v_dual_mov_b32 v1, s4 :: v_dual_mov_b32 v2, s5
	s_cselect_b32 s6, -1, 0
	s_delay_alu instid0(SALU_CYCLE_1)
	s_and_b32 vcc_lo, exec_lo, s6
	s_xor_b32 s6, s6, -1
	s_cbranch_vccnz .LBB123_2
; %bb.1:
	v_dual_mov_b32 v1, s4 :: v_dual_mov_b32 v2, s5
	flat_load_b64 v[1:2], v[1:2]
.LBB123_2:
	v_dual_mov_b32 v4, s3 :: v_dual_mov_b32 v3, s2
	s_and_not1_b32 vcc_lo, exec_lo, s6
	s_cbranch_vccnz .LBB123_4
; %bb.3:
	v_dual_mov_b32 v4, s3 :: v_dual_mov_b32 v3, s2
	flat_load_b64 v[3:4], v[3:4]
.LBB123_4:
	s_waitcnt vmcnt(0) lgkmcnt(0)
	v_cmp_neq_f64_e32 vcc_lo, 0, v[1:2]
	v_cmp_neq_f64_e64 s2, 1.0, v[3:4]
	s_delay_alu instid0(VALU_DEP_1) | instskip(NEXT) | instid1(SALU_CYCLE_1)
	s_or_b32 s2, vcc_lo, s2
	s_and_saveexec_b32 s3, s2
	s_cbranch_execz .LBB123_23
; %bb.5:
	s_load_b64 s[2:3], s[0:1], 0x0
	v_lshrrev_b32_e32 v5, 4, v0
	s_delay_alu instid0(VALU_DEP_1) | instskip(SKIP_1) | instid1(VALU_DEP_1)
	v_lshl_or_b32 v5, s15, 3, v5
	s_waitcnt lgkmcnt(0)
	v_cmp_gt_i32_e32 vcc_lo, s2, v5
	s_and_b32 exec_lo, exec_lo, vcc_lo
	s_cbranch_execz .LBB123_23
; %bb.6:
	s_load_b256 s[4:11], s[0:1], 0x10
	v_ashrrev_i32_e32 v6, 31, v5
	v_and_b32_e32 v0, 15, v0
	s_cmp_lg_u32 s3, 0
	s_delay_alu instid0(VALU_DEP_2) | instskip(SKIP_1) | instid1(VALU_DEP_1)
	v_lshlrev_b64 v[6:7], 2, v[5:6]
	s_waitcnt lgkmcnt(0)
	v_add_co_u32 v6, vcc_lo, s4, v6
	s_delay_alu instid0(VALU_DEP_2) | instskip(SKIP_4) | instid1(VALU_DEP_2)
	v_add_co_ci_u32_e32 v7, vcc_lo, s5, v7, vcc_lo
	global_load_b64 v[6:7], v[6:7], off
	s_waitcnt vmcnt(0)
	v_subrev_nc_u32_e32 v6, s12, v6
	v_subrev_nc_u32_e32 v17, s12, v7
	v_add_nc_u32_e32 v6, v6, v0
	s_delay_alu instid0(VALU_DEP_1)
	v_cmp_lt_i32_e64 s2, v6, v17
	s_cbranch_scc0 .LBB123_12
; %bb.7:
	v_mov_b32_e32 v8, 0
	v_mov_b32_e32 v9, 0
	s_delay_alu instid0(VALU_DEP_1)
	v_dual_mov_b32 v11, v9 :: v_dual_mov_b32 v10, v8
	s_and_saveexec_b32 s3, s2
	s_cbranch_execz .LBB123_11
; %bb.8:
	v_dual_mov_b32 v8, 0 :: v_dual_mov_b32 v15, v6
	v_dual_mov_b32 v9, 0 :: v_dual_mov_b32 v14, 0
	v_mad_u64_u32 v[12:13], null, v6, 22, 20
	s_mov_b32 s4, 0
	s_delay_alu instid0(VALU_DEP_2)
	v_dual_mov_b32 v11, v9 :: v_dual_mov_b32 v10, v8
.LBB123_9:                              ; =>This Inner Loop Header: Depth=1
	v_ashrrev_i32_e32 v16, 31, v15
	s_delay_alu instid0(VALU_DEP_3) | instskip(SKIP_1) | instid1(VALU_DEP_3)
	v_subrev_nc_u32_e32 v13, 20, v12
	v_mov_b32_e32 v55, v14
	v_lshlrev_b64 v[18:19], 2, v[15:16]
	v_add_nc_u32_e32 v15, 16, v15
	s_delay_alu instid0(VALU_DEP_2) | instskip(NEXT) | instid1(VALU_DEP_3)
	v_add_co_u32 v18, vcc_lo, s6, v18
	v_add_co_ci_u32_e32 v19, vcc_lo, s7, v19, vcc_lo
	global_load_b32 v7, v[18:19], off
	v_lshlrev_b64 v[18:19], 3, v[13:14]
	v_subrev_nc_u32_e32 v13, 18, v12
	s_delay_alu instid0(VALU_DEP_2) | instskip(NEXT) | instid1(VALU_DEP_3)
	v_add_co_u32 v18, vcc_lo, s8, v18
	v_add_co_ci_u32_e32 v19, vcc_lo, s9, v19, vcc_lo
	global_load_b128 v[18:21], v[18:19], off
	s_waitcnt vmcnt(1)
	v_subrev_nc_u32_e32 v7, s12, v7
	s_delay_alu instid0(VALU_DEP_1) | instskip(NEXT) | instid1(VALU_DEP_1)
	v_mul_lo_u32 v54, v7, 11
	v_lshlrev_b64 v[22:23], 3, v[54:55]
	s_delay_alu instid0(VALU_DEP_1) | instskip(NEXT) | instid1(VALU_DEP_2)
	v_add_co_u32 v22, vcc_lo, s10, v22
	v_add_co_ci_u32_e32 v23, vcc_lo, s11, v23, vcc_lo
	global_load_b64 v[55:56], v[22:23], off
	v_lshlrev_b64 v[22:23], 3, v[13:14]
	v_add_nc_u32_e32 v13, 1, v54
	s_delay_alu instid0(VALU_DEP_1) | instskip(NEXT) | instid1(VALU_DEP_3)
	v_lshlrev_b64 v[24:25], 3, v[13:14]
	v_add_co_u32 v22, vcc_lo, s8, v22
	s_delay_alu instid0(VALU_DEP_4) | instskip(SKIP_1) | instid1(VALU_DEP_4)
	v_add_co_ci_u32_e32 v23, vcc_lo, s9, v23, vcc_lo
	v_add_nc_u32_e32 v13, -16, v12
	v_add_co_u32 v26, vcc_lo, s10, v24
	v_add_co_ci_u32_e32 v27, vcc_lo, s11, v25, vcc_lo
	global_load_b128 v[22:25], v[22:23], off
	global_load_b64 v[57:58], v[26:27], off
	v_lshlrev_b64 v[26:27], 3, v[13:14]
	v_add_nc_u32_e32 v13, 2, v54
	s_delay_alu instid0(VALU_DEP_1) | instskip(NEXT) | instid1(VALU_DEP_3)
	v_lshlrev_b64 v[28:29], 3, v[13:14]
	v_add_co_u32 v26, vcc_lo, s8, v26
	s_delay_alu instid0(VALU_DEP_4) | instskip(SKIP_1) | instid1(VALU_DEP_4)
	v_add_co_ci_u32_e32 v27, vcc_lo, s9, v27, vcc_lo
	v_add_nc_u32_e32 v13, -14, v12
	v_add_co_u32 v30, vcc_lo, s10, v28
	v_add_co_ci_u32_e32 v31, vcc_lo, s11, v29, vcc_lo
	global_load_b128 v[26:29], v[26:27], off
	;; [unrolled: 12-line block ×8, first 2 shown]
	global_load_b64 v[71:72], v[71:72], off
	s_waitcnt vmcnt(16)
	v_fma_f64 v[18:19], v[18:19], v[55:56], v[8:9]
	v_fma_f64 v[20:21], v[20:21], v[55:56], v[10:11]
	v_lshlrev_b64 v[7:8], 3, v[13:14]
	v_add_nc_u32_e32 v13, 9, v54
	s_delay_alu instid0(VALU_DEP_1) | instskip(NEXT) | instid1(VALU_DEP_3)
	v_lshlrev_b64 v[9:10], 3, v[13:14]
	v_add_co_u32 v7, vcc_lo, s8, v7
	s_delay_alu instid0(VALU_DEP_4) | instskip(SKIP_1) | instid1(VALU_DEP_4)
	v_add_co_ci_u32_e32 v8, vcc_lo, s9, v8, vcc_lo
	v_mov_b32_e32 v13, v14
	v_add_co_u32 v55, vcc_lo, s10, v9
	v_add_co_ci_u32_e32 v56, vcc_lo, s11, v10, vcc_lo
	global_load_b128 v[7:10], v[7:8], off
	global_load_b64 v[55:56], v[55:56], off
	s_waitcnt vmcnt(16)
	v_fma_f64 v[22:23], v[22:23], v[57:58], v[18:19]
	v_fma_f64 v[24:25], v[24:25], v[57:58], v[20:21]
	v_lshlrev_b64 v[18:19], 3, v[12:13]
	v_add_nc_u32_e32 v12, 0x160, v12
	v_add_nc_u32_e32 v13, 10, v54
	s_delay_alu instid0(VALU_DEP_3) | instskip(NEXT) | instid1(VALU_DEP_2)
	v_add_co_u32 v18, vcc_lo, s8, v18
	v_lshlrev_b64 v[20:21], 3, v[13:14]
	v_add_co_ci_u32_e32 v19, vcc_lo, s9, v19, vcc_lo
	s_delay_alu instid0(VALU_DEP_2) | instskip(NEXT) | instid1(VALU_DEP_3)
	v_add_co_u32 v57, vcc_lo, s10, v20
	v_add_co_ci_u32_e32 v58, vcc_lo, s11, v21, vcc_lo
	global_load_b128 v[18:21], v[18:19], off
	global_load_b64 v[57:58], v[57:58], off
	v_cmp_ge_i32_e32 vcc_lo, v15, v17
	s_or_b32 s4, vcc_lo, s4
	s_waitcnt vmcnt(16)
	v_fma_f64 v[22:23], v[26:27], v[59:60], v[22:23]
	v_fma_f64 v[24:25], v[28:29], v[59:60], v[24:25]
	s_waitcnt vmcnt(14)
	s_delay_alu instid0(VALU_DEP_2) | instskip(NEXT) | instid1(VALU_DEP_2)
	v_fma_f64 v[22:23], v[30:31], v[61:62], v[22:23]
	v_fma_f64 v[24:25], v[32:33], v[61:62], v[24:25]
	s_waitcnt vmcnt(12)
	s_delay_alu instid0(VALU_DEP_2) | instskip(NEXT) | instid1(VALU_DEP_2)
	v_fma_f64 v[22:23], v[34:35], v[63:64], v[22:23]
	v_fma_f64 v[24:25], v[36:37], v[63:64], v[24:25]
	s_waitcnt vmcnt(10)
	s_delay_alu instid0(VALU_DEP_2) | instskip(NEXT) | instid1(VALU_DEP_2)
	v_fma_f64 v[22:23], v[38:39], v[65:66], v[22:23]
	v_fma_f64 v[24:25], v[40:41], v[65:66], v[24:25]
	s_waitcnt vmcnt(8)
	s_delay_alu instid0(VALU_DEP_2) | instskip(NEXT) | instid1(VALU_DEP_2)
	v_fma_f64 v[22:23], v[42:43], v[67:68], v[22:23]
	v_fma_f64 v[24:25], v[44:45], v[67:68], v[24:25]
	s_waitcnt vmcnt(6)
	s_delay_alu instid0(VALU_DEP_2) | instskip(NEXT) | instid1(VALU_DEP_2)
	v_fma_f64 v[22:23], v[46:47], v[69:70], v[22:23]
	v_fma_f64 v[24:25], v[48:49], v[69:70], v[24:25]
	s_waitcnt vmcnt(4)
	s_delay_alu instid0(VALU_DEP_2) | instskip(NEXT) | instid1(VALU_DEP_2)
	v_fma_f64 v[22:23], v[50:51], v[71:72], v[22:23]
	v_fma_f64 v[24:25], v[52:53], v[71:72], v[24:25]
	s_waitcnt vmcnt(2)
	s_delay_alu instid0(VALU_DEP_2) | instskip(NEXT) | instid1(VALU_DEP_2)
	v_fma_f64 v[7:8], v[7:8], v[55:56], v[22:23]
	v_fma_f64 v[10:11], v[9:10], v[55:56], v[24:25]
	s_waitcnt vmcnt(0)
	s_delay_alu instid0(VALU_DEP_2) | instskip(NEXT) | instid1(VALU_DEP_2)
	v_fma_f64 v[8:9], v[18:19], v[57:58], v[7:8]
	v_fma_f64 v[10:11], v[20:21], v[57:58], v[10:11]
	s_and_not1_b32 exec_lo, exec_lo, s4
	s_cbranch_execnz .LBB123_9
; %bb.10:
	s_or_b32 exec_lo, exec_lo, s4
.LBB123_11:
	s_delay_alu instid0(SALU_CYCLE_1)
	s_or_b32 exec_lo, exec_lo, s3
	s_cbranch_execz .LBB123_13
	s_branch .LBB123_18
.LBB123_12:
                                        ; implicit-def: $vgpr8_vgpr9
                                        ; implicit-def: $vgpr10_vgpr11
.LBB123_13:
	v_mov_b32_e32 v8, 0
	v_mov_b32_e32 v9, 0
	s_delay_alu instid0(VALU_DEP_1)
	v_dual_mov_b32 v11, v9 :: v_dual_mov_b32 v10, v8
	s_and_saveexec_b32 s3, s2
	s_cbranch_execz .LBB123_17
; %bb.14:
	v_mov_b32_e32 v8, 0
	v_dual_mov_b32 v9, 0 :: v_dual_mov_b32 v14, 0
	v_mad_u64_u32 v[12:13], null, v6, 22, 21
	s_mov_b32 s2, 0
	s_delay_alu instid0(VALU_DEP_2)
	v_dual_mov_b32 v11, v9 :: v_dual_mov_b32 v10, v8
.LBB123_15:                             ; =>This Inner Loop Header: Depth=1
	v_ashrrev_i32_e32 v7, 31, v6
	s_delay_alu instid0(VALU_DEP_3) | instskip(SKIP_1) | instid1(VALU_DEP_3)
	v_subrev_nc_u32_e32 v13, 21, v12
	v_mov_b32_e32 v23, v14
	v_lshlrev_b64 v[15:16], 2, v[6:7]
	v_add_nc_u32_e32 v6, 16, v6
	s_delay_alu instid0(VALU_DEP_4) | instskip(NEXT) | instid1(VALU_DEP_3)
	v_lshlrev_b64 v[18:19], 3, v[13:14]
	v_add_co_u32 v15, vcc_lo, s6, v15
	s_delay_alu instid0(VALU_DEP_4) | instskip(NEXT) | instid1(VALU_DEP_3)
	v_add_co_ci_u32_e32 v16, vcc_lo, s7, v16, vcc_lo
	v_add_co_u32 v18, vcc_lo, s8, v18
	s_delay_alu instid0(VALU_DEP_4) | instskip(SKIP_2) | instid1(VALU_DEP_1)
	v_add_co_ci_u32_e32 v19, vcc_lo, s9, v19, vcc_lo
	global_load_b32 v7, v[15:16], off
	v_dual_mov_b32 v16, v14 :: v_dual_add_nc_u32 v15, -10, v12
	v_lshlrev_b64 v[15:16], 3, v[15:16]
	s_delay_alu instid0(VALU_DEP_1) | instskip(NEXT) | instid1(VALU_DEP_2)
	v_add_co_u32 v15, vcc_lo, s8, v15
	v_add_co_ci_u32_e32 v16, vcc_lo, s9, v16, vcc_lo
	s_clause 0x1
	global_load_b128 v[18:21], v[18:19], off
	global_load_b64 v[15:16], v[15:16], off
	s_waitcnt vmcnt(2)
	v_subrev_nc_u32_e32 v7, s12, v7
	s_delay_alu instid0(VALU_DEP_1) | instskip(NEXT) | instid1(VALU_DEP_1)
	v_mul_lo_u32 v22, v7, 11
	v_lshlrev_b64 v[23:24], 3, v[22:23]
	v_add_nc_u32_e32 v13, 1, v22
	s_delay_alu instid0(VALU_DEP_1) | instskip(NEXT) | instid1(VALU_DEP_3)
	v_lshlrev_b64 v[25:26], 3, v[13:14]
	v_add_co_u32 v23, vcc_lo, s10, v23
	s_delay_alu instid0(VALU_DEP_4) | instskip(SKIP_1) | instid1(VALU_DEP_4)
	v_add_co_ci_u32_e32 v24, vcc_lo, s11, v24, vcc_lo
	v_add_nc_u32_e32 v13, -9, v12
	v_add_co_u32 v25, vcc_lo, s10, v25
	global_load_b64 v[23:24], v[23:24], off
	v_add_co_ci_u32_e32 v26, vcc_lo, s11, v26, vcc_lo
	v_lshlrev_b64 v[27:28], 3, v[13:14]
	v_subrev_nc_u32_e32 v13, 19, v12
	s_delay_alu instid0(VALU_DEP_2) | instskip(NEXT) | instid1(VALU_DEP_3)
	v_add_co_u32 v27, vcc_lo, s8, v27
	v_add_co_ci_u32_e32 v28, vcc_lo, s9, v28, vcc_lo
	global_load_b64 v[25:26], v[25:26], off
	global_load_b64 v[27:28], v[27:28], off
	v_lshlrev_b64 v[29:30], 3, v[13:14]
	v_add_nc_u32_e32 v13, 2, v22
	s_delay_alu instid0(VALU_DEP_1) | instskip(SKIP_1) | instid1(VALU_DEP_4)
	v_lshlrev_b64 v[31:32], 3, v[13:14]
	v_add_nc_u32_e32 v13, -8, v12
	v_add_co_u32 v29, vcc_lo, s8, v29
	v_add_co_ci_u32_e32 v30, vcc_lo, s9, v30, vcc_lo
	s_delay_alu instid0(VALU_DEP_3) | instskip(SKIP_3) | instid1(VALU_DEP_4)
	v_lshlrev_b64 v[33:34], 3, v[13:14]
	v_add_co_u32 v31, vcc_lo, s10, v31
	v_add_co_ci_u32_e32 v32, vcc_lo, s11, v32, vcc_lo
	v_subrev_nc_u32_e32 v13, 18, v12
	v_add_co_u32 v33, vcc_lo, s8, v33
	v_add_co_ci_u32_e32 v34, vcc_lo, s9, v34, vcc_lo
	global_load_b64 v[29:30], v[29:30], off
	global_load_b64 v[31:32], v[31:32], off
	;; [unrolled: 1-line block ×3, first 2 shown]
	v_lshlrev_b64 v[35:36], 3, v[13:14]
	v_add_nc_u32_e32 v13, 3, v22
	s_delay_alu instid0(VALU_DEP_1) | instskip(SKIP_1) | instid1(VALU_DEP_4)
	v_lshlrev_b64 v[37:38], 3, v[13:14]
	v_add_nc_u32_e32 v13, -7, v12
	v_add_co_u32 v35, vcc_lo, s8, v35
	v_add_co_ci_u32_e32 v36, vcc_lo, s9, v36, vcc_lo
	s_delay_alu instid0(VALU_DEP_3) | instskip(SKIP_3) | instid1(VALU_DEP_4)
	v_lshlrev_b64 v[39:40], 3, v[13:14]
	v_add_co_u32 v37, vcc_lo, s10, v37
	v_add_co_ci_u32_e32 v38, vcc_lo, s11, v38, vcc_lo
	v_subrev_nc_u32_e32 v13, 17, v12
	v_add_co_u32 v39, vcc_lo, s8, v39
	v_add_co_ci_u32_e32 v40, vcc_lo, s9, v40, vcc_lo
	global_load_b64 v[35:36], v[35:36], off
	global_load_b64 v[37:38], v[37:38], off
	global_load_b64 v[39:40], v[39:40], off
	v_lshlrev_b64 v[41:42], 3, v[13:14]
	v_add_nc_u32_e32 v13, 4, v22
	s_delay_alu instid0(VALU_DEP_1) | instskip(SKIP_1) | instid1(VALU_DEP_4)
	v_lshlrev_b64 v[43:44], 3, v[13:14]
	v_add_nc_u32_e32 v13, -6, v12
	v_add_co_u32 v41, vcc_lo, s8, v41
	v_add_co_ci_u32_e32 v42, vcc_lo, s9, v42, vcc_lo
	s_delay_alu instid0(VALU_DEP_3) | instskip(SKIP_3) | instid1(VALU_DEP_4)
	v_lshlrev_b64 v[45:46], 3, v[13:14]
	v_add_co_u32 v43, vcc_lo, s10, v43
	v_add_co_ci_u32_e32 v44, vcc_lo, s11, v44, vcc_lo
	v_add_nc_u32_e32 v13, -16, v12
	v_add_co_u32 v45, vcc_lo, s8, v45
	v_add_co_ci_u32_e32 v46, vcc_lo, s9, v46, vcc_lo
	global_load_b64 v[41:42], v[41:42], off
	global_load_b64 v[43:44], v[43:44], off
	global_load_b64 v[45:46], v[45:46], off
	v_lshlrev_b64 v[47:48], 3, v[13:14]
	v_add_nc_u32_e32 v13, 5, v22
	s_delay_alu instid0(VALU_DEP_1) | instskip(SKIP_1) | instid1(VALU_DEP_4)
	v_lshlrev_b64 v[49:50], 3, v[13:14]
	v_add_nc_u32_e32 v13, -5, v12
	v_add_co_u32 v47, vcc_lo, s8, v47
	v_add_co_ci_u32_e32 v48, vcc_lo, s9, v48, vcc_lo
	s_delay_alu instid0(VALU_DEP_3) | instskip(SKIP_3) | instid1(VALU_DEP_4)
	v_lshlrev_b64 v[51:52], 3, v[13:14]
	v_add_co_u32 v49, vcc_lo, s10, v49
	v_add_co_ci_u32_e32 v50, vcc_lo, s11, v50, vcc_lo
	v_add_nc_u32_e32 v13, -15, v12
	;; [unrolled: 17-line block ×5, first 2 shown]
	v_add_co_u32 v69, vcc_lo, s8, v69
	v_add_co_ci_u32_e32 v70, vcc_lo, s9, v70, vcc_lo
	global_load_b64 v[65:66], v[65:66], off
	global_load_b64 v[67:68], v[67:68], off
	;; [unrolled: 1-line block ×3, first 2 shown]
	v_lshlrev_b64 v[71:72], 3, v[13:14]
	v_add_nc_u32_e32 v13, 9, v22
	s_waitcnt vmcnt(23)
	v_fma_f64 v[7:8], v[18:19], v[23:24], v[8:9]
	v_fma_f64 v[9:10], v[15:16], v[23:24], v[10:11]
	s_delay_alu instid0(VALU_DEP_3) | instskip(SKIP_3) | instid1(VALU_DEP_3)
	v_lshlrev_b64 v[15:16], 3, v[13:14]
	v_add_nc_u32_e32 v13, -1, v12
	v_add_co_u32 v18, vcc_lo, s8, v71
	v_add_co_ci_u32_e32 v19, vcc_lo, s9, v72, vcc_lo
	v_lshlrev_b64 v[23:24], 3, v[13:14]
	v_add_co_u32 v15, vcc_lo, s10, v15
	v_add_co_ci_u32_e32 v16, vcc_lo, s11, v16, vcc_lo
	v_mov_b32_e32 v13, v14
	s_delay_alu instid0(VALU_DEP_4)
	v_add_co_u32 v23, vcc_lo, s8, v23
	v_add_co_ci_u32_e32 v24, vcc_lo, s9, v24, vcc_lo
	global_load_b64 v[18:19], v[18:19], off
	global_load_b64 v[15:16], v[15:16], off
	global_load_b64 v[23:24], v[23:24], off
	v_lshlrev_b64 v[71:72], 3, v[12:13]
	v_add_nc_u32_e32 v13, -11, v12
	v_add_nc_u32_e32 v12, 0x160, v12
	s_delay_alu instid0(VALU_DEP_3) | instskip(NEXT) | instid1(VALU_DEP_4)
	v_add_co_u32 v71, vcc_lo, s8, v71
	v_add_co_ci_u32_e32 v72, vcc_lo, s9, v72, vcc_lo
	s_waitcnt vmcnt(25)
	v_fma_f64 v[7:8], v[20:21], v[25:26], v[7:8]
	s_waitcnt vmcnt(24)
	v_fma_f64 v[9:10], v[27:28], v[25:26], v[9:10]
	v_lshlrev_b64 v[20:21], 3, v[13:14]
	v_add_nc_u32_e32 v13, 10, v22
	s_delay_alu instid0(VALU_DEP_1) | instskip(NEXT) | instid1(VALU_DEP_3)
	v_lshlrev_b64 v[25:26], 3, v[13:14]
	v_add_co_u32 v20, vcc_lo, s8, v20
	s_delay_alu instid0(VALU_DEP_4) | instskip(NEXT) | instid1(VALU_DEP_3)
	v_add_co_ci_u32_e32 v21, vcc_lo, s9, v21, vcc_lo
	v_add_co_u32 v25, vcc_lo, s10, v25
	s_delay_alu instid0(VALU_DEP_4)
	v_add_co_ci_u32_e32 v26, vcc_lo, s11, v26, vcc_lo
	s_clause 0x1
	global_load_b64 v[27:28], v[71:72], off
	global_load_b64 v[20:21], v[20:21], off
	global_load_b64 v[25:26], v[25:26], off
	v_cmp_ge_i32_e32 vcc_lo, v6, v17
	s_or_b32 s2, vcc_lo, s2
	s_waitcnt vmcnt(25)
	v_fma_f64 v[7:8], v[29:30], v[31:32], v[7:8]
	s_waitcnt vmcnt(24)
	v_fma_f64 v[9:10], v[33:34], v[31:32], v[9:10]
	s_waitcnt vmcnt(22)
	s_delay_alu instid0(VALU_DEP_2) | instskip(SKIP_1) | instid1(VALU_DEP_2)
	v_fma_f64 v[7:8], v[35:36], v[37:38], v[7:8]
	s_waitcnt vmcnt(21)
	v_fma_f64 v[9:10], v[39:40], v[37:38], v[9:10]
	s_waitcnt vmcnt(19)
	s_delay_alu instid0(VALU_DEP_2) | instskip(SKIP_1) | instid1(VALU_DEP_2)
	;; [unrolled: 5-line block ×7, first 2 shown]
	v_fma_f64 v[7:8], v[18:19], v[15:16], v[7:8]
	s_waitcnt vmcnt(3)
	v_fma_f64 v[10:11], v[23:24], v[15:16], v[9:10]
	s_waitcnt vmcnt(0)
	s_delay_alu instid0(VALU_DEP_2) | instskip(NEXT) | instid1(VALU_DEP_2)
	v_fma_f64 v[8:9], v[20:21], v[25:26], v[7:8]
	v_fma_f64 v[10:11], v[27:28], v[25:26], v[10:11]
	s_and_not1_b32 exec_lo, exec_lo, s2
	s_cbranch_execnz .LBB123_15
; %bb.16:
	s_or_b32 exec_lo, exec_lo, s2
.LBB123_17:
	s_delay_alu instid0(SALU_CYCLE_1)
	s_or_b32 exec_lo, exec_lo, s3
.LBB123_18:
	v_mbcnt_lo_u32_b32 v14, -1, 0
	s_delay_alu instid0(VALU_DEP_1) | instskip(NEXT) | instid1(VALU_DEP_1)
	v_xor_b32_e32 v6, 8, v14
	v_cmp_gt_i32_e32 vcc_lo, 32, v6
	v_cndmask_b32_e32 v6, v14, v6, vcc_lo
	s_delay_alu instid0(VALU_DEP_1)
	v_lshlrev_b32_e32 v13, 2, v6
	ds_bpermute_b32 v6, v13, v8
	ds_bpermute_b32 v7, v13, v9
	;; [unrolled: 1-line block ×4, first 2 shown]
	s_waitcnt lgkmcnt(2)
	v_add_f64 v[6:7], v[8:9], v[6:7]
	s_waitcnt lgkmcnt(0)
	v_add_f64 v[8:9], v[10:11], v[12:13]
	v_xor_b32_e32 v10, 4, v14
	s_delay_alu instid0(VALU_DEP_1) | instskip(SKIP_1) | instid1(VALU_DEP_1)
	v_cmp_gt_i32_e32 vcc_lo, 32, v10
	v_cndmask_b32_e32 v10, v14, v10, vcc_lo
	v_lshlrev_b32_e32 v13, 2, v10
	ds_bpermute_b32 v10, v13, v6
	ds_bpermute_b32 v11, v13, v7
	;; [unrolled: 1-line block ×4, first 2 shown]
	s_waitcnt lgkmcnt(2)
	v_add_f64 v[6:7], v[6:7], v[10:11]
	v_xor_b32_e32 v10, 2, v14
	s_waitcnt lgkmcnt(0)
	v_add_f64 v[8:9], v[8:9], v[12:13]
	s_delay_alu instid0(VALU_DEP_2) | instskip(SKIP_1) | instid1(VALU_DEP_1)
	v_cmp_gt_i32_e32 vcc_lo, 32, v10
	v_cndmask_b32_e32 v10, v14, v10, vcc_lo
	v_lshlrev_b32_e32 v13, 2, v10
	ds_bpermute_b32 v10, v13, v6
	ds_bpermute_b32 v11, v13, v7
	ds_bpermute_b32 v12, v13, v8
	ds_bpermute_b32 v13, v13, v9
	s_waitcnt lgkmcnt(2)
	v_add_f64 v[6:7], v[6:7], v[10:11]
	s_waitcnt lgkmcnt(0)
	v_add_f64 v[10:11], v[8:9], v[12:13]
	v_xor_b32_e32 v8, 1, v14
	s_delay_alu instid0(VALU_DEP_1) | instskip(SKIP_2) | instid1(VALU_DEP_2)
	v_cmp_gt_i32_e32 vcc_lo, 32, v8
	v_cndmask_b32_e32 v8, v14, v8, vcc_lo
	v_cmp_eq_u32_e32 vcc_lo, 15, v0
	v_lshlrev_b32_e32 v13, 2, v8
	ds_bpermute_b32 v8, v13, v6
	ds_bpermute_b32 v9, v13, v7
	;; [unrolled: 1-line block ×4, first 2 shown]
	s_and_b32 exec_lo, exec_lo, vcc_lo
	s_cbranch_execz .LBB123_23
; %bb.19:
	s_waitcnt lgkmcnt(2)
	v_add_f64 v[8:9], v[6:7], v[8:9]
	s_waitcnt lgkmcnt(0)
	v_add_f64 v[6:7], v[10:11], v[12:13]
	s_load_b64 s[0:1], s[0:1], 0x38
	s_mov_b32 s2, exec_lo
	v_cmpx_eq_f64_e32 0, v[3:4]
	s_xor_b32 s2, exec_lo, s2
	s_cbranch_execz .LBB123_21
; %bb.20:
	s_delay_alu instid0(VALU_DEP_3) | instskip(NEXT) | instid1(VALU_DEP_3)
	v_mul_f64 v[8:9], v[1:2], v[8:9]
	v_mul_f64 v[10:11], v[1:2], v[6:7]
	v_lshlrev_b32_e32 v0, 1, v5
                                        ; implicit-def: $vgpr5
                                        ; implicit-def: $vgpr3_vgpr4
                                        ; implicit-def: $vgpr6_vgpr7
	s_delay_alu instid0(VALU_DEP_1) | instskip(NEXT) | instid1(VALU_DEP_1)
	v_ashrrev_i32_e32 v1, 31, v0
	v_lshlrev_b64 v[0:1], 3, v[0:1]
	s_waitcnt lgkmcnt(0)
	s_delay_alu instid0(VALU_DEP_1) | instskip(NEXT) | instid1(VALU_DEP_2)
	v_add_co_u32 v0, vcc_lo, s0, v0
	v_add_co_ci_u32_e32 v1, vcc_lo, s1, v1, vcc_lo
	global_store_b128 v[0:1], v[8:11], off
                                        ; implicit-def: $vgpr1_vgpr2
                                        ; implicit-def: $vgpr8_vgpr9
.LBB123_21:
	s_and_not1_saveexec_b32 s2, s2
	s_cbranch_execz .LBB123_23
; %bb.22:
	v_lshlrev_b32_e32 v10, 1, v5
	s_delay_alu instid0(VALU_DEP_4) | instskip(NEXT) | instid1(VALU_DEP_4)
	v_mul_f64 v[8:9], v[1:2], v[8:9]
	v_mul_f64 v[5:6], v[1:2], v[6:7]
	s_delay_alu instid0(VALU_DEP_3) | instskip(NEXT) | instid1(VALU_DEP_1)
	v_ashrrev_i32_e32 v11, 31, v10
	v_lshlrev_b64 v[10:11], 3, v[10:11]
	s_waitcnt lgkmcnt(0)
	s_delay_alu instid0(VALU_DEP_1) | instskip(NEXT) | instid1(VALU_DEP_2)
	v_add_co_u32 v14, vcc_lo, s0, v10
	v_add_co_ci_u32_e32 v15, vcc_lo, s1, v11, vcc_lo
	global_load_b128 v[10:13], v[14:15], off
	s_waitcnt vmcnt(0)
	v_fma_f64 v[0:1], v[3:4], v[10:11], v[8:9]
	v_fma_f64 v[2:3], v[3:4], v[12:13], v[5:6]
	global_store_b128 v[14:15], v[0:3], off
.LBB123_23:
	s_nop 0
	s_sendmsg sendmsg(MSG_DEALLOC_VGPRS)
	s_endpgm
	.section	.rodata,"a",@progbits
	.p2align	6, 0x0
	.amdhsa_kernel _ZN9rocsparseL19gebsrmvn_2xn_kernelILj128ELj11ELj16EdEEvi20rocsparse_direction_NS_24const_host_device_scalarIT2_EEPKiS6_PKS3_S8_S4_PS3_21rocsparse_index_base_b
		.amdhsa_group_segment_fixed_size 0
		.amdhsa_private_segment_fixed_size 0
		.amdhsa_kernarg_size 72
		.amdhsa_user_sgpr_count 15
		.amdhsa_user_sgpr_dispatch_ptr 0
		.amdhsa_user_sgpr_queue_ptr 0
		.amdhsa_user_sgpr_kernarg_segment_ptr 1
		.amdhsa_user_sgpr_dispatch_id 0
		.amdhsa_user_sgpr_private_segment_size 0
		.amdhsa_wavefront_size32 1
		.amdhsa_uses_dynamic_stack 0
		.amdhsa_enable_private_segment 0
		.amdhsa_system_sgpr_workgroup_id_x 1
		.amdhsa_system_sgpr_workgroup_id_y 0
		.amdhsa_system_sgpr_workgroup_id_z 0
		.amdhsa_system_sgpr_workgroup_info 0
		.amdhsa_system_vgpr_workitem_id 0
		.amdhsa_next_free_vgpr 73
		.amdhsa_next_free_sgpr 16
		.amdhsa_reserve_vcc 1
		.amdhsa_float_round_mode_32 0
		.amdhsa_float_round_mode_16_64 0
		.amdhsa_float_denorm_mode_32 3
		.amdhsa_float_denorm_mode_16_64 3
		.amdhsa_dx10_clamp 1
		.amdhsa_ieee_mode 1
		.amdhsa_fp16_overflow 0
		.amdhsa_workgroup_processor_mode 1
		.amdhsa_memory_ordered 1
		.amdhsa_forward_progress 0
		.amdhsa_shared_vgpr_count 0
		.amdhsa_exception_fp_ieee_invalid_op 0
		.amdhsa_exception_fp_denorm_src 0
		.amdhsa_exception_fp_ieee_div_zero 0
		.amdhsa_exception_fp_ieee_overflow 0
		.amdhsa_exception_fp_ieee_underflow 0
		.amdhsa_exception_fp_ieee_inexact 0
		.amdhsa_exception_int_div_zero 0
	.end_amdhsa_kernel
	.section	.text._ZN9rocsparseL19gebsrmvn_2xn_kernelILj128ELj11ELj16EdEEvi20rocsparse_direction_NS_24const_host_device_scalarIT2_EEPKiS6_PKS3_S8_S4_PS3_21rocsparse_index_base_b,"axG",@progbits,_ZN9rocsparseL19gebsrmvn_2xn_kernelILj128ELj11ELj16EdEEvi20rocsparse_direction_NS_24const_host_device_scalarIT2_EEPKiS6_PKS3_S8_S4_PS3_21rocsparse_index_base_b,comdat
.Lfunc_end123:
	.size	_ZN9rocsparseL19gebsrmvn_2xn_kernelILj128ELj11ELj16EdEEvi20rocsparse_direction_NS_24const_host_device_scalarIT2_EEPKiS6_PKS3_S8_S4_PS3_21rocsparse_index_base_b, .Lfunc_end123-_ZN9rocsparseL19gebsrmvn_2xn_kernelILj128ELj11ELj16EdEEvi20rocsparse_direction_NS_24const_host_device_scalarIT2_EEPKiS6_PKS3_S8_S4_PS3_21rocsparse_index_base_b
                                        ; -- End function
	.section	.AMDGPU.csdata,"",@progbits
; Kernel info:
; codeLenInByte = 3624
; NumSgprs: 18
; NumVgprs: 73
; ScratchSize: 0
; MemoryBound: 0
; FloatMode: 240
; IeeeMode: 1
; LDSByteSize: 0 bytes/workgroup (compile time only)
; SGPRBlocks: 2
; VGPRBlocks: 9
; NumSGPRsForWavesPerEU: 18
; NumVGPRsForWavesPerEU: 73
; Occupancy: 16
; WaveLimiterHint : 1
; COMPUTE_PGM_RSRC2:SCRATCH_EN: 0
; COMPUTE_PGM_RSRC2:USER_SGPR: 15
; COMPUTE_PGM_RSRC2:TRAP_HANDLER: 0
; COMPUTE_PGM_RSRC2:TGID_X_EN: 1
; COMPUTE_PGM_RSRC2:TGID_Y_EN: 0
; COMPUTE_PGM_RSRC2:TGID_Z_EN: 0
; COMPUTE_PGM_RSRC2:TIDIG_COMP_CNT: 0
	.section	.text._ZN9rocsparseL19gebsrmvn_2xn_kernelILj128ELj11ELj32EdEEvi20rocsparse_direction_NS_24const_host_device_scalarIT2_EEPKiS6_PKS3_S8_S4_PS3_21rocsparse_index_base_b,"axG",@progbits,_ZN9rocsparseL19gebsrmvn_2xn_kernelILj128ELj11ELj32EdEEvi20rocsparse_direction_NS_24const_host_device_scalarIT2_EEPKiS6_PKS3_S8_S4_PS3_21rocsparse_index_base_b,comdat
	.globl	_ZN9rocsparseL19gebsrmvn_2xn_kernelILj128ELj11ELj32EdEEvi20rocsparse_direction_NS_24const_host_device_scalarIT2_EEPKiS6_PKS3_S8_S4_PS3_21rocsparse_index_base_b ; -- Begin function _ZN9rocsparseL19gebsrmvn_2xn_kernelILj128ELj11ELj32EdEEvi20rocsparse_direction_NS_24const_host_device_scalarIT2_EEPKiS6_PKS3_S8_S4_PS3_21rocsparse_index_base_b
	.p2align	8
	.type	_ZN9rocsparseL19gebsrmvn_2xn_kernelILj128ELj11ELj32EdEEvi20rocsparse_direction_NS_24const_host_device_scalarIT2_EEPKiS6_PKS3_S8_S4_PS3_21rocsparse_index_base_b,@function
_ZN9rocsparseL19gebsrmvn_2xn_kernelILj128ELj11ELj32EdEEvi20rocsparse_direction_NS_24const_host_device_scalarIT2_EEPKiS6_PKS3_S8_S4_PS3_21rocsparse_index_base_b: ; @_ZN9rocsparseL19gebsrmvn_2xn_kernelILj128ELj11ELj32EdEEvi20rocsparse_direction_NS_24const_host_device_scalarIT2_EEPKiS6_PKS3_S8_S4_PS3_21rocsparse_index_base_b
; %bb.0:
	s_clause 0x2
	s_load_b64 s[12:13], s[0:1], 0x40
	s_load_b64 s[4:5], s[0:1], 0x8
	;; [unrolled: 1-line block ×3, first 2 shown]
	s_waitcnt lgkmcnt(0)
	s_bitcmp1_b32 s13, 0
	v_dual_mov_b32 v1, s4 :: v_dual_mov_b32 v2, s5
	s_cselect_b32 s6, -1, 0
	s_delay_alu instid0(SALU_CYCLE_1)
	s_and_b32 vcc_lo, exec_lo, s6
	s_xor_b32 s6, s6, -1
	s_cbranch_vccnz .LBB124_2
; %bb.1:
	v_dual_mov_b32 v1, s4 :: v_dual_mov_b32 v2, s5
	flat_load_b64 v[1:2], v[1:2]
.LBB124_2:
	v_dual_mov_b32 v4, s3 :: v_dual_mov_b32 v3, s2
	s_and_not1_b32 vcc_lo, exec_lo, s6
	s_cbranch_vccnz .LBB124_4
; %bb.3:
	v_dual_mov_b32 v4, s3 :: v_dual_mov_b32 v3, s2
	flat_load_b64 v[3:4], v[3:4]
.LBB124_4:
	s_waitcnt vmcnt(0) lgkmcnt(0)
	v_cmp_neq_f64_e32 vcc_lo, 0, v[1:2]
	v_cmp_neq_f64_e64 s2, 1.0, v[3:4]
	s_delay_alu instid0(VALU_DEP_1) | instskip(NEXT) | instid1(SALU_CYCLE_1)
	s_or_b32 s2, vcc_lo, s2
	s_and_saveexec_b32 s3, s2
	s_cbranch_execz .LBB124_23
; %bb.5:
	s_load_b64 s[2:3], s[0:1], 0x0
	v_lshrrev_b32_e32 v5, 5, v0
	s_delay_alu instid0(VALU_DEP_1) | instskip(SKIP_1) | instid1(VALU_DEP_1)
	v_lshl_or_b32 v5, s15, 2, v5
	s_waitcnt lgkmcnt(0)
	v_cmp_gt_i32_e32 vcc_lo, s2, v5
	s_and_b32 exec_lo, exec_lo, vcc_lo
	s_cbranch_execz .LBB124_23
; %bb.6:
	s_load_b256 s[4:11], s[0:1], 0x10
	v_ashrrev_i32_e32 v6, 31, v5
	v_and_b32_e32 v0, 31, v0
	s_cmp_lg_u32 s3, 0
	s_delay_alu instid0(VALU_DEP_2) | instskip(SKIP_1) | instid1(VALU_DEP_1)
	v_lshlrev_b64 v[6:7], 2, v[5:6]
	s_waitcnt lgkmcnt(0)
	v_add_co_u32 v6, vcc_lo, s4, v6
	s_delay_alu instid0(VALU_DEP_2) | instskip(SKIP_4) | instid1(VALU_DEP_2)
	v_add_co_ci_u32_e32 v7, vcc_lo, s5, v7, vcc_lo
	global_load_b64 v[6:7], v[6:7], off
	s_waitcnt vmcnt(0)
	v_subrev_nc_u32_e32 v6, s12, v6
	v_subrev_nc_u32_e32 v17, s12, v7
	v_add_nc_u32_e32 v6, v6, v0
	s_delay_alu instid0(VALU_DEP_1)
	v_cmp_lt_i32_e64 s2, v6, v17
	s_cbranch_scc0 .LBB124_12
; %bb.7:
	v_mov_b32_e32 v8, 0
	v_mov_b32_e32 v9, 0
	s_delay_alu instid0(VALU_DEP_1)
	v_dual_mov_b32 v11, v9 :: v_dual_mov_b32 v10, v8
	s_and_saveexec_b32 s3, s2
	s_cbranch_execz .LBB124_11
; %bb.8:
	v_dual_mov_b32 v8, 0 :: v_dual_mov_b32 v15, v6
	v_dual_mov_b32 v9, 0 :: v_dual_mov_b32 v14, 0
	v_mad_u64_u32 v[12:13], null, v6, 22, 20
	s_mov_b32 s4, 0
	s_delay_alu instid0(VALU_DEP_2)
	v_dual_mov_b32 v11, v9 :: v_dual_mov_b32 v10, v8
.LBB124_9:                              ; =>This Inner Loop Header: Depth=1
	v_ashrrev_i32_e32 v16, 31, v15
	s_delay_alu instid0(VALU_DEP_3) | instskip(SKIP_1) | instid1(VALU_DEP_3)
	v_subrev_nc_u32_e32 v13, 20, v12
	v_mov_b32_e32 v55, v14
	v_lshlrev_b64 v[18:19], 2, v[15:16]
	v_add_nc_u32_e32 v15, 32, v15
	s_delay_alu instid0(VALU_DEP_2) | instskip(NEXT) | instid1(VALU_DEP_3)
	v_add_co_u32 v18, vcc_lo, s6, v18
	v_add_co_ci_u32_e32 v19, vcc_lo, s7, v19, vcc_lo
	global_load_b32 v7, v[18:19], off
	v_lshlrev_b64 v[18:19], 3, v[13:14]
	v_subrev_nc_u32_e32 v13, 18, v12
	s_delay_alu instid0(VALU_DEP_2) | instskip(NEXT) | instid1(VALU_DEP_3)
	v_add_co_u32 v18, vcc_lo, s8, v18
	v_add_co_ci_u32_e32 v19, vcc_lo, s9, v19, vcc_lo
	global_load_b128 v[18:21], v[18:19], off
	s_waitcnt vmcnt(1)
	v_subrev_nc_u32_e32 v7, s12, v7
	s_delay_alu instid0(VALU_DEP_1) | instskip(NEXT) | instid1(VALU_DEP_1)
	v_mul_lo_u32 v54, v7, 11
	v_lshlrev_b64 v[22:23], 3, v[54:55]
	s_delay_alu instid0(VALU_DEP_1) | instskip(NEXT) | instid1(VALU_DEP_2)
	v_add_co_u32 v22, vcc_lo, s10, v22
	v_add_co_ci_u32_e32 v23, vcc_lo, s11, v23, vcc_lo
	global_load_b64 v[55:56], v[22:23], off
	v_lshlrev_b64 v[22:23], 3, v[13:14]
	v_add_nc_u32_e32 v13, 1, v54
	s_delay_alu instid0(VALU_DEP_1) | instskip(NEXT) | instid1(VALU_DEP_3)
	v_lshlrev_b64 v[24:25], 3, v[13:14]
	v_add_co_u32 v22, vcc_lo, s8, v22
	s_delay_alu instid0(VALU_DEP_4) | instskip(SKIP_1) | instid1(VALU_DEP_4)
	v_add_co_ci_u32_e32 v23, vcc_lo, s9, v23, vcc_lo
	v_add_nc_u32_e32 v13, -16, v12
	v_add_co_u32 v26, vcc_lo, s10, v24
	v_add_co_ci_u32_e32 v27, vcc_lo, s11, v25, vcc_lo
	global_load_b128 v[22:25], v[22:23], off
	global_load_b64 v[57:58], v[26:27], off
	v_lshlrev_b64 v[26:27], 3, v[13:14]
	v_add_nc_u32_e32 v13, 2, v54
	s_delay_alu instid0(VALU_DEP_1) | instskip(NEXT) | instid1(VALU_DEP_3)
	v_lshlrev_b64 v[28:29], 3, v[13:14]
	v_add_co_u32 v26, vcc_lo, s8, v26
	s_delay_alu instid0(VALU_DEP_4) | instskip(SKIP_1) | instid1(VALU_DEP_4)
	v_add_co_ci_u32_e32 v27, vcc_lo, s9, v27, vcc_lo
	v_add_nc_u32_e32 v13, -14, v12
	v_add_co_u32 v30, vcc_lo, s10, v28
	v_add_co_ci_u32_e32 v31, vcc_lo, s11, v29, vcc_lo
	global_load_b128 v[26:29], v[26:27], off
	;; [unrolled: 12-line block ×8, first 2 shown]
	global_load_b64 v[71:72], v[71:72], off
	s_waitcnt vmcnt(16)
	v_fma_f64 v[18:19], v[18:19], v[55:56], v[8:9]
	v_fma_f64 v[20:21], v[20:21], v[55:56], v[10:11]
	v_lshlrev_b64 v[7:8], 3, v[13:14]
	v_add_nc_u32_e32 v13, 9, v54
	s_delay_alu instid0(VALU_DEP_1) | instskip(NEXT) | instid1(VALU_DEP_3)
	v_lshlrev_b64 v[9:10], 3, v[13:14]
	v_add_co_u32 v7, vcc_lo, s8, v7
	s_delay_alu instid0(VALU_DEP_4) | instskip(SKIP_1) | instid1(VALU_DEP_4)
	v_add_co_ci_u32_e32 v8, vcc_lo, s9, v8, vcc_lo
	v_mov_b32_e32 v13, v14
	v_add_co_u32 v55, vcc_lo, s10, v9
	v_add_co_ci_u32_e32 v56, vcc_lo, s11, v10, vcc_lo
	global_load_b128 v[7:10], v[7:8], off
	global_load_b64 v[55:56], v[55:56], off
	s_waitcnt vmcnt(16)
	v_fma_f64 v[22:23], v[22:23], v[57:58], v[18:19]
	v_fma_f64 v[24:25], v[24:25], v[57:58], v[20:21]
	v_lshlrev_b64 v[18:19], 3, v[12:13]
	v_add_nc_u32_e32 v12, 0x2c0, v12
	v_add_nc_u32_e32 v13, 10, v54
	s_delay_alu instid0(VALU_DEP_3) | instskip(NEXT) | instid1(VALU_DEP_2)
	v_add_co_u32 v18, vcc_lo, s8, v18
	v_lshlrev_b64 v[20:21], 3, v[13:14]
	v_add_co_ci_u32_e32 v19, vcc_lo, s9, v19, vcc_lo
	s_delay_alu instid0(VALU_DEP_2) | instskip(NEXT) | instid1(VALU_DEP_3)
	v_add_co_u32 v57, vcc_lo, s10, v20
	v_add_co_ci_u32_e32 v58, vcc_lo, s11, v21, vcc_lo
	global_load_b128 v[18:21], v[18:19], off
	global_load_b64 v[57:58], v[57:58], off
	v_cmp_ge_i32_e32 vcc_lo, v15, v17
	s_or_b32 s4, vcc_lo, s4
	s_waitcnt vmcnt(16)
	v_fma_f64 v[22:23], v[26:27], v[59:60], v[22:23]
	v_fma_f64 v[24:25], v[28:29], v[59:60], v[24:25]
	s_waitcnt vmcnt(14)
	s_delay_alu instid0(VALU_DEP_2) | instskip(NEXT) | instid1(VALU_DEP_2)
	v_fma_f64 v[22:23], v[30:31], v[61:62], v[22:23]
	v_fma_f64 v[24:25], v[32:33], v[61:62], v[24:25]
	s_waitcnt vmcnt(12)
	s_delay_alu instid0(VALU_DEP_2) | instskip(NEXT) | instid1(VALU_DEP_2)
	;; [unrolled: 4-line block ×8, first 2 shown]
	v_fma_f64 v[8:9], v[18:19], v[57:58], v[7:8]
	v_fma_f64 v[10:11], v[20:21], v[57:58], v[10:11]
	s_and_not1_b32 exec_lo, exec_lo, s4
	s_cbranch_execnz .LBB124_9
; %bb.10:
	s_or_b32 exec_lo, exec_lo, s4
.LBB124_11:
	s_delay_alu instid0(SALU_CYCLE_1)
	s_or_b32 exec_lo, exec_lo, s3
	s_cbranch_execz .LBB124_13
	s_branch .LBB124_18
.LBB124_12:
                                        ; implicit-def: $vgpr8_vgpr9
                                        ; implicit-def: $vgpr10_vgpr11
.LBB124_13:
	v_mov_b32_e32 v8, 0
	v_mov_b32_e32 v9, 0
	s_delay_alu instid0(VALU_DEP_1)
	v_dual_mov_b32 v11, v9 :: v_dual_mov_b32 v10, v8
	s_and_saveexec_b32 s3, s2
	s_cbranch_execz .LBB124_17
; %bb.14:
	v_mov_b32_e32 v8, 0
	v_dual_mov_b32 v9, 0 :: v_dual_mov_b32 v14, 0
	v_mad_u64_u32 v[12:13], null, v6, 22, 21
	s_mov_b32 s2, 0
	s_delay_alu instid0(VALU_DEP_2)
	v_dual_mov_b32 v11, v9 :: v_dual_mov_b32 v10, v8
.LBB124_15:                             ; =>This Inner Loop Header: Depth=1
	v_ashrrev_i32_e32 v7, 31, v6
	s_delay_alu instid0(VALU_DEP_3) | instskip(SKIP_1) | instid1(VALU_DEP_3)
	v_subrev_nc_u32_e32 v13, 21, v12
	v_mov_b32_e32 v23, v14
	v_lshlrev_b64 v[15:16], 2, v[6:7]
	v_add_nc_u32_e32 v6, 32, v6
	s_delay_alu instid0(VALU_DEP_4) | instskip(NEXT) | instid1(VALU_DEP_3)
	v_lshlrev_b64 v[18:19], 3, v[13:14]
	v_add_co_u32 v15, vcc_lo, s6, v15
	s_delay_alu instid0(VALU_DEP_4) | instskip(NEXT) | instid1(VALU_DEP_3)
	v_add_co_ci_u32_e32 v16, vcc_lo, s7, v16, vcc_lo
	v_add_co_u32 v18, vcc_lo, s8, v18
	s_delay_alu instid0(VALU_DEP_4) | instskip(SKIP_2) | instid1(VALU_DEP_1)
	v_add_co_ci_u32_e32 v19, vcc_lo, s9, v19, vcc_lo
	global_load_b32 v7, v[15:16], off
	v_dual_mov_b32 v16, v14 :: v_dual_add_nc_u32 v15, -10, v12
	v_lshlrev_b64 v[15:16], 3, v[15:16]
	s_delay_alu instid0(VALU_DEP_1) | instskip(NEXT) | instid1(VALU_DEP_2)
	v_add_co_u32 v15, vcc_lo, s8, v15
	v_add_co_ci_u32_e32 v16, vcc_lo, s9, v16, vcc_lo
	s_clause 0x1
	global_load_b128 v[18:21], v[18:19], off
	global_load_b64 v[15:16], v[15:16], off
	s_waitcnt vmcnt(2)
	v_subrev_nc_u32_e32 v7, s12, v7
	s_delay_alu instid0(VALU_DEP_1) | instskip(NEXT) | instid1(VALU_DEP_1)
	v_mul_lo_u32 v22, v7, 11
	v_lshlrev_b64 v[23:24], 3, v[22:23]
	v_add_nc_u32_e32 v13, 1, v22
	s_delay_alu instid0(VALU_DEP_1) | instskip(NEXT) | instid1(VALU_DEP_3)
	v_lshlrev_b64 v[25:26], 3, v[13:14]
	v_add_co_u32 v23, vcc_lo, s10, v23
	s_delay_alu instid0(VALU_DEP_4) | instskip(SKIP_1) | instid1(VALU_DEP_4)
	v_add_co_ci_u32_e32 v24, vcc_lo, s11, v24, vcc_lo
	v_add_nc_u32_e32 v13, -9, v12
	v_add_co_u32 v25, vcc_lo, s10, v25
	global_load_b64 v[23:24], v[23:24], off
	v_add_co_ci_u32_e32 v26, vcc_lo, s11, v26, vcc_lo
	v_lshlrev_b64 v[27:28], 3, v[13:14]
	v_subrev_nc_u32_e32 v13, 19, v12
	s_delay_alu instid0(VALU_DEP_2) | instskip(NEXT) | instid1(VALU_DEP_3)
	v_add_co_u32 v27, vcc_lo, s8, v27
	v_add_co_ci_u32_e32 v28, vcc_lo, s9, v28, vcc_lo
	global_load_b64 v[25:26], v[25:26], off
	global_load_b64 v[27:28], v[27:28], off
	v_lshlrev_b64 v[29:30], 3, v[13:14]
	v_add_nc_u32_e32 v13, 2, v22
	s_delay_alu instid0(VALU_DEP_1) | instskip(SKIP_1) | instid1(VALU_DEP_4)
	v_lshlrev_b64 v[31:32], 3, v[13:14]
	v_add_nc_u32_e32 v13, -8, v12
	v_add_co_u32 v29, vcc_lo, s8, v29
	v_add_co_ci_u32_e32 v30, vcc_lo, s9, v30, vcc_lo
	s_delay_alu instid0(VALU_DEP_3) | instskip(SKIP_3) | instid1(VALU_DEP_4)
	v_lshlrev_b64 v[33:34], 3, v[13:14]
	v_add_co_u32 v31, vcc_lo, s10, v31
	v_add_co_ci_u32_e32 v32, vcc_lo, s11, v32, vcc_lo
	v_subrev_nc_u32_e32 v13, 18, v12
	v_add_co_u32 v33, vcc_lo, s8, v33
	v_add_co_ci_u32_e32 v34, vcc_lo, s9, v34, vcc_lo
	global_load_b64 v[29:30], v[29:30], off
	global_load_b64 v[31:32], v[31:32], off
	;; [unrolled: 1-line block ×3, first 2 shown]
	v_lshlrev_b64 v[35:36], 3, v[13:14]
	v_add_nc_u32_e32 v13, 3, v22
	s_delay_alu instid0(VALU_DEP_1) | instskip(SKIP_1) | instid1(VALU_DEP_4)
	v_lshlrev_b64 v[37:38], 3, v[13:14]
	v_add_nc_u32_e32 v13, -7, v12
	v_add_co_u32 v35, vcc_lo, s8, v35
	v_add_co_ci_u32_e32 v36, vcc_lo, s9, v36, vcc_lo
	s_delay_alu instid0(VALU_DEP_3) | instskip(SKIP_3) | instid1(VALU_DEP_4)
	v_lshlrev_b64 v[39:40], 3, v[13:14]
	v_add_co_u32 v37, vcc_lo, s10, v37
	v_add_co_ci_u32_e32 v38, vcc_lo, s11, v38, vcc_lo
	v_subrev_nc_u32_e32 v13, 17, v12
	v_add_co_u32 v39, vcc_lo, s8, v39
	v_add_co_ci_u32_e32 v40, vcc_lo, s9, v40, vcc_lo
	global_load_b64 v[35:36], v[35:36], off
	global_load_b64 v[37:38], v[37:38], off
	global_load_b64 v[39:40], v[39:40], off
	v_lshlrev_b64 v[41:42], 3, v[13:14]
	v_add_nc_u32_e32 v13, 4, v22
	s_delay_alu instid0(VALU_DEP_1) | instskip(SKIP_1) | instid1(VALU_DEP_4)
	v_lshlrev_b64 v[43:44], 3, v[13:14]
	v_add_nc_u32_e32 v13, -6, v12
	v_add_co_u32 v41, vcc_lo, s8, v41
	v_add_co_ci_u32_e32 v42, vcc_lo, s9, v42, vcc_lo
	s_delay_alu instid0(VALU_DEP_3) | instskip(SKIP_3) | instid1(VALU_DEP_4)
	v_lshlrev_b64 v[45:46], 3, v[13:14]
	v_add_co_u32 v43, vcc_lo, s10, v43
	v_add_co_ci_u32_e32 v44, vcc_lo, s11, v44, vcc_lo
	v_add_nc_u32_e32 v13, -16, v12
	v_add_co_u32 v45, vcc_lo, s8, v45
	v_add_co_ci_u32_e32 v46, vcc_lo, s9, v46, vcc_lo
	global_load_b64 v[41:42], v[41:42], off
	global_load_b64 v[43:44], v[43:44], off
	global_load_b64 v[45:46], v[45:46], off
	v_lshlrev_b64 v[47:48], 3, v[13:14]
	v_add_nc_u32_e32 v13, 5, v22
	s_delay_alu instid0(VALU_DEP_1) | instskip(SKIP_1) | instid1(VALU_DEP_4)
	v_lshlrev_b64 v[49:50], 3, v[13:14]
	v_add_nc_u32_e32 v13, -5, v12
	v_add_co_u32 v47, vcc_lo, s8, v47
	v_add_co_ci_u32_e32 v48, vcc_lo, s9, v48, vcc_lo
	s_delay_alu instid0(VALU_DEP_3) | instskip(SKIP_3) | instid1(VALU_DEP_4)
	v_lshlrev_b64 v[51:52], 3, v[13:14]
	v_add_co_u32 v49, vcc_lo, s10, v49
	v_add_co_ci_u32_e32 v50, vcc_lo, s11, v50, vcc_lo
	v_add_nc_u32_e32 v13, -15, v12
	;; [unrolled: 17-line block ×5, first 2 shown]
	v_add_co_u32 v69, vcc_lo, s8, v69
	v_add_co_ci_u32_e32 v70, vcc_lo, s9, v70, vcc_lo
	global_load_b64 v[65:66], v[65:66], off
	global_load_b64 v[67:68], v[67:68], off
	;; [unrolled: 1-line block ×3, first 2 shown]
	v_lshlrev_b64 v[71:72], 3, v[13:14]
	v_add_nc_u32_e32 v13, 9, v22
	s_waitcnt vmcnt(23)
	v_fma_f64 v[7:8], v[18:19], v[23:24], v[8:9]
	v_fma_f64 v[9:10], v[15:16], v[23:24], v[10:11]
	s_delay_alu instid0(VALU_DEP_3) | instskip(SKIP_3) | instid1(VALU_DEP_3)
	v_lshlrev_b64 v[15:16], 3, v[13:14]
	v_add_nc_u32_e32 v13, -1, v12
	v_add_co_u32 v18, vcc_lo, s8, v71
	v_add_co_ci_u32_e32 v19, vcc_lo, s9, v72, vcc_lo
	v_lshlrev_b64 v[23:24], 3, v[13:14]
	v_add_co_u32 v15, vcc_lo, s10, v15
	v_add_co_ci_u32_e32 v16, vcc_lo, s11, v16, vcc_lo
	v_mov_b32_e32 v13, v14
	s_delay_alu instid0(VALU_DEP_4)
	v_add_co_u32 v23, vcc_lo, s8, v23
	v_add_co_ci_u32_e32 v24, vcc_lo, s9, v24, vcc_lo
	global_load_b64 v[18:19], v[18:19], off
	global_load_b64 v[15:16], v[15:16], off
	;; [unrolled: 1-line block ×3, first 2 shown]
	v_lshlrev_b64 v[71:72], 3, v[12:13]
	v_add_nc_u32_e32 v13, -11, v12
	v_add_nc_u32_e32 v12, 0x2c0, v12
	s_delay_alu instid0(VALU_DEP_3) | instskip(NEXT) | instid1(VALU_DEP_4)
	v_add_co_u32 v71, vcc_lo, s8, v71
	v_add_co_ci_u32_e32 v72, vcc_lo, s9, v72, vcc_lo
	s_waitcnt vmcnt(25)
	v_fma_f64 v[7:8], v[20:21], v[25:26], v[7:8]
	s_waitcnt vmcnt(24)
	v_fma_f64 v[9:10], v[27:28], v[25:26], v[9:10]
	v_lshlrev_b64 v[20:21], 3, v[13:14]
	v_add_nc_u32_e32 v13, 10, v22
	s_delay_alu instid0(VALU_DEP_1) | instskip(NEXT) | instid1(VALU_DEP_3)
	v_lshlrev_b64 v[25:26], 3, v[13:14]
	v_add_co_u32 v20, vcc_lo, s8, v20
	s_delay_alu instid0(VALU_DEP_4) | instskip(NEXT) | instid1(VALU_DEP_3)
	v_add_co_ci_u32_e32 v21, vcc_lo, s9, v21, vcc_lo
	v_add_co_u32 v25, vcc_lo, s10, v25
	s_delay_alu instid0(VALU_DEP_4)
	v_add_co_ci_u32_e32 v26, vcc_lo, s11, v26, vcc_lo
	s_clause 0x1
	global_load_b64 v[27:28], v[71:72], off
	global_load_b64 v[20:21], v[20:21], off
	;; [unrolled: 1-line block ×3, first 2 shown]
	v_cmp_ge_i32_e32 vcc_lo, v6, v17
	s_or_b32 s2, vcc_lo, s2
	s_waitcnt vmcnt(25)
	v_fma_f64 v[7:8], v[29:30], v[31:32], v[7:8]
	s_waitcnt vmcnt(24)
	v_fma_f64 v[9:10], v[33:34], v[31:32], v[9:10]
	s_waitcnt vmcnt(22)
	s_delay_alu instid0(VALU_DEP_2) | instskip(SKIP_1) | instid1(VALU_DEP_2)
	v_fma_f64 v[7:8], v[35:36], v[37:38], v[7:8]
	s_waitcnt vmcnt(21)
	v_fma_f64 v[9:10], v[39:40], v[37:38], v[9:10]
	s_waitcnt vmcnt(19)
	s_delay_alu instid0(VALU_DEP_2) | instskip(SKIP_1) | instid1(VALU_DEP_2)
	;; [unrolled: 5-line block ×7, first 2 shown]
	v_fma_f64 v[7:8], v[18:19], v[15:16], v[7:8]
	s_waitcnt vmcnt(3)
	v_fma_f64 v[10:11], v[23:24], v[15:16], v[9:10]
	s_waitcnt vmcnt(0)
	s_delay_alu instid0(VALU_DEP_2) | instskip(NEXT) | instid1(VALU_DEP_2)
	v_fma_f64 v[8:9], v[20:21], v[25:26], v[7:8]
	v_fma_f64 v[10:11], v[27:28], v[25:26], v[10:11]
	s_and_not1_b32 exec_lo, exec_lo, s2
	s_cbranch_execnz .LBB124_15
; %bb.16:
	s_or_b32 exec_lo, exec_lo, s2
.LBB124_17:
	s_delay_alu instid0(SALU_CYCLE_1)
	s_or_b32 exec_lo, exec_lo, s3
.LBB124_18:
	v_mbcnt_lo_u32_b32 v14, -1, 0
	s_delay_alu instid0(VALU_DEP_1) | instskip(NEXT) | instid1(VALU_DEP_1)
	v_xor_b32_e32 v6, 16, v14
	v_cmp_gt_i32_e32 vcc_lo, 32, v6
	v_cndmask_b32_e32 v6, v14, v6, vcc_lo
	s_delay_alu instid0(VALU_DEP_1)
	v_lshlrev_b32_e32 v13, 2, v6
	ds_bpermute_b32 v6, v13, v8
	ds_bpermute_b32 v7, v13, v9
	;; [unrolled: 1-line block ×4, first 2 shown]
	s_waitcnt lgkmcnt(2)
	v_add_f64 v[6:7], v[8:9], v[6:7]
	s_waitcnt lgkmcnt(0)
	v_add_f64 v[8:9], v[10:11], v[12:13]
	v_xor_b32_e32 v10, 8, v14
	s_delay_alu instid0(VALU_DEP_1) | instskip(SKIP_1) | instid1(VALU_DEP_1)
	v_cmp_gt_i32_e32 vcc_lo, 32, v10
	v_cndmask_b32_e32 v10, v14, v10, vcc_lo
	v_lshlrev_b32_e32 v13, 2, v10
	ds_bpermute_b32 v10, v13, v6
	ds_bpermute_b32 v11, v13, v7
	;; [unrolled: 1-line block ×4, first 2 shown]
	s_waitcnt lgkmcnt(2)
	v_add_f64 v[6:7], v[6:7], v[10:11]
	v_xor_b32_e32 v10, 4, v14
	s_waitcnt lgkmcnt(0)
	v_add_f64 v[8:9], v[8:9], v[12:13]
	s_delay_alu instid0(VALU_DEP_2) | instskip(SKIP_1) | instid1(VALU_DEP_1)
	v_cmp_gt_i32_e32 vcc_lo, 32, v10
	v_cndmask_b32_e32 v10, v14, v10, vcc_lo
	v_lshlrev_b32_e32 v13, 2, v10
	ds_bpermute_b32 v10, v13, v6
	ds_bpermute_b32 v11, v13, v7
	;; [unrolled: 1-line block ×4, first 2 shown]
	s_waitcnt lgkmcnt(2)
	v_add_f64 v[6:7], v[6:7], v[10:11]
	v_xor_b32_e32 v10, 2, v14
	s_waitcnt lgkmcnt(0)
	v_add_f64 v[8:9], v[8:9], v[12:13]
	s_delay_alu instid0(VALU_DEP_2) | instskip(SKIP_1) | instid1(VALU_DEP_1)
	v_cmp_gt_i32_e32 vcc_lo, 32, v10
	v_cndmask_b32_e32 v10, v14, v10, vcc_lo
	v_lshlrev_b32_e32 v13, 2, v10
	ds_bpermute_b32 v10, v13, v6
	ds_bpermute_b32 v11, v13, v7
	;; [unrolled: 1-line block ×4, first 2 shown]
	s_waitcnt lgkmcnt(2)
	v_add_f64 v[6:7], v[6:7], v[10:11]
	s_waitcnt lgkmcnt(0)
	v_add_f64 v[10:11], v[8:9], v[12:13]
	v_xor_b32_e32 v8, 1, v14
	s_delay_alu instid0(VALU_DEP_1) | instskip(SKIP_2) | instid1(VALU_DEP_2)
	v_cmp_gt_i32_e32 vcc_lo, 32, v8
	v_cndmask_b32_e32 v8, v14, v8, vcc_lo
	v_cmp_eq_u32_e32 vcc_lo, 31, v0
	v_lshlrev_b32_e32 v13, 2, v8
	ds_bpermute_b32 v8, v13, v6
	ds_bpermute_b32 v9, v13, v7
	;; [unrolled: 1-line block ×4, first 2 shown]
	s_and_b32 exec_lo, exec_lo, vcc_lo
	s_cbranch_execz .LBB124_23
; %bb.19:
	s_waitcnt lgkmcnt(2)
	v_add_f64 v[8:9], v[6:7], v[8:9]
	s_waitcnt lgkmcnt(0)
	v_add_f64 v[6:7], v[10:11], v[12:13]
	s_load_b64 s[0:1], s[0:1], 0x38
	s_mov_b32 s2, exec_lo
	v_cmpx_eq_f64_e32 0, v[3:4]
	s_xor_b32 s2, exec_lo, s2
	s_cbranch_execz .LBB124_21
; %bb.20:
	s_delay_alu instid0(VALU_DEP_3) | instskip(NEXT) | instid1(VALU_DEP_3)
	v_mul_f64 v[8:9], v[1:2], v[8:9]
	v_mul_f64 v[10:11], v[1:2], v[6:7]
	v_lshlrev_b32_e32 v0, 1, v5
                                        ; implicit-def: $vgpr5
                                        ; implicit-def: $vgpr3_vgpr4
                                        ; implicit-def: $vgpr6_vgpr7
	s_delay_alu instid0(VALU_DEP_1) | instskip(NEXT) | instid1(VALU_DEP_1)
	v_ashrrev_i32_e32 v1, 31, v0
	v_lshlrev_b64 v[0:1], 3, v[0:1]
	s_waitcnt lgkmcnt(0)
	s_delay_alu instid0(VALU_DEP_1) | instskip(NEXT) | instid1(VALU_DEP_2)
	v_add_co_u32 v0, vcc_lo, s0, v0
	v_add_co_ci_u32_e32 v1, vcc_lo, s1, v1, vcc_lo
	global_store_b128 v[0:1], v[8:11], off
                                        ; implicit-def: $vgpr1_vgpr2
                                        ; implicit-def: $vgpr8_vgpr9
.LBB124_21:
	s_and_not1_saveexec_b32 s2, s2
	s_cbranch_execz .LBB124_23
; %bb.22:
	v_lshlrev_b32_e32 v10, 1, v5
	s_delay_alu instid0(VALU_DEP_4) | instskip(NEXT) | instid1(VALU_DEP_4)
	v_mul_f64 v[8:9], v[1:2], v[8:9]
	v_mul_f64 v[5:6], v[1:2], v[6:7]
	s_delay_alu instid0(VALU_DEP_3) | instskip(NEXT) | instid1(VALU_DEP_1)
	v_ashrrev_i32_e32 v11, 31, v10
	v_lshlrev_b64 v[10:11], 3, v[10:11]
	s_waitcnt lgkmcnt(0)
	s_delay_alu instid0(VALU_DEP_1) | instskip(NEXT) | instid1(VALU_DEP_2)
	v_add_co_u32 v14, vcc_lo, s0, v10
	v_add_co_ci_u32_e32 v15, vcc_lo, s1, v11, vcc_lo
	global_load_b128 v[10:13], v[14:15], off
	s_waitcnt vmcnt(0)
	v_fma_f64 v[0:1], v[3:4], v[10:11], v[8:9]
	v_fma_f64 v[2:3], v[3:4], v[12:13], v[5:6]
	global_store_b128 v[14:15], v[0:3], off
.LBB124_23:
	s_nop 0
	s_sendmsg sendmsg(MSG_DEALLOC_VGPRS)
	s_endpgm
	.section	.rodata,"a",@progbits
	.p2align	6, 0x0
	.amdhsa_kernel _ZN9rocsparseL19gebsrmvn_2xn_kernelILj128ELj11ELj32EdEEvi20rocsparse_direction_NS_24const_host_device_scalarIT2_EEPKiS6_PKS3_S8_S4_PS3_21rocsparse_index_base_b
		.amdhsa_group_segment_fixed_size 0
		.amdhsa_private_segment_fixed_size 0
		.amdhsa_kernarg_size 72
		.amdhsa_user_sgpr_count 15
		.amdhsa_user_sgpr_dispatch_ptr 0
		.amdhsa_user_sgpr_queue_ptr 0
		.amdhsa_user_sgpr_kernarg_segment_ptr 1
		.amdhsa_user_sgpr_dispatch_id 0
		.amdhsa_user_sgpr_private_segment_size 0
		.amdhsa_wavefront_size32 1
		.amdhsa_uses_dynamic_stack 0
		.amdhsa_enable_private_segment 0
		.amdhsa_system_sgpr_workgroup_id_x 1
		.amdhsa_system_sgpr_workgroup_id_y 0
		.amdhsa_system_sgpr_workgroup_id_z 0
		.amdhsa_system_sgpr_workgroup_info 0
		.amdhsa_system_vgpr_workitem_id 0
		.amdhsa_next_free_vgpr 73
		.amdhsa_next_free_sgpr 16
		.amdhsa_reserve_vcc 1
		.amdhsa_float_round_mode_32 0
		.amdhsa_float_round_mode_16_64 0
		.amdhsa_float_denorm_mode_32 3
		.amdhsa_float_denorm_mode_16_64 3
		.amdhsa_dx10_clamp 1
		.amdhsa_ieee_mode 1
		.amdhsa_fp16_overflow 0
		.amdhsa_workgroup_processor_mode 1
		.amdhsa_memory_ordered 1
		.amdhsa_forward_progress 0
		.amdhsa_shared_vgpr_count 0
		.amdhsa_exception_fp_ieee_invalid_op 0
		.amdhsa_exception_fp_denorm_src 0
		.amdhsa_exception_fp_ieee_div_zero 0
		.amdhsa_exception_fp_ieee_overflow 0
		.amdhsa_exception_fp_ieee_underflow 0
		.amdhsa_exception_fp_ieee_inexact 0
		.amdhsa_exception_int_div_zero 0
	.end_amdhsa_kernel
	.section	.text._ZN9rocsparseL19gebsrmvn_2xn_kernelILj128ELj11ELj32EdEEvi20rocsparse_direction_NS_24const_host_device_scalarIT2_EEPKiS6_PKS3_S8_S4_PS3_21rocsparse_index_base_b,"axG",@progbits,_ZN9rocsparseL19gebsrmvn_2xn_kernelILj128ELj11ELj32EdEEvi20rocsparse_direction_NS_24const_host_device_scalarIT2_EEPKiS6_PKS3_S8_S4_PS3_21rocsparse_index_base_b,comdat
.Lfunc_end124:
	.size	_ZN9rocsparseL19gebsrmvn_2xn_kernelILj128ELj11ELj32EdEEvi20rocsparse_direction_NS_24const_host_device_scalarIT2_EEPKiS6_PKS3_S8_S4_PS3_21rocsparse_index_base_b, .Lfunc_end124-_ZN9rocsparseL19gebsrmvn_2xn_kernelILj128ELj11ELj32EdEEvi20rocsparse_direction_NS_24const_host_device_scalarIT2_EEPKiS6_PKS3_S8_S4_PS3_21rocsparse_index_base_b
                                        ; -- End function
	.section	.AMDGPU.csdata,"",@progbits
; Kernel info:
; codeLenInByte = 3700
; NumSgprs: 18
; NumVgprs: 73
; ScratchSize: 0
; MemoryBound: 0
; FloatMode: 240
; IeeeMode: 1
; LDSByteSize: 0 bytes/workgroup (compile time only)
; SGPRBlocks: 2
; VGPRBlocks: 9
; NumSGPRsForWavesPerEU: 18
; NumVGPRsForWavesPerEU: 73
; Occupancy: 16
; WaveLimiterHint : 1
; COMPUTE_PGM_RSRC2:SCRATCH_EN: 0
; COMPUTE_PGM_RSRC2:USER_SGPR: 15
; COMPUTE_PGM_RSRC2:TRAP_HANDLER: 0
; COMPUTE_PGM_RSRC2:TGID_X_EN: 1
; COMPUTE_PGM_RSRC2:TGID_Y_EN: 0
; COMPUTE_PGM_RSRC2:TGID_Z_EN: 0
; COMPUTE_PGM_RSRC2:TIDIG_COMP_CNT: 0
	.section	.text._ZN9rocsparseL19gebsrmvn_2xn_kernelILj128ELj11ELj64EdEEvi20rocsparse_direction_NS_24const_host_device_scalarIT2_EEPKiS6_PKS3_S8_S4_PS3_21rocsparse_index_base_b,"axG",@progbits,_ZN9rocsparseL19gebsrmvn_2xn_kernelILj128ELj11ELj64EdEEvi20rocsparse_direction_NS_24const_host_device_scalarIT2_EEPKiS6_PKS3_S8_S4_PS3_21rocsparse_index_base_b,comdat
	.globl	_ZN9rocsparseL19gebsrmvn_2xn_kernelILj128ELj11ELj64EdEEvi20rocsparse_direction_NS_24const_host_device_scalarIT2_EEPKiS6_PKS3_S8_S4_PS3_21rocsparse_index_base_b ; -- Begin function _ZN9rocsparseL19gebsrmvn_2xn_kernelILj128ELj11ELj64EdEEvi20rocsparse_direction_NS_24const_host_device_scalarIT2_EEPKiS6_PKS3_S8_S4_PS3_21rocsparse_index_base_b
	.p2align	8
	.type	_ZN9rocsparseL19gebsrmvn_2xn_kernelILj128ELj11ELj64EdEEvi20rocsparse_direction_NS_24const_host_device_scalarIT2_EEPKiS6_PKS3_S8_S4_PS3_21rocsparse_index_base_b,@function
_ZN9rocsparseL19gebsrmvn_2xn_kernelILj128ELj11ELj64EdEEvi20rocsparse_direction_NS_24const_host_device_scalarIT2_EEPKiS6_PKS3_S8_S4_PS3_21rocsparse_index_base_b: ; @_ZN9rocsparseL19gebsrmvn_2xn_kernelILj128ELj11ELj64EdEEvi20rocsparse_direction_NS_24const_host_device_scalarIT2_EEPKiS6_PKS3_S8_S4_PS3_21rocsparse_index_base_b
; %bb.0:
	s_clause 0x2
	s_load_b64 s[12:13], s[0:1], 0x40
	s_load_b64 s[4:5], s[0:1], 0x8
	;; [unrolled: 1-line block ×3, first 2 shown]
	s_waitcnt lgkmcnt(0)
	s_bitcmp1_b32 s13, 0
	v_dual_mov_b32 v1, s4 :: v_dual_mov_b32 v2, s5
	s_cselect_b32 s6, -1, 0
	s_delay_alu instid0(SALU_CYCLE_1)
	s_and_b32 vcc_lo, exec_lo, s6
	s_xor_b32 s6, s6, -1
	s_cbranch_vccnz .LBB125_2
; %bb.1:
	v_dual_mov_b32 v1, s4 :: v_dual_mov_b32 v2, s5
	flat_load_b64 v[1:2], v[1:2]
.LBB125_2:
	v_dual_mov_b32 v4, s3 :: v_dual_mov_b32 v3, s2
	s_and_not1_b32 vcc_lo, exec_lo, s6
	s_cbranch_vccnz .LBB125_4
; %bb.3:
	v_dual_mov_b32 v4, s3 :: v_dual_mov_b32 v3, s2
	flat_load_b64 v[3:4], v[3:4]
.LBB125_4:
	s_waitcnt vmcnt(0) lgkmcnt(0)
	v_cmp_neq_f64_e32 vcc_lo, 0, v[1:2]
	v_cmp_neq_f64_e64 s2, 1.0, v[3:4]
	s_delay_alu instid0(VALU_DEP_1) | instskip(NEXT) | instid1(SALU_CYCLE_1)
	s_or_b32 s2, vcc_lo, s2
	s_and_saveexec_b32 s3, s2
	s_cbranch_execz .LBB125_23
; %bb.5:
	s_load_b64 s[2:3], s[0:1], 0x0
	v_lshrrev_b32_e32 v5, 6, v0
	s_delay_alu instid0(VALU_DEP_1) | instskip(SKIP_1) | instid1(VALU_DEP_1)
	v_lshl_or_b32 v5, s15, 1, v5
	s_waitcnt lgkmcnt(0)
	v_cmp_gt_i32_e32 vcc_lo, s2, v5
	s_and_b32 exec_lo, exec_lo, vcc_lo
	s_cbranch_execz .LBB125_23
; %bb.6:
	s_load_b256 s[4:11], s[0:1], 0x10
	v_ashrrev_i32_e32 v6, 31, v5
	v_and_b32_e32 v0, 63, v0
	s_cmp_lg_u32 s3, 0
	s_delay_alu instid0(VALU_DEP_2) | instskip(SKIP_1) | instid1(VALU_DEP_1)
	v_lshlrev_b64 v[6:7], 2, v[5:6]
	s_waitcnt lgkmcnt(0)
	v_add_co_u32 v6, vcc_lo, s4, v6
	s_delay_alu instid0(VALU_DEP_2) | instskip(SKIP_4) | instid1(VALU_DEP_2)
	v_add_co_ci_u32_e32 v7, vcc_lo, s5, v7, vcc_lo
	global_load_b64 v[6:7], v[6:7], off
	s_waitcnt vmcnt(0)
	v_subrev_nc_u32_e32 v6, s12, v6
	v_subrev_nc_u32_e32 v17, s12, v7
	v_add_nc_u32_e32 v6, v6, v0
	s_delay_alu instid0(VALU_DEP_1)
	v_cmp_lt_i32_e64 s2, v6, v17
	s_cbranch_scc0 .LBB125_12
; %bb.7:
	v_mov_b32_e32 v8, 0
	v_mov_b32_e32 v9, 0
	s_delay_alu instid0(VALU_DEP_1)
	v_dual_mov_b32 v11, v9 :: v_dual_mov_b32 v10, v8
	s_and_saveexec_b32 s3, s2
	s_cbranch_execz .LBB125_11
; %bb.8:
	v_dual_mov_b32 v8, 0 :: v_dual_mov_b32 v15, v6
	v_dual_mov_b32 v9, 0 :: v_dual_mov_b32 v14, 0
	v_mad_u64_u32 v[12:13], null, v6, 22, 20
	s_mov_b32 s4, 0
	s_delay_alu instid0(VALU_DEP_2)
	v_dual_mov_b32 v11, v9 :: v_dual_mov_b32 v10, v8
.LBB125_9:                              ; =>This Inner Loop Header: Depth=1
	v_ashrrev_i32_e32 v16, 31, v15
	s_delay_alu instid0(VALU_DEP_3) | instskip(SKIP_1) | instid1(VALU_DEP_3)
	v_subrev_nc_u32_e32 v13, 20, v12
	v_mov_b32_e32 v55, v14
	v_lshlrev_b64 v[18:19], 2, v[15:16]
	v_add_nc_u32_e32 v15, 64, v15
	s_delay_alu instid0(VALU_DEP_2) | instskip(NEXT) | instid1(VALU_DEP_3)
	v_add_co_u32 v18, vcc_lo, s6, v18
	v_add_co_ci_u32_e32 v19, vcc_lo, s7, v19, vcc_lo
	global_load_b32 v7, v[18:19], off
	v_lshlrev_b64 v[18:19], 3, v[13:14]
	v_subrev_nc_u32_e32 v13, 18, v12
	s_delay_alu instid0(VALU_DEP_2) | instskip(NEXT) | instid1(VALU_DEP_3)
	v_add_co_u32 v18, vcc_lo, s8, v18
	v_add_co_ci_u32_e32 v19, vcc_lo, s9, v19, vcc_lo
	global_load_b128 v[18:21], v[18:19], off
	s_waitcnt vmcnt(1)
	v_subrev_nc_u32_e32 v7, s12, v7
	s_delay_alu instid0(VALU_DEP_1) | instskip(NEXT) | instid1(VALU_DEP_1)
	v_mul_lo_u32 v54, v7, 11
	v_lshlrev_b64 v[22:23], 3, v[54:55]
	s_delay_alu instid0(VALU_DEP_1) | instskip(NEXT) | instid1(VALU_DEP_2)
	v_add_co_u32 v22, vcc_lo, s10, v22
	v_add_co_ci_u32_e32 v23, vcc_lo, s11, v23, vcc_lo
	global_load_b64 v[55:56], v[22:23], off
	v_lshlrev_b64 v[22:23], 3, v[13:14]
	v_add_nc_u32_e32 v13, 1, v54
	s_delay_alu instid0(VALU_DEP_1) | instskip(NEXT) | instid1(VALU_DEP_3)
	v_lshlrev_b64 v[24:25], 3, v[13:14]
	v_add_co_u32 v22, vcc_lo, s8, v22
	s_delay_alu instid0(VALU_DEP_4) | instskip(SKIP_1) | instid1(VALU_DEP_4)
	v_add_co_ci_u32_e32 v23, vcc_lo, s9, v23, vcc_lo
	v_add_nc_u32_e32 v13, -16, v12
	v_add_co_u32 v26, vcc_lo, s10, v24
	v_add_co_ci_u32_e32 v27, vcc_lo, s11, v25, vcc_lo
	global_load_b128 v[22:25], v[22:23], off
	global_load_b64 v[57:58], v[26:27], off
	v_lshlrev_b64 v[26:27], 3, v[13:14]
	v_add_nc_u32_e32 v13, 2, v54
	s_delay_alu instid0(VALU_DEP_1) | instskip(NEXT) | instid1(VALU_DEP_3)
	v_lshlrev_b64 v[28:29], 3, v[13:14]
	v_add_co_u32 v26, vcc_lo, s8, v26
	s_delay_alu instid0(VALU_DEP_4) | instskip(SKIP_1) | instid1(VALU_DEP_4)
	v_add_co_ci_u32_e32 v27, vcc_lo, s9, v27, vcc_lo
	v_add_nc_u32_e32 v13, -14, v12
	v_add_co_u32 v30, vcc_lo, s10, v28
	v_add_co_ci_u32_e32 v31, vcc_lo, s11, v29, vcc_lo
	global_load_b128 v[26:29], v[26:27], off
	;; [unrolled: 12-line block ×8, first 2 shown]
	global_load_b64 v[71:72], v[71:72], off
	s_waitcnt vmcnt(16)
	v_fma_f64 v[18:19], v[18:19], v[55:56], v[8:9]
	v_fma_f64 v[20:21], v[20:21], v[55:56], v[10:11]
	v_lshlrev_b64 v[7:8], 3, v[13:14]
	v_add_nc_u32_e32 v13, 9, v54
	s_delay_alu instid0(VALU_DEP_1) | instskip(NEXT) | instid1(VALU_DEP_3)
	v_lshlrev_b64 v[9:10], 3, v[13:14]
	v_add_co_u32 v7, vcc_lo, s8, v7
	s_delay_alu instid0(VALU_DEP_4) | instskip(SKIP_1) | instid1(VALU_DEP_4)
	v_add_co_ci_u32_e32 v8, vcc_lo, s9, v8, vcc_lo
	v_mov_b32_e32 v13, v14
	v_add_co_u32 v55, vcc_lo, s10, v9
	v_add_co_ci_u32_e32 v56, vcc_lo, s11, v10, vcc_lo
	global_load_b128 v[7:10], v[7:8], off
	global_load_b64 v[55:56], v[55:56], off
	s_waitcnt vmcnt(16)
	v_fma_f64 v[22:23], v[22:23], v[57:58], v[18:19]
	v_fma_f64 v[24:25], v[24:25], v[57:58], v[20:21]
	v_lshlrev_b64 v[18:19], 3, v[12:13]
	v_add_nc_u32_e32 v12, 0x580, v12
	v_add_nc_u32_e32 v13, 10, v54
	s_delay_alu instid0(VALU_DEP_3) | instskip(NEXT) | instid1(VALU_DEP_2)
	v_add_co_u32 v18, vcc_lo, s8, v18
	v_lshlrev_b64 v[20:21], 3, v[13:14]
	v_add_co_ci_u32_e32 v19, vcc_lo, s9, v19, vcc_lo
	s_delay_alu instid0(VALU_DEP_2) | instskip(NEXT) | instid1(VALU_DEP_3)
	v_add_co_u32 v57, vcc_lo, s10, v20
	v_add_co_ci_u32_e32 v58, vcc_lo, s11, v21, vcc_lo
	global_load_b128 v[18:21], v[18:19], off
	global_load_b64 v[57:58], v[57:58], off
	v_cmp_ge_i32_e32 vcc_lo, v15, v17
	s_or_b32 s4, vcc_lo, s4
	s_waitcnt vmcnt(16)
	v_fma_f64 v[22:23], v[26:27], v[59:60], v[22:23]
	v_fma_f64 v[24:25], v[28:29], v[59:60], v[24:25]
	s_waitcnt vmcnt(14)
	s_delay_alu instid0(VALU_DEP_2) | instskip(NEXT) | instid1(VALU_DEP_2)
	v_fma_f64 v[22:23], v[30:31], v[61:62], v[22:23]
	v_fma_f64 v[24:25], v[32:33], v[61:62], v[24:25]
	s_waitcnt vmcnt(12)
	s_delay_alu instid0(VALU_DEP_2) | instskip(NEXT) | instid1(VALU_DEP_2)
	;; [unrolled: 4-line block ×8, first 2 shown]
	v_fma_f64 v[8:9], v[18:19], v[57:58], v[7:8]
	v_fma_f64 v[10:11], v[20:21], v[57:58], v[10:11]
	s_and_not1_b32 exec_lo, exec_lo, s4
	s_cbranch_execnz .LBB125_9
; %bb.10:
	s_or_b32 exec_lo, exec_lo, s4
.LBB125_11:
	s_delay_alu instid0(SALU_CYCLE_1)
	s_or_b32 exec_lo, exec_lo, s3
	s_cbranch_execz .LBB125_13
	s_branch .LBB125_18
.LBB125_12:
                                        ; implicit-def: $vgpr8_vgpr9
                                        ; implicit-def: $vgpr10_vgpr11
.LBB125_13:
	v_mov_b32_e32 v8, 0
	v_mov_b32_e32 v9, 0
	s_delay_alu instid0(VALU_DEP_1)
	v_dual_mov_b32 v11, v9 :: v_dual_mov_b32 v10, v8
	s_and_saveexec_b32 s3, s2
	s_cbranch_execz .LBB125_17
; %bb.14:
	v_mov_b32_e32 v8, 0
	v_dual_mov_b32 v9, 0 :: v_dual_mov_b32 v14, 0
	v_mad_u64_u32 v[12:13], null, v6, 22, 21
	s_mov_b32 s2, 0
	s_delay_alu instid0(VALU_DEP_2)
	v_dual_mov_b32 v11, v9 :: v_dual_mov_b32 v10, v8
.LBB125_15:                             ; =>This Inner Loop Header: Depth=1
	v_ashrrev_i32_e32 v7, 31, v6
	s_delay_alu instid0(VALU_DEP_3) | instskip(SKIP_1) | instid1(VALU_DEP_3)
	v_subrev_nc_u32_e32 v13, 21, v12
	v_mov_b32_e32 v23, v14
	v_lshlrev_b64 v[15:16], 2, v[6:7]
	v_add_nc_u32_e32 v6, 64, v6
	s_delay_alu instid0(VALU_DEP_4) | instskip(NEXT) | instid1(VALU_DEP_3)
	v_lshlrev_b64 v[18:19], 3, v[13:14]
	v_add_co_u32 v15, vcc_lo, s6, v15
	s_delay_alu instid0(VALU_DEP_4) | instskip(NEXT) | instid1(VALU_DEP_3)
	v_add_co_ci_u32_e32 v16, vcc_lo, s7, v16, vcc_lo
	v_add_co_u32 v18, vcc_lo, s8, v18
	s_delay_alu instid0(VALU_DEP_4) | instskip(SKIP_2) | instid1(VALU_DEP_1)
	v_add_co_ci_u32_e32 v19, vcc_lo, s9, v19, vcc_lo
	global_load_b32 v7, v[15:16], off
	v_dual_mov_b32 v16, v14 :: v_dual_add_nc_u32 v15, -10, v12
	v_lshlrev_b64 v[15:16], 3, v[15:16]
	s_delay_alu instid0(VALU_DEP_1) | instskip(NEXT) | instid1(VALU_DEP_2)
	v_add_co_u32 v15, vcc_lo, s8, v15
	v_add_co_ci_u32_e32 v16, vcc_lo, s9, v16, vcc_lo
	s_clause 0x1
	global_load_b128 v[18:21], v[18:19], off
	global_load_b64 v[15:16], v[15:16], off
	s_waitcnt vmcnt(2)
	v_subrev_nc_u32_e32 v7, s12, v7
	s_delay_alu instid0(VALU_DEP_1) | instskip(NEXT) | instid1(VALU_DEP_1)
	v_mul_lo_u32 v22, v7, 11
	v_lshlrev_b64 v[23:24], 3, v[22:23]
	v_add_nc_u32_e32 v13, 1, v22
	s_delay_alu instid0(VALU_DEP_1) | instskip(NEXT) | instid1(VALU_DEP_3)
	v_lshlrev_b64 v[25:26], 3, v[13:14]
	v_add_co_u32 v23, vcc_lo, s10, v23
	s_delay_alu instid0(VALU_DEP_4) | instskip(SKIP_1) | instid1(VALU_DEP_4)
	v_add_co_ci_u32_e32 v24, vcc_lo, s11, v24, vcc_lo
	v_add_nc_u32_e32 v13, -9, v12
	v_add_co_u32 v25, vcc_lo, s10, v25
	global_load_b64 v[23:24], v[23:24], off
	v_add_co_ci_u32_e32 v26, vcc_lo, s11, v26, vcc_lo
	v_lshlrev_b64 v[27:28], 3, v[13:14]
	v_subrev_nc_u32_e32 v13, 19, v12
	s_delay_alu instid0(VALU_DEP_2) | instskip(NEXT) | instid1(VALU_DEP_3)
	v_add_co_u32 v27, vcc_lo, s8, v27
	v_add_co_ci_u32_e32 v28, vcc_lo, s9, v28, vcc_lo
	global_load_b64 v[25:26], v[25:26], off
	global_load_b64 v[27:28], v[27:28], off
	v_lshlrev_b64 v[29:30], 3, v[13:14]
	v_add_nc_u32_e32 v13, 2, v22
	s_delay_alu instid0(VALU_DEP_1) | instskip(SKIP_1) | instid1(VALU_DEP_4)
	v_lshlrev_b64 v[31:32], 3, v[13:14]
	v_add_nc_u32_e32 v13, -8, v12
	v_add_co_u32 v29, vcc_lo, s8, v29
	v_add_co_ci_u32_e32 v30, vcc_lo, s9, v30, vcc_lo
	s_delay_alu instid0(VALU_DEP_3) | instskip(SKIP_3) | instid1(VALU_DEP_4)
	v_lshlrev_b64 v[33:34], 3, v[13:14]
	v_add_co_u32 v31, vcc_lo, s10, v31
	v_add_co_ci_u32_e32 v32, vcc_lo, s11, v32, vcc_lo
	v_subrev_nc_u32_e32 v13, 18, v12
	v_add_co_u32 v33, vcc_lo, s8, v33
	v_add_co_ci_u32_e32 v34, vcc_lo, s9, v34, vcc_lo
	global_load_b64 v[29:30], v[29:30], off
	global_load_b64 v[31:32], v[31:32], off
	;; [unrolled: 1-line block ×3, first 2 shown]
	v_lshlrev_b64 v[35:36], 3, v[13:14]
	v_add_nc_u32_e32 v13, 3, v22
	s_delay_alu instid0(VALU_DEP_1) | instskip(SKIP_1) | instid1(VALU_DEP_4)
	v_lshlrev_b64 v[37:38], 3, v[13:14]
	v_add_nc_u32_e32 v13, -7, v12
	v_add_co_u32 v35, vcc_lo, s8, v35
	v_add_co_ci_u32_e32 v36, vcc_lo, s9, v36, vcc_lo
	s_delay_alu instid0(VALU_DEP_3) | instskip(SKIP_3) | instid1(VALU_DEP_4)
	v_lshlrev_b64 v[39:40], 3, v[13:14]
	v_add_co_u32 v37, vcc_lo, s10, v37
	v_add_co_ci_u32_e32 v38, vcc_lo, s11, v38, vcc_lo
	v_subrev_nc_u32_e32 v13, 17, v12
	v_add_co_u32 v39, vcc_lo, s8, v39
	v_add_co_ci_u32_e32 v40, vcc_lo, s9, v40, vcc_lo
	global_load_b64 v[35:36], v[35:36], off
	global_load_b64 v[37:38], v[37:38], off
	global_load_b64 v[39:40], v[39:40], off
	v_lshlrev_b64 v[41:42], 3, v[13:14]
	v_add_nc_u32_e32 v13, 4, v22
	s_delay_alu instid0(VALU_DEP_1) | instskip(SKIP_1) | instid1(VALU_DEP_4)
	v_lshlrev_b64 v[43:44], 3, v[13:14]
	v_add_nc_u32_e32 v13, -6, v12
	v_add_co_u32 v41, vcc_lo, s8, v41
	v_add_co_ci_u32_e32 v42, vcc_lo, s9, v42, vcc_lo
	s_delay_alu instid0(VALU_DEP_3) | instskip(SKIP_3) | instid1(VALU_DEP_4)
	v_lshlrev_b64 v[45:46], 3, v[13:14]
	v_add_co_u32 v43, vcc_lo, s10, v43
	v_add_co_ci_u32_e32 v44, vcc_lo, s11, v44, vcc_lo
	v_add_nc_u32_e32 v13, -16, v12
	v_add_co_u32 v45, vcc_lo, s8, v45
	v_add_co_ci_u32_e32 v46, vcc_lo, s9, v46, vcc_lo
	global_load_b64 v[41:42], v[41:42], off
	global_load_b64 v[43:44], v[43:44], off
	global_load_b64 v[45:46], v[45:46], off
	v_lshlrev_b64 v[47:48], 3, v[13:14]
	v_add_nc_u32_e32 v13, 5, v22
	s_delay_alu instid0(VALU_DEP_1) | instskip(SKIP_1) | instid1(VALU_DEP_4)
	v_lshlrev_b64 v[49:50], 3, v[13:14]
	v_add_nc_u32_e32 v13, -5, v12
	v_add_co_u32 v47, vcc_lo, s8, v47
	v_add_co_ci_u32_e32 v48, vcc_lo, s9, v48, vcc_lo
	s_delay_alu instid0(VALU_DEP_3) | instskip(SKIP_3) | instid1(VALU_DEP_4)
	v_lshlrev_b64 v[51:52], 3, v[13:14]
	v_add_co_u32 v49, vcc_lo, s10, v49
	v_add_co_ci_u32_e32 v50, vcc_lo, s11, v50, vcc_lo
	v_add_nc_u32_e32 v13, -15, v12
	;; [unrolled: 17-line block ×5, first 2 shown]
	v_add_co_u32 v69, vcc_lo, s8, v69
	v_add_co_ci_u32_e32 v70, vcc_lo, s9, v70, vcc_lo
	global_load_b64 v[65:66], v[65:66], off
	global_load_b64 v[67:68], v[67:68], off
	global_load_b64 v[69:70], v[69:70], off
	v_lshlrev_b64 v[71:72], 3, v[13:14]
	v_add_nc_u32_e32 v13, 9, v22
	s_waitcnt vmcnt(23)
	v_fma_f64 v[7:8], v[18:19], v[23:24], v[8:9]
	v_fma_f64 v[9:10], v[15:16], v[23:24], v[10:11]
	s_delay_alu instid0(VALU_DEP_3) | instskip(SKIP_3) | instid1(VALU_DEP_3)
	v_lshlrev_b64 v[15:16], 3, v[13:14]
	v_add_nc_u32_e32 v13, -1, v12
	v_add_co_u32 v18, vcc_lo, s8, v71
	v_add_co_ci_u32_e32 v19, vcc_lo, s9, v72, vcc_lo
	v_lshlrev_b64 v[23:24], 3, v[13:14]
	v_add_co_u32 v15, vcc_lo, s10, v15
	v_add_co_ci_u32_e32 v16, vcc_lo, s11, v16, vcc_lo
	v_mov_b32_e32 v13, v14
	s_delay_alu instid0(VALU_DEP_4)
	v_add_co_u32 v23, vcc_lo, s8, v23
	v_add_co_ci_u32_e32 v24, vcc_lo, s9, v24, vcc_lo
	global_load_b64 v[18:19], v[18:19], off
	global_load_b64 v[15:16], v[15:16], off
	;; [unrolled: 1-line block ×3, first 2 shown]
	v_lshlrev_b64 v[71:72], 3, v[12:13]
	v_add_nc_u32_e32 v13, -11, v12
	v_add_nc_u32_e32 v12, 0x580, v12
	s_delay_alu instid0(VALU_DEP_3) | instskip(NEXT) | instid1(VALU_DEP_4)
	v_add_co_u32 v71, vcc_lo, s8, v71
	v_add_co_ci_u32_e32 v72, vcc_lo, s9, v72, vcc_lo
	s_waitcnt vmcnt(25)
	v_fma_f64 v[7:8], v[20:21], v[25:26], v[7:8]
	s_waitcnt vmcnt(24)
	v_fma_f64 v[9:10], v[27:28], v[25:26], v[9:10]
	v_lshlrev_b64 v[20:21], 3, v[13:14]
	v_add_nc_u32_e32 v13, 10, v22
	s_delay_alu instid0(VALU_DEP_1) | instskip(NEXT) | instid1(VALU_DEP_3)
	v_lshlrev_b64 v[25:26], 3, v[13:14]
	v_add_co_u32 v20, vcc_lo, s8, v20
	s_delay_alu instid0(VALU_DEP_4) | instskip(NEXT) | instid1(VALU_DEP_3)
	v_add_co_ci_u32_e32 v21, vcc_lo, s9, v21, vcc_lo
	v_add_co_u32 v25, vcc_lo, s10, v25
	s_delay_alu instid0(VALU_DEP_4)
	v_add_co_ci_u32_e32 v26, vcc_lo, s11, v26, vcc_lo
	s_clause 0x1
	global_load_b64 v[27:28], v[71:72], off
	global_load_b64 v[20:21], v[20:21], off
	;; [unrolled: 1-line block ×3, first 2 shown]
	v_cmp_ge_i32_e32 vcc_lo, v6, v17
	s_or_b32 s2, vcc_lo, s2
	s_waitcnt vmcnt(25)
	v_fma_f64 v[7:8], v[29:30], v[31:32], v[7:8]
	s_waitcnt vmcnt(24)
	v_fma_f64 v[9:10], v[33:34], v[31:32], v[9:10]
	s_waitcnt vmcnt(22)
	s_delay_alu instid0(VALU_DEP_2) | instskip(SKIP_1) | instid1(VALU_DEP_2)
	v_fma_f64 v[7:8], v[35:36], v[37:38], v[7:8]
	s_waitcnt vmcnt(21)
	v_fma_f64 v[9:10], v[39:40], v[37:38], v[9:10]
	s_waitcnt vmcnt(19)
	s_delay_alu instid0(VALU_DEP_2) | instskip(SKIP_1) | instid1(VALU_DEP_2)
	;; [unrolled: 5-line block ×7, first 2 shown]
	v_fma_f64 v[7:8], v[18:19], v[15:16], v[7:8]
	s_waitcnt vmcnt(3)
	v_fma_f64 v[10:11], v[23:24], v[15:16], v[9:10]
	s_waitcnt vmcnt(0)
	s_delay_alu instid0(VALU_DEP_2) | instskip(NEXT) | instid1(VALU_DEP_2)
	v_fma_f64 v[8:9], v[20:21], v[25:26], v[7:8]
	v_fma_f64 v[10:11], v[27:28], v[25:26], v[10:11]
	s_and_not1_b32 exec_lo, exec_lo, s2
	s_cbranch_execnz .LBB125_15
; %bb.16:
	s_or_b32 exec_lo, exec_lo, s2
.LBB125_17:
	s_delay_alu instid0(SALU_CYCLE_1)
	s_or_b32 exec_lo, exec_lo, s3
.LBB125_18:
	v_mbcnt_lo_u32_b32 v14, -1, 0
	s_delay_alu instid0(VALU_DEP_1) | instskip(NEXT) | instid1(VALU_DEP_1)
	v_or_b32_e32 v6, 32, v14
	v_cmp_gt_i32_e32 vcc_lo, 32, v6
	v_cndmask_b32_e32 v6, v14, v6, vcc_lo
	s_delay_alu instid0(VALU_DEP_1)
	v_lshlrev_b32_e32 v13, 2, v6
	ds_bpermute_b32 v6, v13, v8
	ds_bpermute_b32 v7, v13, v9
	;; [unrolled: 1-line block ×4, first 2 shown]
	s_waitcnt lgkmcnt(2)
	v_add_f64 v[6:7], v[8:9], v[6:7]
	s_waitcnt lgkmcnt(0)
	v_add_f64 v[8:9], v[10:11], v[12:13]
	v_xor_b32_e32 v10, 16, v14
	s_delay_alu instid0(VALU_DEP_1) | instskip(SKIP_1) | instid1(VALU_DEP_1)
	v_cmp_gt_i32_e32 vcc_lo, 32, v10
	v_cndmask_b32_e32 v10, v14, v10, vcc_lo
	v_lshlrev_b32_e32 v13, 2, v10
	ds_bpermute_b32 v10, v13, v6
	ds_bpermute_b32 v11, v13, v7
	ds_bpermute_b32 v12, v13, v8
	ds_bpermute_b32 v13, v13, v9
	s_waitcnt lgkmcnt(2)
	v_add_f64 v[6:7], v[6:7], v[10:11]
	v_xor_b32_e32 v10, 8, v14
	s_waitcnt lgkmcnt(0)
	v_add_f64 v[8:9], v[8:9], v[12:13]
	s_delay_alu instid0(VALU_DEP_2) | instskip(SKIP_1) | instid1(VALU_DEP_1)
	v_cmp_gt_i32_e32 vcc_lo, 32, v10
	v_cndmask_b32_e32 v10, v14, v10, vcc_lo
	v_lshlrev_b32_e32 v13, 2, v10
	ds_bpermute_b32 v10, v13, v6
	ds_bpermute_b32 v11, v13, v7
	ds_bpermute_b32 v12, v13, v8
	ds_bpermute_b32 v13, v13, v9
	s_waitcnt lgkmcnt(2)
	v_add_f64 v[6:7], v[6:7], v[10:11]
	v_xor_b32_e32 v10, 4, v14
	s_waitcnt lgkmcnt(0)
	v_add_f64 v[8:9], v[8:9], v[12:13]
	s_delay_alu instid0(VALU_DEP_2) | instskip(SKIP_1) | instid1(VALU_DEP_1)
	;; [unrolled: 13-line block ×3, first 2 shown]
	v_cmp_gt_i32_e32 vcc_lo, 32, v10
	v_cndmask_b32_e32 v10, v14, v10, vcc_lo
	v_lshlrev_b32_e32 v13, 2, v10
	ds_bpermute_b32 v10, v13, v6
	ds_bpermute_b32 v11, v13, v7
	;; [unrolled: 1-line block ×4, first 2 shown]
	s_waitcnt lgkmcnt(2)
	v_add_f64 v[6:7], v[6:7], v[10:11]
	s_waitcnt lgkmcnt(0)
	v_add_f64 v[10:11], v[8:9], v[12:13]
	v_xor_b32_e32 v8, 1, v14
	s_delay_alu instid0(VALU_DEP_1) | instskip(SKIP_2) | instid1(VALU_DEP_2)
	v_cmp_gt_i32_e32 vcc_lo, 32, v8
	v_cndmask_b32_e32 v8, v14, v8, vcc_lo
	v_cmp_eq_u32_e32 vcc_lo, 63, v0
	v_lshlrev_b32_e32 v13, 2, v8
	ds_bpermute_b32 v8, v13, v6
	ds_bpermute_b32 v9, v13, v7
	;; [unrolled: 1-line block ×4, first 2 shown]
	s_and_b32 exec_lo, exec_lo, vcc_lo
	s_cbranch_execz .LBB125_23
; %bb.19:
	s_waitcnt lgkmcnt(2)
	v_add_f64 v[8:9], v[6:7], v[8:9]
	s_waitcnt lgkmcnt(0)
	v_add_f64 v[6:7], v[10:11], v[12:13]
	s_load_b64 s[0:1], s[0:1], 0x38
	s_mov_b32 s2, exec_lo
	v_cmpx_eq_f64_e32 0, v[3:4]
	s_xor_b32 s2, exec_lo, s2
	s_cbranch_execz .LBB125_21
; %bb.20:
	s_delay_alu instid0(VALU_DEP_3) | instskip(NEXT) | instid1(VALU_DEP_3)
	v_mul_f64 v[8:9], v[1:2], v[8:9]
	v_mul_f64 v[10:11], v[1:2], v[6:7]
	v_lshlrev_b32_e32 v0, 1, v5
                                        ; implicit-def: $vgpr5
                                        ; implicit-def: $vgpr3_vgpr4
                                        ; implicit-def: $vgpr6_vgpr7
	s_delay_alu instid0(VALU_DEP_1) | instskip(NEXT) | instid1(VALU_DEP_1)
	v_ashrrev_i32_e32 v1, 31, v0
	v_lshlrev_b64 v[0:1], 3, v[0:1]
	s_waitcnt lgkmcnt(0)
	s_delay_alu instid0(VALU_DEP_1) | instskip(NEXT) | instid1(VALU_DEP_2)
	v_add_co_u32 v0, vcc_lo, s0, v0
	v_add_co_ci_u32_e32 v1, vcc_lo, s1, v1, vcc_lo
	global_store_b128 v[0:1], v[8:11], off
                                        ; implicit-def: $vgpr1_vgpr2
                                        ; implicit-def: $vgpr8_vgpr9
.LBB125_21:
	s_and_not1_saveexec_b32 s2, s2
	s_cbranch_execz .LBB125_23
; %bb.22:
	v_lshlrev_b32_e32 v10, 1, v5
	s_delay_alu instid0(VALU_DEP_4) | instskip(NEXT) | instid1(VALU_DEP_4)
	v_mul_f64 v[8:9], v[1:2], v[8:9]
	v_mul_f64 v[5:6], v[1:2], v[6:7]
	s_delay_alu instid0(VALU_DEP_3) | instskip(NEXT) | instid1(VALU_DEP_1)
	v_ashrrev_i32_e32 v11, 31, v10
	v_lshlrev_b64 v[10:11], 3, v[10:11]
	s_waitcnt lgkmcnt(0)
	s_delay_alu instid0(VALU_DEP_1) | instskip(NEXT) | instid1(VALU_DEP_2)
	v_add_co_u32 v14, vcc_lo, s0, v10
	v_add_co_ci_u32_e32 v15, vcc_lo, s1, v11, vcc_lo
	global_load_b128 v[10:13], v[14:15], off
	s_waitcnt vmcnt(0)
	v_fma_f64 v[0:1], v[3:4], v[10:11], v[8:9]
	v_fma_f64 v[2:3], v[3:4], v[12:13], v[5:6]
	global_store_b128 v[14:15], v[0:3], off
.LBB125_23:
	s_nop 0
	s_sendmsg sendmsg(MSG_DEALLOC_VGPRS)
	s_endpgm
	.section	.rodata,"a",@progbits
	.p2align	6, 0x0
	.amdhsa_kernel _ZN9rocsparseL19gebsrmvn_2xn_kernelILj128ELj11ELj64EdEEvi20rocsparse_direction_NS_24const_host_device_scalarIT2_EEPKiS6_PKS3_S8_S4_PS3_21rocsparse_index_base_b
		.amdhsa_group_segment_fixed_size 0
		.amdhsa_private_segment_fixed_size 0
		.amdhsa_kernarg_size 72
		.amdhsa_user_sgpr_count 15
		.amdhsa_user_sgpr_dispatch_ptr 0
		.amdhsa_user_sgpr_queue_ptr 0
		.amdhsa_user_sgpr_kernarg_segment_ptr 1
		.amdhsa_user_sgpr_dispatch_id 0
		.amdhsa_user_sgpr_private_segment_size 0
		.amdhsa_wavefront_size32 1
		.amdhsa_uses_dynamic_stack 0
		.amdhsa_enable_private_segment 0
		.amdhsa_system_sgpr_workgroup_id_x 1
		.amdhsa_system_sgpr_workgroup_id_y 0
		.amdhsa_system_sgpr_workgroup_id_z 0
		.amdhsa_system_sgpr_workgroup_info 0
		.amdhsa_system_vgpr_workitem_id 0
		.amdhsa_next_free_vgpr 73
		.amdhsa_next_free_sgpr 16
		.amdhsa_reserve_vcc 1
		.amdhsa_float_round_mode_32 0
		.amdhsa_float_round_mode_16_64 0
		.amdhsa_float_denorm_mode_32 3
		.amdhsa_float_denorm_mode_16_64 3
		.amdhsa_dx10_clamp 1
		.amdhsa_ieee_mode 1
		.amdhsa_fp16_overflow 0
		.amdhsa_workgroup_processor_mode 1
		.amdhsa_memory_ordered 1
		.amdhsa_forward_progress 0
		.amdhsa_shared_vgpr_count 0
		.amdhsa_exception_fp_ieee_invalid_op 0
		.amdhsa_exception_fp_denorm_src 0
		.amdhsa_exception_fp_ieee_div_zero 0
		.amdhsa_exception_fp_ieee_overflow 0
		.amdhsa_exception_fp_ieee_underflow 0
		.amdhsa_exception_fp_ieee_inexact 0
		.amdhsa_exception_int_div_zero 0
	.end_amdhsa_kernel
	.section	.text._ZN9rocsparseL19gebsrmvn_2xn_kernelILj128ELj11ELj64EdEEvi20rocsparse_direction_NS_24const_host_device_scalarIT2_EEPKiS6_PKS3_S8_S4_PS3_21rocsparse_index_base_b,"axG",@progbits,_ZN9rocsparseL19gebsrmvn_2xn_kernelILj128ELj11ELj64EdEEvi20rocsparse_direction_NS_24const_host_device_scalarIT2_EEPKiS6_PKS3_S8_S4_PS3_21rocsparse_index_base_b,comdat
.Lfunc_end125:
	.size	_ZN9rocsparseL19gebsrmvn_2xn_kernelILj128ELj11ELj64EdEEvi20rocsparse_direction_NS_24const_host_device_scalarIT2_EEPKiS6_PKS3_S8_S4_PS3_21rocsparse_index_base_b, .Lfunc_end125-_ZN9rocsparseL19gebsrmvn_2xn_kernelILj128ELj11ELj64EdEEvi20rocsparse_direction_NS_24const_host_device_scalarIT2_EEPKiS6_PKS3_S8_S4_PS3_21rocsparse_index_base_b
                                        ; -- End function
	.section	.AMDGPU.csdata,"",@progbits
; Kernel info:
; codeLenInByte = 3776
; NumSgprs: 18
; NumVgprs: 73
; ScratchSize: 0
; MemoryBound: 0
; FloatMode: 240
; IeeeMode: 1
; LDSByteSize: 0 bytes/workgroup (compile time only)
; SGPRBlocks: 2
; VGPRBlocks: 9
; NumSGPRsForWavesPerEU: 18
; NumVGPRsForWavesPerEU: 73
; Occupancy: 16
; WaveLimiterHint : 1
; COMPUTE_PGM_RSRC2:SCRATCH_EN: 0
; COMPUTE_PGM_RSRC2:USER_SGPR: 15
; COMPUTE_PGM_RSRC2:TRAP_HANDLER: 0
; COMPUTE_PGM_RSRC2:TGID_X_EN: 1
; COMPUTE_PGM_RSRC2:TGID_Y_EN: 0
; COMPUTE_PGM_RSRC2:TGID_Z_EN: 0
; COMPUTE_PGM_RSRC2:TIDIG_COMP_CNT: 0
	.section	.text._ZN9rocsparseL19gebsrmvn_2xn_kernelILj128ELj12ELj4EdEEvi20rocsparse_direction_NS_24const_host_device_scalarIT2_EEPKiS6_PKS3_S8_S4_PS3_21rocsparse_index_base_b,"axG",@progbits,_ZN9rocsparseL19gebsrmvn_2xn_kernelILj128ELj12ELj4EdEEvi20rocsparse_direction_NS_24const_host_device_scalarIT2_EEPKiS6_PKS3_S8_S4_PS3_21rocsparse_index_base_b,comdat
	.globl	_ZN9rocsparseL19gebsrmvn_2xn_kernelILj128ELj12ELj4EdEEvi20rocsparse_direction_NS_24const_host_device_scalarIT2_EEPKiS6_PKS3_S8_S4_PS3_21rocsparse_index_base_b ; -- Begin function _ZN9rocsparseL19gebsrmvn_2xn_kernelILj128ELj12ELj4EdEEvi20rocsparse_direction_NS_24const_host_device_scalarIT2_EEPKiS6_PKS3_S8_S4_PS3_21rocsparse_index_base_b
	.p2align	8
	.type	_ZN9rocsparseL19gebsrmvn_2xn_kernelILj128ELj12ELj4EdEEvi20rocsparse_direction_NS_24const_host_device_scalarIT2_EEPKiS6_PKS3_S8_S4_PS3_21rocsparse_index_base_b,@function
_ZN9rocsparseL19gebsrmvn_2xn_kernelILj128ELj12ELj4EdEEvi20rocsparse_direction_NS_24const_host_device_scalarIT2_EEPKiS6_PKS3_S8_S4_PS3_21rocsparse_index_base_b: ; @_ZN9rocsparseL19gebsrmvn_2xn_kernelILj128ELj12ELj4EdEEvi20rocsparse_direction_NS_24const_host_device_scalarIT2_EEPKiS6_PKS3_S8_S4_PS3_21rocsparse_index_base_b
; %bb.0:
	s_clause 0x2
	s_load_b64 s[12:13], s[0:1], 0x40
	s_load_b64 s[4:5], s[0:1], 0x8
	;; [unrolled: 1-line block ×3, first 2 shown]
	s_waitcnt lgkmcnt(0)
	s_bitcmp1_b32 s13, 0
	v_dual_mov_b32 v1, s4 :: v_dual_mov_b32 v2, s5
	s_cselect_b32 s6, -1, 0
	s_delay_alu instid0(SALU_CYCLE_1)
	s_and_b32 vcc_lo, exec_lo, s6
	s_xor_b32 s6, s6, -1
	s_cbranch_vccnz .LBB126_2
; %bb.1:
	v_dual_mov_b32 v1, s4 :: v_dual_mov_b32 v2, s5
	flat_load_b64 v[1:2], v[1:2]
.LBB126_2:
	v_dual_mov_b32 v4, s3 :: v_dual_mov_b32 v3, s2
	s_and_not1_b32 vcc_lo, exec_lo, s6
	s_cbranch_vccnz .LBB126_4
; %bb.3:
	v_dual_mov_b32 v4, s3 :: v_dual_mov_b32 v3, s2
	flat_load_b64 v[3:4], v[3:4]
.LBB126_4:
	s_waitcnt vmcnt(0) lgkmcnt(0)
	v_cmp_neq_f64_e32 vcc_lo, 0, v[1:2]
	v_cmp_neq_f64_e64 s2, 1.0, v[3:4]
	s_delay_alu instid0(VALU_DEP_1) | instskip(NEXT) | instid1(SALU_CYCLE_1)
	s_or_b32 s2, vcc_lo, s2
	s_and_saveexec_b32 s3, s2
	s_cbranch_execz .LBB126_23
; %bb.5:
	s_load_b64 s[2:3], s[0:1], 0x0
	v_lshrrev_b32_e32 v5, 2, v0
	s_delay_alu instid0(VALU_DEP_1) | instskip(SKIP_1) | instid1(VALU_DEP_1)
	v_lshl_or_b32 v5, s15, 5, v5
	s_waitcnt lgkmcnt(0)
	v_cmp_gt_i32_e32 vcc_lo, s2, v5
	s_and_b32 exec_lo, exec_lo, vcc_lo
	s_cbranch_execz .LBB126_23
; %bb.6:
	s_load_b256 s[4:11], s[0:1], 0x10
	v_ashrrev_i32_e32 v6, 31, v5
	v_and_b32_e32 v0, 3, v0
	s_cmp_lg_u32 s3, 0
	s_delay_alu instid0(VALU_DEP_2) | instskip(SKIP_1) | instid1(VALU_DEP_1)
	v_lshlrev_b64 v[6:7], 2, v[5:6]
	s_waitcnt lgkmcnt(0)
	v_add_co_u32 v6, vcc_lo, s4, v6
	s_delay_alu instid0(VALU_DEP_2) | instskip(SKIP_4) | instid1(VALU_DEP_2)
	v_add_co_ci_u32_e32 v7, vcc_lo, s5, v7, vcc_lo
	global_load_b64 v[6:7], v[6:7], off
	s_waitcnt vmcnt(0)
	v_subrev_nc_u32_e32 v6, s12, v6
	v_subrev_nc_u32_e32 v17, s12, v7
	v_add_nc_u32_e32 v6, v6, v0
	s_delay_alu instid0(VALU_DEP_1)
	v_cmp_lt_i32_e64 s2, v6, v17
	s_cbranch_scc0 .LBB126_12
; %bb.7:
	v_mov_b32_e32 v8, 0
	v_mov_b32_e32 v9, 0
	s_delay_alu instid0(VALU_DEP_1)
	v_dual_mov_b32 v11, v9 :: v_dual_mov_b32 v10, v8
	s_and_saveexec_b32 s3, s2
	s_cbranch_execz .LBB126_11
; %bb.8:
	v_dual_mov_b32 v8, 0 :: v_dual_mov_b32 v15, v6
	v_dual_mov_b32 v9, 0 :: v_dual_mov_b32 v14, 0
	v_mad_u64_u32 v[12:13], null, v6, 24, 22
	s_mov_b32 s4, 0
	s_delay_alu instid0(VALU_DEP_2)
	v_dual_mov_b32 v11, v9 :: v_dual_mov_b32 v10, v8
.LBB126_9:                              ; =>This Inner Loop Header: Depth=1
	v_ashrrev_i32_e32 v16, 31, v15
	s_delay_alu instid0(VALU_DEP_3) | instskip(SKIP_1) | instid1(VALU_DEP_3)
	v_subrev_nc_u32_e32 v13, 22, v12
	v_mov_b32_e32 v67, v14
	v_lshlrev_b64 v[18:19], 2, v[15:16]
	v_add_nc_u32_e32 v15, 4, v15
	s_delay_alu instid0(VALU_DEP_2) | instskip(NEXT) | instid1(VALU_DEP_3)
	v_add_co_u32 v18, vcc_lo, s6, v18
	v_add_co_ci_u32_e32 v19, vcc_lo, s7, v19, vcc_lo
	global_load_b32 v7, v[18:19], off
	v_lshlrev_b64 v[18:19], 3, v[13:14]
	v_add_nc_u32_e32 v13, -14, v12
	s_delay_alu instid0(VALU_DEP_1) | instskip(NEXT) | instid1(VALU_DEP_3)
	v_lshlrev_b64 v[42:43], 3, v[13:14]
	v_add_co_u32 v38, vcc_lo, s8, v18
	s_delay_alu instid0(VALU_DEP_4) | instskip(SKIP_2) | instid1(VALU_DEP_1)
	v_add_co_ci_u32_e32 v39, vcc_lo, s9, v19, vcc_lo
	s_waitcnt vmcnt(0)
	v_subrev_nc_u32_e32 v7, s12, v7
	v_mul_lo_u32 v66, v7, 12
	s_delay_alu instid0(VALU_DEP_1) | instskip(SKIP_1) | instid1(VALU_DEP_1)
	v_lshlrev_b64 v[20:21], 3, v[66:67]
	v_add_nc_u32_e32 v13, 4, v66
	v_lshlrev_b64 v[44:45], 3, v[13:14]
	s_delay_alu instid0(VALU_DEP_3) | instskip(NEXT) | instid1(VALU_DEP_4)
	v_add_co_u32 v30, vcc_lo, s10, v20
	v_add_co_ci_u32_e32 v31, vcc_lo, s11, v21, vcc_lo
	s_clause 0x1
	global_load_b128 v[18:21], v[38:39], off offset:16
	global_load_b128 v[22:25], v[38:39], off
	s_clause 0x1
	global_load_b128 v[26:29], v[30:31], off
	global_load_b128 v[30:33], v[30:31], off offset:16
	s_clause 0x1
	global_load_b128 v[34:37], v[38:39], off offset:32
	global_load_b128 v[38:41], v[38:39], off offset:48
	v_add_co_u32 v42, vcc_lo, s8, v42
	v_add_co_ci_u32_e32 v43, vcc_lo, s9, v43, vcc_lo
	v_add_co_u32 v50, vcc_lo, s10, v44
	v_add_co_ci_u32_e32 v51, vcc_lo, s11, v45, vcc_lo
	global_load_b128 v[42:45], v[42:43], off
	s_clause 0x1
	global_load_b128 v[46:49], v[50:51], off
	global_load_b128 v[50:53], v[50:51], off offset:16
	v_add_nc_u32_e32 v13, -12, v12
	s_delay_alu instid0(VALU_DEP_1) | instskip(SKIP_1) | instid1(VALU_DEP_2)
	v_lshlrev_b64 v[54:55], 3, v[13:14]
	v_add_nc_u32_e32 v13, -10, v12
	v_add_co_u32 v54, vcc_lo, s8, v54
	s_delay_alu instid0(VALU_DEP_3) | instskip(NEXT) | instid1(VALU_DEP_3)
	v_add_co_ci_u32_e32 v55, vcc_lo, s9, v55, vcc_lo
	v_lshlrev_b64 v[58:59], 3, v[13:14]
	v_add_nc_u32_e32 v13, -8, v12
	global_load_b128 v[54:57], v[54:55], off
	v_add_co_u32 v58, vcc_lo, s8, v58
	v_add_co_ci_u32_e32 v59, vcc_lo, s9, v59, vcc_lo
	v_lshlrev_b64 v[62:63], 3, v[13:14]
	v_add_nc_u32_e32 v13, -6, v12
	global_load_b128 v[58:61], v[58:59], off
	v_add_co_u32 v62, vcc_lo, s8, v62
	v_add_co_ci_u32_e32 v63, vcc_lo, s9, v63, vcc_lo
	v_lshlrev_b64 v[67:68], 3, v[13:14]
	v_add_nc_u32_e32 v13, 8, v66
	global_load_b128 v[62:65], v[62:63], off
	v_lshlrev_b64 v[69:70], 3, v[13:14]
	v_add_co_u32 v66, vcc_lo, s8, v67
	v_add_co_ci_u32_e32 v67, vcc_lo, s9, v68, vcc_lo
	v_add_nc_u32_e32 v13, -4, v12
	s_delay_alu instid0(VALU_DEP_4)
	v_add_co_u32 v74, vcc_lo, s10, v69
	v_add_co_ci_u32_e32 v75, vcc_lo, s11, v70, vcc_lo
	global_load_b128 v[66:69], v[66:67], off
	s_clause 0x1
	global_load_b128 v[70:73], v[74:75], off
	global_load_b128 v[74:77], v[74:75], off offset:16
	s_waitcnt vmcnt(12)
	v_fma_f64 v[22:23], v[22:23], v[26:27], v[8:9]
	v_fma_f64 v[24:25], v[24:25], v[26:27], v[10:11]
	v_lshlrev_b64 v[7:8], 3, v[13:14]
	v_add_nc_u32_e32 v13, -2, v12
	s_delay_alu instid0(VALU_DEP_2) | instskip(NEXT) | instid1(VALU_DEP_3)
	v_add_co_u32 v7, vcc_lo, s8, v7
	v_add_co_ci_u32_e32 v8, vcc_lo, s9, v8, vcc_lo
	global_load_b128 v[7:10], v[7:8], off
	v_fma_f64 v[22:23], v[18:19], v[28:29], v[22:23]
	v_fma_f64 v[24:25], v[20:21], v[28:29], v[24:25]
	v_lshlrev_b64 v[18:19], 3, v[13:14]
	v_mov_b32_e32 v13, v14
	s_delay_alu instid0(VALU_DEP_2) | instskip(NEXT) | instid1(VALU_DEP_3)
	v_add_co_u32 v18, vcc_lo, s8, v18
	v_add_co_ci_u32_e32 v19, vcc_lo, s9, v19, vcc_lo
	global_load_b128 v[18:21], v[18:19], off
	s_waitcnt vmcnt(12)
	v_fma_f64 v[26:27], v[34:35], v[30:31], v[22:23]
	v_fma_f64 v[28:29], v[36:37], v[30:31], v[24:25]
	v_lshlrev_b64 v[22:23], 3, v[12:13]
	v_add_nc_u32_e32 v12, 0x60, v12
	s_delay_alu instid0(VALU_DEP_2) | instskip(NEXT) | instid1(VALU_DEP_3)
	v_add_co_u32 v22, vcc_lo, s8, v22
	v_add_co_ci_u32_e32 v23, vcc_lo, s9, v23, vcc_lo
	v_cmp_ge_i32_e32 vcc_lo, v15, v17
	global_load_b128 v[22:25], v[22:23], off
	s_or_b32 s4, vcc_lo, s4
	s_waitcnt vmcnt(12)
	v_fma_f64 v[26:27], v[38:39], v[32:33], v[26:27]
	v_fma_f64 v[28:29], v[40:41], v[32:33], v[28:29]
	s_waitcnt vmcnt(10)
	s_delay_alu instid0(VALU_DEP_2) | instskip(NEXT) | instid1(VALU_DEP_2)
	v_fma_f64 v[26:27], v[42:43], v[46:47], v[26:27]
	v_fma_f64 v[28:29], v[44:45], v[46:47], v[28:29]
	s_waitcnt vmcnt(8)
	s_delay_alu instid0(VALU_DEP_2) | instskip(NEXT) | instid1(VALU_DEP_2)
	;; [unrolled: 4-line block ×8, first 2 shown]
	v_fma_f64 v[8:9], v[22:23], v[76:77], v[7:8]
	v_fma_f64 v[10:11], v[24:25], v[76:77], v[10:11]
	s_and_not1_b32 exec_lo, exec_lo, s4
	s_cbranch_execnz .LBB126_9
; %bb.10:
	s_or_b32 exec_lo, exec_lo, s4
.LBB126_11:
	s_delay_alu instid0(SALU_CYCLE_1)
	s_or_b32 exec_lo, exec_lo, s3
	s_cbranch_execz .LBB126_13
	s_branch .LBB126_18
.LBB126_12:
                                        ; implicit-def: $vgpr8_vgpr9
                                        ; implicit-def: $vgpr10_vgpr11
.LBB126_13:
	v_mov_b32_e32 v8, 0
	v_mov_b32_e32 v9, 0
	s_delay_alu instid0(VALU_DEP_1)
	v_dual_mov_b32 v11, v9 :: v_dual_mov_b32 v10, v8
	s_and_saveexec_b32 s3, s2
	s_cbranch_execz .LBB126_17
; %bb.14:
	v_mov_b32_e32 v8, 0
	v_dual_mov_b32 v9, 0 :: v_dual_mov_b32 v14, 0
	v_mad_u64_u32 v[12:13], null, v6, 24, 23
	s_mov_b32 s2, 0
	s_delay_alu instid0(VALU_DEP_2)
	v_dual_mov_b32 v11, v9 :: v_dual_mov_b32 v10, v8
.LBB126_15:                             ; =>This Inner Loop Header: Depth=1
	v_ashrrev_i32_e32 v7, 31, v6
	s_delay_alu instid0(VALU_DEP_3) | instskip(SKIP_1) | instid1(VALU_DEP_3)
	v_subrev_nc_u32_e32 v13, 23, v12
	v_mov_b32_e32 v51, v14
	v_lshlrev_b64 v[15:16], 2, v[6:7]
	v_add_nc_u32_e32 v6, 4, v6
	s_delay_alu instid0(VALU_DEP_4) | instskip(SKIP_1) | instid1(VALU_DEP_4)
	v_lshlrev_b64 v[18:19], 3, v[13:14]
	v_add_nc_u32_e32 v13, -10, v12
	v_add_co_u32 v15, vcc_lo, s6, v15
	v_add_co_ci_u32_e32 v16, vcc_lo, s7, v16, vcc_lo
	s_delay_alu instid0(VALU_DEP_4)
	v_add_co_u32 v38, vcc_lo, s8, v18
	v_add_co_ci_u32_e32 v39, vcc_lo, s9, v19, vcc_lo
	global_load_b32 v7, v[15:16], off
	v_dual_mov_b32 v16, v14 :: v_dual_add_nc_u32 v15, -11, v12
	s_clause 0x1
	global_load_b128 v[18:21], v[38:39], off offset:16
	global_load_b128 v[22:25], v[38:39], off
	v_lshlrev_b64 v[34:35], 3, v[13:14]
	v_add_nc_u32_e32 v13, -9, v12
	v_lshlrev_b64 v[15:16], 3, v[15:16]
	s_delay_alu instid0(VALU_DEP_1) | instskip(NEXT) | instid1(VALU_DEP_2)
	v_add_co_u32 v15, vcc_lo, s8, v15
	v_add_co_ci_u32_e32 v16, vcc_lo, s9, v16, vcc_lo
	global_load_b64 v[15:16], v[15:16], off
	s_waitcnt vmcnt(3)
	v_subrev_nc_u32_e32 v7, s12, v7
	s_delay_alu instid0(VALU_DEP_1) | instskip(NEXT) | instid1(VALU_DEP_1)
	v_mul_lo_u32 v50, v7, 12
	v_lshlrev_b64 v[26:27], 3, v[50:51]
	s_delay_alu instid0(VALU_DEP_1) | instskip(NEXT) | instid1(VALU_DEP_2)
	v_add_co_u32 v30, vcc_lo, s10, v26
	v_add_co_ci_u32_e32 v31, vcc_lo, s11, v27, vcc_lo
	v_add_co_u32 v34, vcc_lo, s8, v34
	s_clause 0x1
	global_load_b128 v[26:29], v[30:31], off
	global_load_b128 v[30:33], v[30:31], off offset:16
	v_add_co_ci_u32_e32 v35, vcc_lo, s9, v35, vcc_lo
	global_load_b64 v[58:59], v[34:35], off
	v_lshlrev_b64 v[34:35], 3, v[13:14]
	v_add_nc_u32_e32 v13, -8, v12
	s_delay_alu instid0(VALU_DEP_2) | instskip(NEXT) | instid1(VALU_DEP_3)
	v_add_co_u32 v34, vcc_lo, s8, v34
	v_add_co_ci_u32_e32 v35, vcc_lo, s9, v35, vcc_lo
	global_load_b64 v[60:61], v[34:35], off
	v_lshlrev_b64 v[34:35], 3, v[13:14]
	v_add_nc_u32_e32 v13, 4, v50
	s_delay_alu instid0(VALU_DEP_2) | instskip(NEXT) | instid1(VALU_DEP_3)
	v_add_co_u32 v34, vcc_lo, s8, v34
	v_add_co_ci_u32_e32 v35, vcc_lo, s9, v35, vcc_lo
	global_load_b64 v[62:63], v[34:35], off
	v_lshlrev_b64 v[34:35], 3, v[13:14]
	v_add_nc_u32_e32 v13, -7, v12
	s_delay_alu instid0(VALU_DEP_1) | instskip(NEXT) | instid1(VALU_DEP_3)
	v_lshlrev_b64 v[36:37], 3, v[13:14]
	v_add_co_u32 v46, vcc_lo, s10, v34
	s_delay_alu instid0(VALU_DEP_4) | instskip(SKIP_1) | instid1(VALU_DEP_4)
	v_add_co_ci_u32_e32 v47, vcc_lo, s11, v35, vcc_lo
	v_add_nc_u32_e32 v13, -6, v12
	v_add_co_u32 v51, vcc_lo, s8, v36
	v_add_co_ci_u32_e32 v52, vcc_lo, s9, v37, vcc_lo
	s_clause 0x1
	global_load_b128 v[34:37], v[38:39], off offset:48
	global_load_b128 v[38:41], v[38:39], off offset:32
	s_clause 0x1
	global_load_b128 v[42:45], v[46:47], off offset:16
	global_load_b128 v[46:49], v[46:47], off
	global_load_b64 v[64:65], v[51:52], off
	v_lshlrev_b64 v[51:52], 3, v[13:14]
	v_add_nc_u32_e32 v13, -5, v12
	s_delay_alu instid0(VALU_DEP_2) | instskip(NEXT) | instid1(VALU_DEP_3)
	v_add_co_u32 v51, vcc_lo, s8, v51
	v_add_co_ci_u32_e32 v52, vcc_lo, s9, v52, vcc_lo
	global_load_b64 v[66:67], v[51:52], off
	v_lshlrev_b64 v[51:52], 3, v[13:14]
	v_add_nc_u32_e32 v13, -4, v12
	s_delay_alu instid0(VALU_DEP_2) | instskip(NEXT) | instid1(VALU_DEP_3)
	v_add_co_u32 v51, vcc_lo, s8, v51
	v_add_co_ci_u32_e32 v52, vcc_lo, s9, v52, vcc_lo
	;; [unrolled: 6-line block ×3, first 2 shown]
	global_load_b64 v[70:71], v[51:52], off
	v_lshlrev_b64 v[51:52], 3, v[13:14]
	v_add_nc_u32_e32 v13, 8, v50
	s_delay_alu instid0(VALU_DEP_1) | instskip(SKIP_1) | instid1(VALU_DEP_4)
	v_lshlrev_b64 v[53:54], 3, v[13:14]
	v_add_nc_u32_e32 v13, -3, v12
	v_add_co_u32 v50, vcc_lo, s8, v51
	v_add_co_ci_u32_e32 v51, vcc_lo, s9, v52, vcc_lo
	s_delay_alu instid0(VALU_DEP_3) | instskip(SKIP_3) | instid1(VALU_DEP_4)
	v_lshlrev_b64 v[55:56], 3, v[13:14]
	v_add_co_u32 v72, vcc_lo, s10, v53
	v_add_co_ci_u32_e32 v73, vcc_lo, s11, v54, vcc_lo
	v_add_nc_u32_e32 v13, -14, v12
	v_add_co_u32 v74, vcc_lo, s8, v55
	v_add_co_ci_u32_e32 v75, vcc_lo, s9, v56, vcc_lo
	global_load_b64 v[76:77], v[50:51], off
	s_clause 0x1
	global_load_b128 v[50:53], v[72:73], off offset:16
	global_load_b128 v[54:57], v[72:73], off
	global_load_b64 v[72:73], v[74:75], off
	s_waitcnt vmcnt(16)
	v_fma_f64 v[7:8], v[22:23], v[26:27], v[8:9]
	v_fma_f64 v[9:10], v[15:16], v[26:27], v[10:11]
	v_lshlrev_b64 v[15:16], 3, v[13:14]
	v_add_nc_u32_e32 v13, -2, v12
	s_delay_alu instid0(VALU_DEP_1) | instskip(NEXT) | instid1(VALU_DEP_3)
	v_lshlrev_b64 v[22:23], 3, v[13:14]
	v_add_co_u32 v15, vcc_lo, s8, v15
	s_delay_alu instid0(VALU_DEP_4) | instskip(SKIP_1) | instid1(VALU_DEP_4)
	v_add_co_ci_u32_e32 v16, vcc_lo, s9, v16, vcc_lo
	v_add_nc_u32_e32 v13, -13, v12
	v_add_co_u32 v22, vcc_lo, s8, v22
	v_add_co_ci_u32_e32 v23, vcc_lo, s9, v23, vcc_lo
	s_clause 0x1
	global_load_b64 v[15:16], v[15:16], off
	global_load_b64 v[22:23], v[22:23], off
	v_fma_f64 v[7:8], v[24:25], v[28:29], v[7:8]
	s_waitcnt vmcnt(16)
	v_fma_f64 v[9:10], v[58:59], v[28:29], v[9:10]
	v_lshlrev_b64 v[24:25], 3, v[13:14]
	v_add_nc_u32_e32 v13, -1, v12
	s_delay_alu instid0(VALU_DEP_1) | instskip(NEXT) | instid1(VALU_DEP_3)
	v_lshlrev_b64 v[26:27], 3, v[13:14]
	v_add_co_u32 v24, vcc_lo, s8, v24
	s_delay_alu instid0(VALU_DEP_4) | instskip(SKIP_1) | instid1(VALU_DEP_4)
	v_add_co_ci_u32_e32 v25, vcc_lo, s9, v25, vcc_lo
	v_mov_b32_e32 v13, v14
	v_add_co_u32 v26, vcc_lo, s8, v26
	v_add_co_ci_u32_e32 v27, vcc_lo, s9, v27, vcc_lo
	s_clause 0x1
	global_load_b64 v[24:25], v[24:25], off
	global_load_b64 v[26:27], v[26:27], off
	v_fma_f64 v[7:8], v[18:19], v[30:31], v[7:8]
	s_waitcnt vmcnt(17)
	v_fma_f64 v[9:10], v[60:61], v[30:31], v[9:10]
	v_lshlrev_b64 v[18:19], 3, v[12:13]
	v_add_nc_u32_e32 v13, -12, v12
	v_add_nc_u32_e32 v12, 0x60, v12
	s_delay_alu instid0(VALU_DEP_2) | instskip(NEXT) | instid1(VALU_DEP_4)
	v_lshlrev_b64 v[28:29], 3, v[13:14]
	v_add_co_u32 v18, vcc_lo, s8, v18
	v_add_co_ci_u32_e32 v19, vcc_lo, s9, v19, vcc_lo
	s_delay_alu instid0(VALU_DEP_3) | instskip(NEXT) | instid1(VALU_DEP_4)
	v_add_co_u32 v28, vcc_lo, s8, v28
	v_add_co_ci_u32_e32 v29, vcc_lo, s9, v29, vcc_lo
	s_clause 0x1
	global_load_b64 v[28:29], v[28:29], off
	global_load_b64 v[18:19], v[18:19], off
	v_cmp_ge_i32_e32 vcc_lo, v6, v17
	s_or_b32 s2, vcc_lo, s2
	v_fma_f64 v[7:8], v[20:21], v[32:33], v[7:8]
	s_waitcnt vmcnt(18)
	v_fma_f64 v[9:10], v[62:63], v[32:33], v[9:10]
	s_waitcnt vmcnt(14)
	s_delay_alu instid0(VALU_DEP_2) | instskip(SKIP_1) | instid1(VALU_DEP_2)
	v_fma_f64 v[7:8], v[38:39], v[46:47], v[7:8]
	s_waitcnt vmcnt(13)
	v_fma_f64 v[9:10], v[64:65], v[46:47], v[9:10]
	s_delay_alu instid0(VALU_DEP_2) | instskip(SKIP_1) | instid1(VALU_DEP_2)
	v_fma_f64 v[7:8], v[40:41], v[48:49], v[7:8]
	s_waitcnt vmcnt(12)
	v_fma_f64 v[9:10], v[66:67], v[48:49], v[9:10]
	;; [unrolled: 4-line block ×4, first 2 shown]
	s_waitcnt vmcnt(7)
	s_delay_alu instid0(VALU_DEP_2) | instskip(SKIP_1) | instid1(VALU_DEP_2)
	v_fma_f64 v[7:8], v[76:77], v[54:55], v[7:8]
	s_waitcnt vmcnt(6)
	v_fma_f64 v[9:10], v[72:73], v[54:55], v[9:10]
	s_waitcnt vmcnt(5)
	s_delay_alu instid0(VALU_DEP_2) | instskip(SKIP_1) | instid1(VALU_DEP_2)
	v_fma_f64 v[7:8], v[15:16], v[56:57], v[7:8]
	s_waitcnt vmcnt(4)
	v_fma_f64 v[9:10], v[22:23], v[56:57], v[9:10]
	;; [unrolled: 5-line block ×4, first 2 shown]
	s_and_not1_b32 exec_lo, exec_lo, s2
	s_cbranch_execnz .LBB126_15
; %bb.16:
	s_or_b32 exec_lo, exec_lo, s2
.LBB126_17:
	s_delay_alu instid0(SALU_CYCLE_1)
	s_or_b32 exec_lo, exec_lo, s3
.LBB126_18:
	v_mbcnt_lo_u32_b32 v14, -1, 0
	s_delay_alu instid0(VALU_DEP_1) | instskip(NEXT) | instid1(VALU_DEP_1)
	v_xor_b32_e32 v6, 2, v14
	v_cmp_gt_i32_e32 vcc_lo, 32, v6
	v_cndmask_b32_e32 v6, v14, v6, vcc_lo
	s_delay_alu instid0(VALU_DEP_1)
	v_lshlrev_b32_e32 v13, 2, v6
	ds_bpermute_b32 v6, v13, v8
	ds_bpermute_b32 v7, v13, v9
	s_waitcnt lgkmcnt(0)
	v_add_f64 v[6:7], v[8:9], v[6:7]
	v_xor_b32_e32 v8, 1, v14
	s_delay_alu instid0(VALU_DEP_1)
	v_cmp_gt_i32_e32 vcc_lo, 32, v8
	v_cndmask_b32_e32 v8, v14, v8, vcc_lo
	ds_bpermute_b32 v12, v13, v10
	ds_bpermute_b32 v13, v13, v11
	v_cmp_eq_u32_e32 vcc_lo, 3, v0
	s_waitcnt lgkmcnt(0)
	v_add_f64 v[10:11], v[10:11], v[12:13]
	v_lshlrev_b32_e32 v13, 2, v8
	ds_bpermute_b32 v8, v13, v6
	ds_bpermute_b32 v9, v13, v7
	;; [unrolled: 1-line block ×4, first 2 shown]
	s_and_b32 exec_lo, exec_lo, vcc_lo
	s_cbranch_execz .LBB126_23
; %bb.19:
	s_waitcnt lgkmcnt(2)
	v_add_f64 v[8:9], v[6:7], v[8:9]
	s_waitcnt lgkmcnt(0)
	v_add_f64 v[6:7], v[10:11], v[12:13]
	s_load_b64 s[0:1], s[0:1], 0x38
	s_mov_b32 s2, exec_lo
	v_cmpx_eq_f64_e32 0, v[3:4]
	s_xor_b32 s2, exec_lo, s2
	s_cbranch_execz .LBB126_21
; %bb.20:
	s_delay_alu instid0(VALU_DEP_3) | instskip(NEXT) | instid1(VALU_DEP_3)
	v_mul_f64 v[8:9], v[1:2], v[8:9]
	v_mul_f64 v[10:11], v[1:2], v[6:7]
	v_lshlrev_b32_e32 v0, 1, v5
                                        ; implicit-def: $vgpr5
                                        ; implicit-def: $vgpr3_vgpr4
                                        ; implicit-def: $vgpr6_vgpr7
	s_delay_alu instid0(VALU_DEP_1) | instskip(NEXT) | instid1(VALU_DEP_1)
	v_ashrrev_i32_e32 v1, 31, v0
	v_lshlrev_b64 v[0:1], 3, v[0:1]
	s_waitcnt lgkmcnt(0)
	s_delay_alu instid0(VALU_DEP_1) | instskip(NEXT) | instid1(VALU_DEP_2)
	v_add_co_u32 v0, vcc_lo, s0, v0
	v_add_co_ci_u32_e32 v1, vcc_lo, s1, v1, vcc_lo
	global_store_b128 v[0:1], v[8:11], off
                                        ; implicit-def: $vgpr1_vgpr2
                                        ; implicit-def: $vgpr8_vgpr9
.LBB126_21:
	s_and_not1_saveexec_b32 s2, s2
	s_cbranch_execz .LBB126_23
; %bb.22:
	v_lshlrev_b32_e32 v10, 1, v5
	s_delay_alu instid0(VALU_DEP_4) | instskip(NEXT) | instid1(VALU_DEP_4)
	v_mul_f64 v[8:9], v[1:2], v[8:9]
	v_mul_f64 v[5:6], v[1:2], v[6:7]
	s_delay_alu instid0(VALU_DEP_3) | instskip(NEXT) | instid1(VALU_DEP_1)
	v_ashrrev_i32_e32 v11, 31, v10
	v_lshlrev_b64 v[10:11], 3, v[10:11]
	s_waitcnt lgkmcnt(0)
	s_delay_alu instid0(VALU_DEP_1) | instskip(NEXT) | instid1(VALU_DEP_2)
	v_add_co_u32 v14, vcc_lo, s0, v10
	v_add_co_ci_u32_e32 v15, vcc_lo, s1, v11, vcc_lo
	global_load_b128 v[10:13], v[14:15], off
	s_waitcnt vmcnt(0)
	v_fma_f64 v[0:1], v[3:4], v[10:11], v[8:9]
	v_fma_f64 v[2:3], v[3:4], v[12:13], v[5:6]
	global_store_b128 v[14:15], v[0:3], off
.LBB126_23:
	s_nop 0
	s_sendmsg sendmsg(MSG_DEALLOC_VGPRS)
	s_endpgm
	.section	.rodata,"a",@progbits
	.p2align	6, 0x0
	.amdhsa_kernel _ZN9rocsparseL19gebsrmvn_2xn_kernelILj128ELj12ELj4EdEEvi20rocsparse_direction_NS_24const_host_device_scalarIT2_EEPKiS6_PKS3_S8_S4_PS3_21rocsparse_index_base_b
		.amdhsa_group_segment_fixed_size 0
		.amdhsa_private_segment_fixed_size 0
		.amdhsa_kernarg_size 72
		.amdhsa_user_sgpr_count 15
		.amdhsa_user_sgpr_dispatch_ptr 0
		.amdhsa_user_sgpr_queue_ptr 0
		.amdhsa_user_sgpr_kernarg_segment_ptr 1
		.amdhsa_user_sgpr_dispatch_id 0
		.amdhsa_user_sgpr_private_segment_size 0
		.amdhsa_wavefront_size32 1
		.amdhsa_uses_dynamic_stack 0
		.amdhsa_enable_private_segment 0
		.amdhsa_system_sgpr_workgroup_id_x 1
		.amdhsa_system_sgpr_workgroup_id_y 0
		.amdhsa_system_sgpr_workgroup_id_z 0
		.amdhsa_system_sgpr_workgroup_info 0
		.amdhsa_system_vgpr_workitem_id 0
		.amdhsa_next_free_vgpr 78
		.amdhsa_next_free_sgpr 16
		.amdhsa_reserve_vcc 1
		.amdhsa_float_round_mode_32 0
		.amdhsa_float_round_mode_16_64 0
		.amdhsa_float_denorm_mode_32 3
		.amdhsa_float_denorm_mode_16_64 3
		.amdhsa_dx10_clamp 1
		.amdhsa_ieee_mode 1
		.amdhsa_fp16_overflow 0
		.amdhsa_workgroup_processor_mode 1
		.amdhsa_memory_ordered 1
		.amdhsa_forward_progress 0
		.amdhsa_shared_vgpr_count 0
		.amdhsa_exception_fp_ieee_invalid_op 0
		.amdhsa_exception_fp_denorm_src 0
		.amdhsa_exception_fp_ieee_div_zero 0
		.amdhsa_exception_fp_ieee_overflow 0
		.amdhsa_exception_fp_ieee_underflow 0
		.amdhsa_exception_fp_ieee_inexact 0
		.amdhsa_exception_int_div_zero 0
	.end_amdhsa_kernel
	.section	.text._ZN9rocsparseL19gebsrmvn_2xn_kernelILj128ELj12ELj4EdEEvi20rocsparse_direction_NS_24const_host_device_scalarIT2_EEPKiS6_PKS3_S8_S4_PS3_21rocsparse_index_base_b,"axG",@progbits,_ZN9rocsparseL19gebsrmvn_2xn_kernelILj128ELj12ELj4EdEEvi20rocsparse_direction_NS_24const_host_device_scalarIT2_EEPKiS6_PKS3_S8_S4_PS3_21rocsparse_index_base_b,comdat
.Lfunc_end126:
	.size	_ZN9rocsparseL19gebsrmvn_2xn_kernelILj128ELj12ELj4EdEEvi20rocsparse_direction_NS_24const_host_device_scalarIT2_EEPKiS6_PKS3_S8_S4_PS3_21rocsparse_index_base_b, .Lfunc_end126-_ZN9rocsparseL19gebsrmvn_2xn_kernelILj128ELj12ELj4EdEEvi20rocsparse_direction_NS_24const_host_device_scalarIT2_EEPKiS6_PKS3_S8_S4_PS3_21rocsparse_index_base_b
                                        ; -- End function
	.section	.AMDGPU.csdata,"",@progbits
; Kernel info:
; codeLenInByte = 2844
; NumSgprs: 18
; NumVgprs: 78
; ScratchSize: 0
; MemoryBound: 1
; FloatMode: 240
; IeeeMode: 1
; LDSByteSize: 0 bytes/workgroup (compile time only)
; SGPRBlocks: 2
; VGPRBlocks: 9
; NumSGPRsForWavesPerEU: 18
; NumVGPRsForWavesPerEU: 78
; Occupancy: 16
; WaveLimiterHint : 1
; COMPUTE_PGM_RSRC2:SCRATCH_EN: 0
; COMPUTE_PGM_RSRC2:USER_SGPR: 15
; COMPUTE_PGM_RSRC2:TRAP_HANDLER: 0
; COMPUTE_PGM_RSRC2:TGID_X_EN: 1
; COMPUTE_PGM_RSRC2:TGID_Y_EN: 0
; COMPUTE_PGM_RSRC2:TGID_Z_EN: 0
; COMPUTE_PGM_RSRC2:TIDIG_COMP_CNT: 0
	.section	.text._ZN9rocsparseL19gebsrmvn_2xn_kernelILj128ELj12ELj8EdEEvi20rocsparse_direction_NS_24const_host_device_scalarIT2_EEPKiS6_PKS3_S8_S4_PS3_21rocsparse_index_base_b,"axG",@progbits,_ZN9rocsparseL19gebsrmvn_2xn_kernelILj128ELj12ELj8EdEEvi20rocsparse_direction_NS_24const_host_device_scalarIT2_EEPKiS6_PKS3_S8_S4_PS3_21rocsparse_index_base_b,comdat
	.globl	_ZN9rocsparseL19gebsrmvn_2xn_kernelILj128ELj12ELj8EdEEvi20rocsparse_direction_NS_24const_host_device_scalarIT2_EEPKiS6_PKS3_S8_S4_PS3_21rocsparse_index_base_b ; -- Begin function _ZN9rocsparseL19gebsrmvn_2xn_kernelILj128ELj12ELj8EdEEvi20rocsparse_direction_NS_24const_host_device_scalarIT2_EEPKiS6_PKS3_S8_S4_PS3_21rocsparse_index_base_b
	.p2align	8
	.type	_ZN9rocsparseL19gebsrmvn_2xn_kernelILj128ELj12ELj8EdEEvi20rocsparse_direction_NS_24const_host_device_scalarIT2_EEPKiS6_PKS3_S8_S4_PS3_21rocsparse_index_base_b,@function
_ZN9rocsparseL19gebsrmvn_2xn_kernelILj128ELj12ELj8EdEEvi20rocsparse_direction_NS_24const_host_device_scalarIT2_EEPKiS6_PKS3_S8_S4_PS3_21rocsparse_index_base_b: ; @_ZN9rocsparseL19gebsrmvn_2xn_kernelILj128ELj12ELj8EdEEvi20rocsparse_direction_NS_24const_host_device_scalarIT2_EEPKiS6_PKS3_S8_S4_PS3_21rocsparse_index_base_b
; %bb.0:
	s_clause 0x2
	s_load_b64 s[12:13], s[0:1], 0x40
	s_load_b64 s[4:5], s[0:1], 0x8
	s_load_b64 s[2:3], s[0:1], 0x30
	s_waitcnt lgkmcnt(0)
	s_bitcmp1_b32 s13, 0
	v_dual_mov_b32 v1, s4 :: v_dual_mov_b32 v2, s5
	s_cselect_b32 s6, -1, 0
	s_delay_alu instid0(SALU_CYCLE_1)
	s_and_b32 vcc_lo, exec_lo, s6
	s_xor_b32 s6, s6, -1
	s_cbranch_vccnz .LBB127_2
; %bb.1:
	v_dual_mov_b32 v1, s4 :: v_dual_mov_b32 v2, s5
	flat_load_b64 v[1:2], v[1:2]
.LBB127_2:
	v_dual_mov_b32 v4, s3 :: v_dual_mov_b32 v3, s2
	s_and_not1_b32 vcc_lo, exec_lo, s6
	s_cbranch_vccnz .LBB127_4
; %bb.3:
	v_dual_mov_b32 v4, s3 :: v_dual_mov_b32 v3, s2
	flat_load_b64 v[3:4], v[3:4]
.LBB127_4:
	s_waitcnt vmcnt(0) lgkmcnt(0)
	v_cmp_neq_f64_e32 vcc_lo, 0, v[1:2]
	v_cmp_neq_f64_e64 s2, 1.0, v[3:4]
	s_delay_alu instid0(VALU_DEP_1) | instskip(NEXT) | instid1(SALU_CYCLE_1)
	s_or_b32 s2, vcc_lo, s2
	s_and_saveexec_b32 s3, s2
	s_cbranch_execz .LBB127_23
; %bb.5:
	s_load_b64 s[2:3], s[0:1], 0x0
	v_lshrrev_b32_e32 v5, 3, v0
	s_delay_alu instid0(VALU_DEP_1) | instskip(SKIP_1) | instid1(VALU_DEP_1)
	v_lshl_or_b32 v5, s15, 4, v5
	s_waitcnt lgkmcnt(0)
	v_cmp_gt_i32_e32 vcc_lo, s2, v5
	s_and_b32 exec_lo, exec_lo, vcc_lo
	s_cbranch_execz .LBB127_23
; %bb.6:
	s_load_b256 s[4:11], s[0:1], 0x10
	v_ashrrev_i32_e32 v6, 31, v5
	v_and_b32_e32 v0, 7, v0
	s_cmp_lg_u32 s3, 0
	s_delay_alu instid0(VALU_DEP_2) | instskip(SKIP_1) | instid1(VALU_DEP_1)
	v_lshlrev_b64 v[6:7], 2, v[5:6]
	s_waitcnt lgkmcnt(0)
	v_add_co_u32 v6, vcc_lo, s4, v6
	s_delay_alu instid0(VALU_DEP_2) | instskip(SKIP_4) | instid1(VALU_DEP_2)
	v_add_co_ci_u32_e32 v7, vcc_lo, s5, v7, vcc_lo
	global_load_b64 v[6:7], v[6:7], off
	s_waitcnt vmcnt(0)
	v_subrev_nc_u32_e32 v6, s12, v6
	v_subrev_nc_u32_e32 v17, s12, v7
	v_add_nc_u32_e32 v6, v6, v0
	s_delay_alu instid0(VALU_DEP_1)
	v_cmp_lt_i32_e64 s2, v6, v17
	s_cbranch_scc0 .LBB127_12
; %bb.7:
	v_mov_b32_e32 v8, 0
	v_mov_b32_e32 v9, 0
	s_delay_alu instid0(VALU_DEP_1)
	v_dual_mov_b32 v11, v9 :: v_dual_mov_b32 v10, v8
	s_and_saveexec_b32 s3, s2
	s_cbranch_execz .LBB127_11
; %bb.8:
	v_dual_mov_b32 v8, 0 :: v_dual_mov_b32 v15, v6
	v_dual_mov_b32 v9, 0 :: v_dual_mov_b32 v14, 0
	v_mad_u64_u32 v[12:13], null, v6, 24, 22
	s_mov_b32 s4, 0
	s_delay_alu instid0(VALU_DEP_2)
	v_dual_mov_b32 v11, v9 :: v_dual_mov_b32 v10, v8
.LBB127_9:                              ; =>This Inner Loop Header: Depth=1
	v_ashrrev_i32_e32 v16, 31, v15
	s_delay_alu instid0(VALU_DEP_3) | instskip(SKIP_1) | instid1(VALU_DEP_3)
	v_subrev_nc_u32_e32 v13, 22, v12
	v_mov_b32_e32 v67, v14
	v_lshlrev_b64 v[18:19], 2, v[15:16]
	v_add_nc_u32_e32 v15, 8, v15
	s_delay_alu instid0(VALU_DEP_2) | instskip(NEXT) | instid1(VALU_DEP_3)
	v_add_co_u32 v18, vcc_lo, s6, v18
	v_add_co_ci_u32_e32 v19, vcc_lo, s7, v19, vcc_lo
	global_load_b32 v7, v[18:19], off
	v_lshlrev_b64 v[18:19], 3, v[13:14]
	v_add_nc_u32_e32 v13, -14, v12
	s_delay_alu instid0(VALU_DEP_1) | instskip(NEXT) | instid1(VALU_DEP_3)
	v_lshlrev_b64 v[42:43], 3, v[13:14]
	v_add_co_u32 v38, vcc_lo, s8, v18
	s_delay_alu instid0(VALU_DEP_4) | instskip(SKIP_2) | instid1(VALU_DEP_1)
	v_add_co_ci_u32_e32 v39, vcc_lo, s9, v19, vcc_lo
	s_waitcnt vmcnt(0)
	v_subrev_nc_u32_e32 v7, s12, v7
	v_mul_lo_u32 v66, v7, 12
	s_delay_alu instid0(VALU_DEP_1) | instskip(SKIP_1) | instid1(VALU_DEP_1)
	v_lshlrev_b64 v[20:21], 3, v[66:67]
	v_add_nc_u32_e32 v13, 4, v66
	v_lshlrev_b64 v[44:45], 3, v[13:14]
	s_delay_alu instid0(VALU_DEP_3) | instskip(NEXT) | instid1(VALU_DEP_4)
	v_add_co_u32 v30, vcc_lo, s10, v20
	v_add_co_ci_u32_e32 v31, vcc_lo, s11, v21, vcc_lo
	s_clause 0x1
	global_load_b128 v[18:21], v[38:39], off offset:16
	global_load_b128 v[22:25], v[38:39], off
	s_clause 0x1
	global_load_b128 v[26:29], v[30:31], off
	global_load_b128 v[30:33], v[30:31], off offset:16
	s_clause 0x1
	global_load_b128 v[34:37], v[38:39], off offset:32
	global_load_b128 v[38:41], v[38:39], off offset:48
	v_add_co_u32 v42, vcc_lo, s8, v42
	v_add_co_ci_u32_e32 v43, vcc_lo, s9, v43, vcc_lo
	v_add_co_u32 v50, vcc_lo, s10, v44
	v_add_co_ci_u32_e32 v51, vcc_lo, s11, v45, vcc_lo
	global_load_b128 v[42:45], v[42:43], off
	s_clause 0x1
	global_load_b128 v[46:49], v[50:51], off
	global_load_b128 v[50:53], v[50:51], off offset:16
	v_add_nc_u32_e32 v13, -12, v12
	s_delay_alu instid0(VALU_DEP_1) | instskip(SKIP_1) | instid1(VALU_DEP_2)
	v_lshlrev_b64 v[54:55], 3, v[13:14]
	v_add_nc_u32_e32 v13, -10, v12
	v_add_co_u32 v54, vcc_lo, s8, v54
	s_delay_alu instid0(VALU_DEP_3) | instskip(NEXT) | instid1(VALU_DEP_3)
	v_add_co_ci_u32_e32 v55, vcc_lo, s9, v55, vcc_lo
	v_lshlrev_b64 v[58:59], 3, v[13:14]
	v_add_nc_u32_e32 v13, -8, v12
	global_load_b128 v[54:57], v[54:55], off
	v_add_co_u32 v58, vcc_lo, s8, v58
	v_add_co_ci_u32_e32 v59, vcc_lo, s9, v59, vcc_lo
	v_lshlrev_b64 v[62:63], 3, v[13:14]
	v_add_nc_u32_e32 v13, -6, v12
	global_load_b128 v[58:61], v[58:59], off
	v_add_co_u32 v62, vcc_lo, s8, v62
	v_add_co_ci_u32_e32 v63, vcc_lo, s9, v63, vcc_lo
	v_lshlrev_b64 v[67:68], 3, v[13:14]
	v_add_nc_u32_e32 v13, 8, v66
	global_load_b128 v[62:65], v[62:63], off
	v_lshlrev_b64 v[69:70], 3, v[13:14]
	v_add_co_u32 v66, vcc_lo, s8, v67
	v_add_co_ci_u32_e32 v67, vcc_lo, s9, v68, vcc_lo
	v_add_nc_u32_e32 v13, -4, v12
	s_delay_alu instid0(VALU_DEP_4)
	v_add_co_u32 v74, vcc_lo, s10, v69
	v_add_co_ci_u32_e32 v75, vcc_lo, s11, v70, vcc_lo
	global_load_b128 v[66:69], v[66:67], off
	s_clause 0x1
	global_load_b128 v[70:73], v[74:75], off
	global_load_b128 v[74:77], v[74:75], off offset:16
	s_waitcnt vmcnt(12)
	v_fma_f64 v[22:23], v[22:23], v[26:27], v[8:9]
	v_fma_f64 v[24:25], v[24:25], v[26:27], v[10:11]
	v_lshlrev_b64 v[7:8], 3, v[13:14]
	v_add_nc_u32_e32 v13, -2, v12
	s_delay_alu instid0(VALU_DEP_2) | instskip(NEXT) | instid1(VALU_DEP_3)
	v_add_co_u32 v7, vcc_lo, s8, v7
	v_add_co_ci_u32_e32 v8, vcc_lo, s9, v8, vcc_lo
	global_load_b128 v[7:10], v[7:8], off
	v_fma_f64 v[22:23], v[18:19], v[28:29], v[22:23]
	v_fma_f64 v[24:25], v[20:21], v[28:29], v[24:25]
	v_lshlrev_b64 v[18:19], 3, v[13:14]
	v_mov_b32_e32 v13, v14
	s_delay_alu instid0(VALU_DEP_2) | instskip(NEXT) | instid1(VALU_DEP_3)
	v_add_co_u32 v18, vcc_lo, s8, v18
	v_add_co_ci_u32_e32 v19, vcc_lo, s9, v19, vcc_lo
	global_load_b128 v[18:21], v[18:19], off
	s_waitcnt vmcnt(12)
	v_fma_f64 v[26:27], v[34:35], v[30:31], v[22:23]
	v_fma_f64 v[28:29], v[36:37], v[30:31], v[24:25]
	v_lshlrev_b64 v[22:23], 3, v[12:13]
	v_add_nc_u32_e32 v12, 0xc0, v12
	s_delay_alu instid0(VALU_DEP_2) | instskip(NEXT) | instid1(VALU_DEP_3)
	v_add_co_u32 v22, vcc_lo, s8, v22
	v_add_co_ci_u32_e32 v23, vcc_lo, s9, v23, vcc_lo
	v_cmp_ge_i32_e32 vcc_lo, v15, v17
	global_load_b128 v[22:25], v[22:23], off
	s_or_b32 s4, vcc_lo, s4
	s_waitcnt vmcnt(12)
	v_fma_f64 v[26:27], v[38:39], v[32:33], v[26:27]
	v_fma_f64 v[28:29], v[40:41], v[32:33], v[28:29]
	s_waitcnt vmcnt(10)
	s_delay_alu instid0(VALU_DEP_2) | instskip(NEXT) | instid1(VALU_DEP_2)
	v_fma_f64 v[26:27], v[42:43], v[46:47], v[26:27]
	v_fma_f64 v[28:29], v[44:45], v[46:47], v[28:29]
	s_waitcnt vmcnt(8)
	s_delay_alu instid0(VALU_DEP_2) | instskip(NEXT) | instid1(VALU_DEP_2)
	;; [unrolled: 4-line block ×8, first 2 shown]
	v_fma_f64 v[8:9], v[22:23], v[76:77], v[7:8]
	v_fma_f64 v[10:11], v[24:25], v[76:77], v[10:11]
	s_and_not1_b32 exec_lo, exec_lo, s4
	s_cbranch_execnz .LBB127_9
; %bb.10:
	s_or_b32 exec_lo, exec_lo, s4
.LBB127_11:
	s_delay_alu instid0(SALU_CYCLE_1)
	s_or_b32 exec_lo, exec_lo, s3
	s_cbranch_execz .LBB127_13
	s_branch .LBB127_18
.LBB127_12:
                                        ; implicit-def: $vgpr8_vgpr9
                                        ; implicit-def: $vgpr10_vgpr11
.LBB127_13:
	v_mov_b32_e32 v8, 0
	v_mov_b32_e32 v9, 0
	s_delay_alu instid0(VALU_DEP_1)
	v_dual_mov_b32 v11, v9 :: v_dual_mov_b32 v10, v8
	s_and_saveexec_b32 s3, s2
	s_cbranch_execz .LBB127_17
; %bb.14:
	v_mov_b32_e32 v8, 0
	v_dual_mov_b32 v9, 0 :: v_dual_mov_b32 v14, 0
	v_mad_u64_u32 v[12:13], null, v6, 24, 23
	s_mov_b32 s2, 0
	s_delay_alu instid0(VALU_DEP_2)
	v_dual_mov_b32 v11, v9 :: v_dual_mov_b32 v10, v8
.LBB127_15:                             ; =>This Inner Loop Header: Depth=1
	v_ashrrev_i32_e32 v7, 31, v6
	s_delay_alu instid0(VALU_DEP_3) | instskip(SKIP_1) | instid1(VALU_DEP_3)
	v_subrev_nc_u32_e32 v13, 23, v12
	v_mov_b32_e32 v51, v14
	v_lshlrev_b64 v[15:16], 2, v[6:7]
	v_add_nc_u32_e32 v6, 8, v6
	s_delay_alu instid0(VALU_DEP_4) | instskip(SKIP_1) | instid1(VALU_DEP_4)
	v_lshlrev_b64 v[18:19], 3, v[13:14]
	v_add_nc_u32_e32 v13, -10, v12
	v_add_co_u32 v15, vcc_lo, s6, v15
	v_add_co_ci_u32_e32 v16, vcc_lo, s7, v16, vcc_lo
	s_delay_alu instid0(VALU_DEP_4)
	v_add_co_u32 v38, vcc_lo, s8, v18
	v_add_co_ci_u32_e32 v39, vcc_lo, s9, v19, vcc_lo
	global_load_b32 v7, v[15:16], off
	v_dual_mov_b32 v16, v14 :: v_dual_add_nc_u32 v15, -11, v12
	s_clause 0x1
	global_load_b128 v[18:21], v[38:39], off offset:16
	global_load_b128 v[22:25], v[38:39], off
	v_lshlrev_b64 v[34:35], 3, v[13:14]
	v_add_nc_u32_e32 v13, -9, v12
	v_lshlrev_b64 v[15:16], 3, v[15:16]
	s_delay_alu instid0(VALU_DEP_1) | instskip(NEXT) | instid1(VALU_DEP_2)
	v_add_co_u32 v15, vcc_lo, s8, v15
	v_add_co_ci_u32_e32 v16, vcc_lo, s9, v16, vcc_lo
	global_load_b64 v[15:16], v[15:16], off
	s_waitcnt vmcnt(3)
	v_subrev_nc_u32_e32 v7, s12, v7
	s_delay_alu instid0(VALU_DEP_1) | instskip(NEXT) | instid1(VALU_DEP_1)
	v_mul_lo_u32 v50, v7, 12
	v_lshlrev_b64 v[26:27], 3, v[50:51]
	s_delay_alu instid0(VALU_DEP_1) | instskip(NEXT) | instid1(VALU_DEP_2)
	v_add_co_u32 v30, vcc_lo, s10, v26
	v_add_co_ci_u32_e32 v31, vcc_lo, s11, v27, vcc_lo
	v_add_co_u32 v34, vcc_lo, s8, v34
	s_clause 0x1
	global_load_b128 v[26:29], v[30:31], off
	global_load_b128 v[30:33], v[30:31], off offset:16
	v_add_co_ci_u32_e32 v35, vcc_lo, s9, v35, vcc_lo
	global_load_b64 v[58:59], v[34:35], off
	v_lshlrev_b64 v[34:35], 3, v[13:14]
	v_add_nc_u32_e32 v13, -8, v12
	s_delay_alu instid0(VALU_DEP_2) | instskip(NEXT) | instid1(VALU_DEP_3)
	v_add_co_u32 v34, vcc_lo, s8, v34
	v_add_co_ci_u32_e32 v35, vcc_lo, s9, v35, vcc_lo
	global_load_b64 v[60:61], v[34:35], off
	v_lshlrev_b64 v[34:35], 3, v[13:14]
	v_add_nc_u32_e32 v13, 4, v50
	s_delay_alu instid0(VALU_DEP_2) | instskip(NEXT) | instid1(VALU_DEP_3)
	v_add_co_u32 v34, vcc_lo, s8, v34
	v_add_co_ci_u32_e32 v35, vcc_lo, s9, v35, vcc_lo
	global_load_b64 v[62:63], v[34:35], off
	v_lshlrev_b64 v[34:35], 3, v[13:14]
	v_add_nc_u32_e32 v13, -7, v12
	s_delay_alu instid0(VALU_DEP_1) | instskip(NEXT) | instid1(VALU_DEP_3)
	v_lshlrev_b64 v[36:37], 3, v[13:14]
	v_add_co_u32 v46, vcc_lo, s10, v34
	s_delay_alu instid0(VALU_DEP_4) | instskip(SKIP_1) | instid1(VALU_DEP_4)
	v_add_co_ci_u32_e32 v47, vcc_lo, s11, v35, vcc_lo
	v_add_nc_u32_e32 v13, -6, v12
	v_add_co_u32 v51, vcc_lo, s8, v36
	v_add_co_ci_u32_e32 v52, vcc_lo, s9, v37, vcc_lo
	s_clause 0x1
	global_load_b128 v[34:37], v[38:39], off offset:48
	global_load_b128 v[38:41], v[38:39], off offset:32
	s_clause 0x1
	global_load_b128 v[42:45], v[46:47], off offset:16
	global_load_b128 v[46:49], v[46:47], off
	global_load_b64 v[64:65], v[51:52], off
	v_lshlrev_b64 v[51:52], 3, v[13:14]
	v_add_nc_u32_e32 v13, -5, v12
	s_delay_alu instid0(VALU_DEP_2) | instskip(NEXT) | instid1(VALU_DEP_3)
	v_add_co_u32 v51, vcc_lo, s8, v51
	v_add_co_ci_u32_e32 v52, vcc_lo, s9, v52, vcc_lo
	global_load_b64 v[66:67], v[51:52], off
	v_lshlrev_b64 v[51:52], 3, v[13:14]
	v_add_nc_u32_e32 v13, -4, v12
	s_delay_alu instid0(VALU_DEP_2) | instskip(NEXT) | instid1(VALU_DEP_3)
	v_add_co_u32 v51, vcc_lo, s8, v51
	v_add_co_ci_u32_e32 v52, vcc_lo, s9, v52, vcc_lo
	;; [unrolled: 6-line block ×3, first 2 shown]
	global_load_b64 v[70:71], v[51:52], off
	v_lshlrev_b64 v[51:52], 3, v[13:14]
	v_add_nc_u32_e32 v13, 8, v50
	s_delay_alu instid0(VALU_DEP_1) | instskip(SKIP_1) | instid1(VALU_DEP_4)
	v_lshlrev_b64 v[53:54], 3, v[13:14]
	v_add_nc_u32_e32 v13, -3, v12
	v_add_co_u32 v50, vcc_lo, s8, v51
	v_add_co_ci_u32_e32 v51, vcc_lo, s9, v52, vcc_lo
	s_delay_alu instid0(VALU_DEP_3) | instskip(SKIP_3) | instid1(VALU_DEP_4)
	v_lshlrev_b64 v[55:56], 3, v[13:14]
	v_add_co_u32 v72, vcc_lo, s10, v53
	v_add_co_ci_u32_e32 v73, vcc_lo, s11, v54, vcc_lo
	v_add_nc_u32_e32 v13, -14, v12
	v_add_co_u32 v74, vcc_lo, s8, v55
	v_add_co_ci_u32_e32 v75, vcc_lo, s9, v56, vcc_lo
	global_load_b64 v[76:77], v[50:51], off
	s_clause 0x1
	global_load_b128 v[50:53], v[72:73], off offset:16
	global_load_b128 v[54:57], v[72:73], off
	global_load_b64 v[72:73], v[74:75], off
	s_waitcnt vmcnt(16)
	v_fma_f64 v[7:8], v[22:23], v[26:27], v[8:9]
	v_fma_f64 v[9:10], v[15:16], v[26:27], v[10:11]
	v_lshlrev_b64 v[15:16], 3, v[13:14]
	v_add_nc_u32_e32 v13, -2, v12
	s_delay_alu instid0(VALU_DEP_1) | instskip(NEXT) | instid1(VALU_DEP_3)
	v_lshlrev_b64 v[22:23], 3, v[13:14]
	v_add_co_u32 v15, vcc_lo, s8, v15
	s_delay_alu instid0(VALU_DEP_4) | instskip(SKIP_1) | instid1(VALU_DEP_4)
	v_add_co_ci_u32_e32 v16, vcc_lo, s9, v16, vcc_lo
	v_add_nc_u32_e32 v13, -13, v12
	v_add_co_u32 v22, vcc_lo, s8, v22
	v_add_co_ci_u32_e32 v23, vcc_lo, s9, v23, vcc_lo
	s_clause 0x1
	global_load_b64 v[15:16], v[15:16], off
	global_load_b64 v[22:23], v[22:23], off
	v_fma_f64 v[7:8], v[24:25], v[28:29], v[7:8]
	s_waitcnt vmcnt(16)
	v_fma_f64 v[9:10], v[58:59], v[28:29], v[9:10]
	v_lshlrev_b64 v[24:25], 3, v[13:14]
	v_add_nc_u32_e32 v13, -1, v12
	s_delay_alu instid0(VALU_DEP_1) | instskip(NEXT) | instid1(VALU_DEP_3)
	v_lshlrev_b64 v[26:27], 3, v[13:14]
	v_add_co_u32 v24, vcc_lo, s8, v24
	s_delay_alu instid0(VALU_DEP_4) | instskip(SKIP_1) | instid1(VALU_DEP_4)
	v_add_co_ci_u32_e32 v25, vcc_lo, s9, v25, vcc_lo
	v_mov_b32_e32 v13, v14
	v_add_co_u32 v26, vcc_lo, s8, v26
	v_add_co_ci_u32_e32 v27, vcc_lo, s9, v27, vcc_lo
	s_clause 0x1
	global_load_b64 v[24:25], v[24:25], off
	global_load_b64 v[26:27], v[26:27], off
	v_fma_f64 v[7:8], v[18:19], v[30:31], v[7:8]
	s_waitcnt vmcnt(17)
	v_fma_f64 v[9:10], v[60:61], v[30:31], v[9:10]
	v_lshlrev_b64 v[18:19], 3, v[12:13]
	v_add_nc_u32_e32 v13, -12, v12
	v_add_nc_u32_e32 v12, 0xc0, v12
	s_delay_alu instid0(VALU_DEP_2) | instskip(NEXT) | instid1(VALU_DEP_4)
	v_lshlrev_b64 v[28:29], 3, v[13:14]
	v_add_co_u32 v18, vcc_lo, s8, v18
	v_add_co_ci_u32_e32 v19, vcc_lo, s9, v19, vcc_lo
	s_delay_alu instid0(VALU_DEP_3) | instskip(NEXT) | instid1(VALU_DEP_4)
	v_add_co_u32 v28, vcc_lo, s8, v28
	v_add_co_ci_u32_e32 v29, vcc_lo, s9, v29, vcc_lo
	s_clause 0x1
	global_load_b64 v[28:29], v[28:29], off
	global_load_b64 v[18:19], v[18:19], off
	v_cmp_ge_i32_e32 vcc_lo, v6, v17
	s_or_b32 s2, vcc_lo, s2
	v_fma_f64 v[7:8], v[20:21], v[32:33], v[7:8]
	s_waitcnt vmcnt(18)
	v_fma_f64 v[9:10], v[62:63], v[32:33], v[9:10]
	s_waitcnt vmcnt(14)
	s_delay_alu instid0(VALU_DEP_2) | instskip(SKIP_1) | instid1(VALU_DEP_2)
	v_fma_f64 v[7:8], v[38:39], v[46:47], v[7:8]
	s_waitcnt vmcnt(13)
	v_fma_f64 v[9:10], v[64:65], v[46:47], v[9:10]
	s_delay_alu instid0(VALU_DEP_2) | instskip(SKIP_1) | instid1(VALU_DEP_2)
	v_fma_f64 v[7:8], v[40:41], v[48:49], v[7:8]
	s_waitcnt vmcnt(12)
	v_fma_f64 v[9:10], v[66:67], v[48:49], v[9:10]
	;; [unrolled: 4-line block ×4, first 2 shown]
	s_waitcnt vmcnt(7)
	s_delay_alu instid0(VALU_DEP_2) | instskip(SKIP_1) | instid1(VALU_DEP_2)
	v_fma_f64 v[7:8], v[76:77], v[54:55], v[7:8]
	s_waitcnt vmcnt(6)
	v_fma_f64 v[9:10], v[72:73], v[54:55], v[9:10]
	s_waitcnt vmcnt(5)
	s_delay_alu instid0(VALU_DEP_2) | instskip(SKIP_1) | instid1(VALU_DEP_2)
	v_fma_f64 v[7:8], v[15:16], v[56:57], v[7:8]
	s_waitcnt vmcnt(4)
	v_fma_f64 v[9:10], v[22:23], v[56:57], v[9:10]
	;; [unrolled: 5-line block ×4, first 2 shown]
	s_and_not1_b32 exec_lo, exec_lo, s2
	s_cbranch_execnz .LBB127_15
; %bb.16:
	s_or_b32 exec_lo, exec_lo, s2
.LBB127_17:
	s_delay_alu instid0(SALU_CYCLE_1)
	s_or_b32 exec_lo, exec_lo, s3
.LBB127_18:
	v_mbcnt_lo_u32_b32 v14, -1, 0
	s_delay_alu instid0(VALU_DEP_1) | instskip(NEXT) | instid1(VALU_DEP_1)
	v_xor_b32_e32 v6, 4, v14
	v_cmp_gt_i32_e32 vcc_lo, 32, v6
	v_cndmask_b32_e32 v6, v14, v6, vcc_lo
	s_delay_alu instid0(VALU_DEP_1)
	v_lshlrev_b32_e32 v13, 2, v6
	ds_bpermute_b32 v6, v13, v8
	ds_bpermute_b32 v7, v13, v9
	;; [unrolled: 1-line block ×4, first 2 shown]
	s_waitcnt lgkmcnt(2)
	v_add_f64 v[6:7], v[8:9], v[6:7]
	s_waitcnt lgkmcnt(0)
	v_add_f64 v[8:9], v[10:11], v[12:13]
	v_xor_b32_e32 v10, 2, v14
	s_delay_alu instid0(VALU_DEP_1) | instskip(SKIP_1) | instid1(VALU_DEP_1)
	v_cmp_gt_i32_e32 vcc_lo, 32, v10
	v_cndmask_b32_e32 v10, v14, v10, vcc_lo
	v_lshlrev_b32_e32 v13, 2, v10
	ds_bpermute_b32 v10, v13, v6
	ds_bpermute_b32 v11, v13, v7
	;; [unrolled: 1-line block ×4, first 2 shown]
	s_waitcnt lgkmcnt(2)
	v_add_f64 v[6:7], v[6:7], v[10:11]
	s_waitcnt lgkmcnt(0)
	v_add_f64 v[10:11], v[8:9], v[12:13]
	v_xor_b32_e32 v8, 1, v14
	s_delay_alu instid0(VALU_DEP_1) | instskip(SKIP_2) | instid1(VALU_DEP_2)
	v_cmp_gt_i32_e32 vcc_lo, 32, v8
	v_cndmask_b32_e32 v8, v14, v8, vcc_lo
	v_cmp_eq_u32_e32 vcc_lo, 7, v0
	v_lshlrev_b32_e32 v13, 2, v8
	ds_bpermute_b32 v8, v13, v6
	ds_bpermute_b32 v9, v13, v7
	;; [unrolled: 1-line block ×4, first 2 shown]
	s_and_b32 exec_lo, exec_lo, vcc_lo
	s_cbranch_execz .LBB127_23
; %bb.19:
	s_waitcnt lgkmcnt(2)
	v_add_f64 v[8:9], v[6:7], v[8:9]
	s_waitcnt lgkmcnt(0)
	v_add_f64 v[6:7], v[10:11], v[12:13]
	s_load_b64 s[0:1], s[0:1], 0x38
	s_mov_b32 s2, exec_lo
	v_cmpx_eq_f64_e32 0, v[3:4]
	s_xor_b32 s2, exec_lo, s2
	s_cbranch_execz .LBB127_21
; %bb.20:
	s_delay_alu instid0(VALU_DEP_3) | instskip(NEXT) | instid1(VALU_DEP_3)
	v_mul_f64 v[8:9], v[1:2], v[8:9]
	v_mul_f64 v[10:11], v[1:2], v[6:7]
	v_lshlrev_b32_e32 v0, 1, v5
                                        ; implicit-def: $vgpr5
                                        ; implicit-def: $vgpr3_vgpr4
                                        ; implicit-def: $vgpr6_vgpr7
	s_delay_alu instid0(VALU_DEP_1) | instskip(NEXT) | instid1(VALU_DEP_1)
	v_ashrrev_i32_e32 v1, 31, v0
	v_lshlrev_b64 v[0:1], 3, v[0:1]
	s_waitcnt lgkmcnt(0)
	s_delay_alu instid0(VALU_DEP_1) | instskip(NEXT) | instid1(VALU_DEP_2)
	v_add_co_u32 v0, vcc_lo, s0, v0
	v_add_co_ci_u32_e32 v1, vcc_lo, s1, v1, vcc_lo
	global_store_b128 v[0:1], v[8:11], off
                                        ; implicit-def: $vgpr1_vgpr2
                                        ; implicit-def: $vgpr8_vgpr9
.LBB127_21:
	s_and_not1_saveexec_b32 s2, s2
	s_cbranch_execz .LBB127_23
; %bb.22:
	v_lshlrev_b32_e32 v10, 1, v5
	s_delay_alu instid0(VALU_DEP_4) | instskip(NEXT) | instid1(VALU_DEP_4)
	v_mul_f64 v[8:9], v[1:2], v[8:9]
	v_mul_f64 v[5:6], v[1:2], v[6:7]
	s_delay_alu instid0(VALU_DEP_3) | instskip(NEXT) | instid1(VALU_DEP_1)
	v_ashrrev_i32_e32 v11, 31, v10
	v_lshlrev_b64 v[10:11], 3, v[10:11]
	s_waitcnt lgkmcnt(0)
	s_delay_alu instid0(VALU_DEP_1) | instskip(NEXT) | instid1(VALU_DEP_2)
	v_add_co_u32 v14, vcc_lo, s0, v10
	v_add_co_ci_u32_e32 v15, vcc_lo, s1, v11, vcc_lo
	global_load_b128 v[10:13], v[14:15], off
	s_waitcnt vmcnt(0)
	v_fma_f64 v[0:1], v[3:4], v[10:11], v[8:9]
	v_fma_f64 v[2:3], v[3:4], v[12:13], v[5:6]
	global_store_b128 v[14:15], v[0:3], off
.LBB127_23:
	s_nop 0
	s_sendmsg sendmsg(MSG_DEALLOC_VGPRS)
	s_endpgm
	.section	.rodata,"a",@progbits
	.p2align	6, 0x0
	.amdhsa_kernel _ZN9rocsparseL19gebsrmvn_2xn_kernelILj128ELj12ELj8EdEEvi20rocsparse_direction_NS_24const_host_device_scalarIT2_EEPKiS6_PKS3_S8_S4_PS3_21rocsparse_index_base_b
		.amdhsa_group_segment_fixed_size 0
		.amdhsa_private_segment_fixed_size 0
		.amdhsa_kernarg_size 72
		.amdhsa_user_sgpr_count 15
		.amdhsa_user_sgpr_dispatch_ptr 0
		.amdhsa_user_sgpr_queue_ptr 0
		.amdhsa_user_sgpr_kernarg_segment_ptr 1
		.amdhsa_user_sgpr_dispatch_id 0
		.amdhsa_user_sgpr_private_segment_size 0
		.amdhsa_wavefront_size32 1
		.amdhsa_uses_dynamic_stack 0
		.amdhsa_enable_private_segment 0
		.amdhsa_system_sgpr_workgroup_id_x 1
		.amdhsa_system_sgpr_workgroup_id_y 0
		.amdhsa_system_sgpr_workgroup_id_z 0
		.amdhsa_system_sgpr_workgroup_info 0
		.amdhsa_system_vgpr_workitem_id 0
		.amdhsa_next_free_vgpr 78
		.amdhsa_next_free_sgpr 16
		.amdhsa_reserve_vcc 1
		.amdhsa_float_round_mode_32 0
		.amdhsa_float_round_mode_16_64 0
		.amdhsa_float_denorm_mode_32 3
		.amdhsa_float_denorm_mode_16_64 3
		.amdhsa_dx10_clamp 1
		.amdhsa_ieee_mode 1
		.amdhsa_fp16_overflow 0
		.amdhsa_workgroup_processor_mode 1
		.amdhsa_memory_ordered 1
		.amdhsa_forward_progress 0
		.amdhsa_shared_vgpr_count 0
		.amdhsa_exception_fp_ieee_invalid_op 0
		.amdhsa_exception_fp_denorm_src 0
		.amdhsa_exception_fp_ieee_div_zero 0
		.amdhsa_exception_fp_ieee_overflow 0
		.amdhsa_exception_fp_ieee_underflow 0
		.amdhsa_exception_fp_ieee_inexact 0
		.amdhsa_exception_int_div_zero 0
	.end_amdhsa_kernel
	.section	.text._ZN9rocsparseL19gebsrmvn_2xn_kernelILj128ELj12ELj8EdEEvi20rocsparse_direction_NS_24const_host_device_scalarIT2_EEPKiS6_PKS3_S8_S4_PS3_21rocsparse_index_base_b,"axG",@progbits,_ZN9rocsparseL19gebsrmvn_2xn_kernelILj128ELj12ELj8EdEEvi20rocsparse_direction_NS_24const_host_device_scalarIT2_EEPKiS6_PKS3_S8_S4_PS3_21rocsparse_index_base_b,comdat
.Lfunc_end127:
	.size	_ZN9rocsparseL19gebsrmvn_2xn_kernelILj128ELj12ELj8EdEEvi20rocsparse_direction_NS_24const_host_device_scalarIT2_EEPKiS6_PKS3_S8_S4_PS3_21rocsparse_index_base_b, .Lfunc_end127-_ZN9rocsparseL19gebsrmvn_2xn_kernelILj128ELj12ELj8EdEEvi20rocsparse_direction_NS_24const_host_device_scalarIT2_EEPKiS6_PKS3_S8_S4_PS3_21rocsparse_index_base_b
                                        ; -- End function
	.section	.AMDGPU.csdata,"",@progbits
; Kernel info:
; codeLenInByte = 2920
; NumSgprs: 18
; NumVgprs: 78
; ScratchSize: 0
; MemoryBound: 1
; FloatMode: 240
; IeeeMode: 1
; LDSByteSize: 0 bytes/workgroup (compile time only)
; SGPRBlocks: 2
; VGPRBlocks: 9
; NumSGPRsForWavesPerEU: 18
; NumVGPRsForWavesPerEU: 78
; Occupancy: 16
; WaveLimiterHint : 1
; COMPUTE_PGM_RSRC2:SCRATCH_EN: 0
; COMPUTE_PGM_RSRC2:USER_SGPR: 15
; COMPUTE_PGM_RSRC2:TRAP_HANDLER: 0
; COMPUTE_PGM_RSRC2:TGID_X_EN: 1
; COMPUTE_PGM_RSRC2:TGID_Y_EN: 0
; COMPUTE_PGM_RSRC2:TGID_Z_EN: 0
; COMPUTE_PGM_RSRC2:TIDIG_COMP_CNT: 0
	.section	.text._ZN9rocsparseL19gebsrmvn_2xn_kernelILj128ELj12ELj16EdEEvi20rocsparse_direction_NS_24const_host_device_scalarIT2_EEPKiS6_PKS3_S8_S4_PS3_21rocsparse_index_base_b,"axG",@progbits,_ZN9rocsparseL19gebsrmvn_2xn_kernelILj128ELj12ELj16EdEEvi20rocsparse_direction_NS_24const_host_device_scalarIT2_EEPKiS6_PKS3_S8_S4_PS3_21rocsparse_index_base_b,comdat
	.globl	_ZN9rocsparseL19gebsrmvn_2xn_kernelILj128ELj12ELj16EdEEvi20rocsparse_direction_NS_24const_host_device_scalarIT2_EEPKiS6_PKS3_S8_S4_PS3_21rocsparse_index_base_b ; -- Begin function _ZN9rocsparseL19gebsrmvn_2xn_kernelILj128ELj12ELj16EdEEvi20rocsparse_direction_NS_24const_host_device_scalarIT2_EEPKiS6_PKS3_S8_S4_PS3_21rocsparse_index_base_b
	.p2align	8
	.type	_ZN9rocsparseL19gebsrmvn_2xn_kernelILj128ELj12ELj16EdEEvi20rocsparse_direction_NS_24const_host_device_scalarIT2_EEPKiS6_PKS3_S8_S4_PS3_21rocsparse_index_base_b,@function
_ZN9rocsparseL19gebsrmvn_2xn_kernelILj128ELj12ELj16EdEEvi20rocsparse_direction_NS_24const_host_device_scalarIT2_EEPKiS6_PKS3_S8_S4_PS3_21rocsparse_index_base_b: ; @_ZN9rocsparseL19gebsrmvn_2xn_kernelILj128ELj12ELj16EdEEvi20rocsparse_direction_NS_24const_host_device_scalarIT2_EEPKiS6_PKS3_S8_S4_PS3_21rocsparse_index_base_b
; %bb.0:
	s_clause 0x2
	s_load_b64 s[12:13], s[0:1], 0x40
	s_load_b64 s[4:5], s[0:1], 0x8
	;; [unrolled: 1-line block ×3, first 2 shown]
	s_waitcnt lgkmcnt(0)
	s_bitcmp1_b32 s13, 0
	v_dual_mov_b32 v1, s4 :: v_dual_mov_b32 v2, s5
	s_cselect_b32 s6, -1, 0
	s_delay_alu instid0(SALU_CYCLE_1)
	s_and_b32 vcc_lo, exec_lo, s6
	s_xor_b32 s6, s6, -1
	s_cbranch_vccnz .LBB128_2
; %bb.1:
	v_dual_mov_b32 v1, s4 :: v_dual_mov_b32 v2, s5
	flat_load_b64 v[1:2], v[1:2]
.LBB128_2:
	v_dual_mov_b32 v4, s3 :: v_dual_mov_b32 v3, s2
	s_and_not1_b32 vcc_lo, exec_lo, s6
	s_cbranch_vccnz .LBB128_4
; %bb.3:
	v_dual_mov_b32 v4, s3 :: v_dual_mov_b32 v3, s2
	flat_load_b64 v[3:4], v[3:4]
.LBB128_4:
	s_waitcnt vmcnt(0) lgkmcnt(0)
	v_cmp_neq_f64_e32 vcc_lo, 0, v[1:2]
	v_cmp_neq_f64_e64 s2, 1.0, v[3:4]
	s_delay_alu instid0(VALU_DEP_1) | instskip(NEXT) | instid1(SALU_CYCLE_1)
	s_or_b32 s2, vcc_lo, s2
	s_and_saveexec_b32 s3, s2
	s_cbranch_execz .LBB128_23
; %bb.5:
	s_load_b64 s[2:3], s[0:1], 0x0
	v_lshrrev_b32_e32 v5, 4, v0
	s_delay_alu instid0(VALU_DEP_1) | instskip(SKIP_1) | instid1(VALU_DEP_1)
	v_lshl_or_b32 v5, s15, 3, v5
	s_waitcnt lgkmcnt(0)
	v_cmp_gt_i32_e32 vcc_lo, s2, v5
	s_and_b32 exec_lo, exec_lo, vcc_lo
	s_cbranch_execz .LBB128_23
; %bb.6:
	s_load_b256 s[4:11], s[0:1], 0x10
	v_ashrrev_i32_e32 v6, 31, v5
	v_and_b32_e32 v0, 15, v0
	s_cmp_lg_u32 s3, 0
	s_delay_alu instid0(VALU_DEP_2) | instskip(SKIP_1) | instid1(VALU_DEP_1)
	v_lshlrev_b64 v[6:7], 2, v[5:6]
	s_waitcnt lgkmcnt(0)
	v_add_co_u32 v6, vcc_lo, s4, v6
	s_delay_alu instid0(VALU_DEP_2) | instskip(SKIP_4) | instid1(VALU_DEP_2)
	v_add_co_ci_u32_e32 v7, vcc_lo, s5, v7, vcc_lo
	global_load_b64 v[6:7], v[6:7], off
	s_waitcnt vmcnt(0)
	v_subrev_nc_u32_e32 v6, s12, v6
	v_subrev_nc_u32_e32 v17, s12, v7
	v_add_nc_u32_e32 v6, v6, v0
	s_delay_alu instid0(VALU_DEP_1)
	v_cmp_lt_i32_e64 s2, v6, v17
	s_cbranch_scc0 .LBB128_12
; %bb.7:
	v_mov_b32_e32 v8, 0
	v_mov_b32_e32 v9, 0
	s_delay_alu instid0(VALU_DEP_1)
	v_dual_mov_b32 v11, v9 :: v_dual_mov_b32 v10, v8
	s_and_saveexec_b32 s3, s2
	s_cbranch_execz .LBB128_11
; %bb.8:
	v_dual_mov_b32 v8, 0 :: v_dual_mov_b32 v15, v6
	v_dual_mov_b32 v9, 0 :: v_dual_mov_b32 v14, 0
	v_mad_u64_u32 v[12:13], null, v6, 24, 22
	s_mov_b32 s4, 0
	s_delay_alu instid0(VALU_DEP_2)
	v_dual_mov_b32 v11, v9 :: v_dual_mov_b32 v10, v8
.LBB128_9:                              ; =>This Inner Loop Header: Depth=1
	v_ashrrev_i32_e32 v16, 31, v15
	s_delay_alu instid0(VALU_DEP_3) | instskip(SKIP_1) | instid1(VALU_DEP_3)
	v_subrev_nc_u32_e32 v13, 22, v12
	v_mov_b32_e32 v67, v14
	v_lshlrev_b64 v[18:19], 2, v[15:16]
	v_add_nc_u32_e32 v15, 16, v15
	s_delay_alu instid0(VALU_DEP_2) | instskip(NEXT) | instid1(VALU_DEP_3)
	v_add_co_u32 v18, vcc_lo, s6, v18
	v_add_co_ci_u32_e32 v19, vcc_lo, s7, v19, vcc_lo
	global_load_b32 v7, v[18:19], off
	v_lshlrev_b64 v[18:19], 3, v[13:14]
	v_add_nc_u32_e32 v13, -14, v12
	s_delay_alu instid0(VALU_DEP_1) | instskip(NEXT) | instid1(VALU_DEP_3)
	v_lshlrev_b64 v[42:43], 3, v[13:14]
	v_add_co_u32 v38, vcc_lo, s8, v18
	s_delay_alu instid0(VALU_DEP_4) | instskip(SKIP_2) | instid1(VALU_DEP_1)
	v_add_co_ci_u32_e32 v39, vcc_lo, s9, v19, vcc_lo
	s_waitcnt vmcnt(0)
	v_subrev_nc_u32_e32 v7, s12, v7
	v_mul_lo_u32 v66, v7, 12
	s_delay_alu instid0(VALU_DEP_1) | instskip(SKIP_1) | instid1(VALU_DEP_1)
	v_lshlrev_b64 v[20:21], 3, v[66:67]
	v_add_nc_u32_e32 v13, 4, v66
	v_lshlrev_b64 v[44:45], 3, v[13:14]
	s_delay_alu instid0(VALU_DEP_3) | instskip(NEXT) | instid1(VALU_DEP_4)
	v_add_co_u32 v30, vcc_lo, s10, v20
	v_add_co_ci_u32_e32 v31, vcc_lo, s11, v21, vcc_lo
	s_clause 0x1
	global_load_b128 v[18:21], v[38:39], off offset:16
	global_load_b128 v[22:25], v[38:39], off
	s_clause 0x1
	global_load_b128 v[26:29], v[30:31], off
	global_load_b128 v[30:33], v[30:31], off offset:16
	s_clause 0x1
	global_load_b128 v[34:37], v[38:39], off offset:32
	global_load_b128 v[38:41], v[38:39], off offset:48
	v_add_co_u32 v42, vcc_lo, s8, v42
	v_add_co_ci_u32_e32 v43, vcc_lo, s9, v43, vcc_lo
	v_add_co_u32 v50, vcc_lo, s10, v44
	v_add_co_ci_u32_e32 v51, vcc_lo, s11, v45, vcc_lo
	global_load_b128 v[42:45], v[42:43], off
	s_clause 0x1
	global_load_b128 v[46:49], v[50:51], off
	global_load_b128 v[50:53], v[50:51], off offset:16
	v_add_nc_u32_e32 v13, -12, v12
	s_delay_alu instid0(VALU_DEP_1) | instskip(SKIP_1) | instid1(VALU_DEP_2)
	v_lshlrev_b64 v[54:55], 3, v[13:14]
	v_add_nc_u32_e32 v13, -10, v12
	v_add_co_u32 v54, vcc_lo, s8, v54
	s_delay_alu instid0(VALU_DEP_3) | instskip(NEXT) | instid1(VALU_DEP_3)
	v_add_co_ci_u32_e32 v55, vcc_lo, s9, v55, vcc_lo
	v_lshlrev_b64 v[58:59], 3, v[13:14]
	v_add_nc_u32_e32 v13, -8, v12
	global_load_b128 v[54:57], v[54:55], off
	v_add_co_u32 v58, vcc_lo, s8, v58
	v_add_co_ci_u32_e32 v59, vcc_lo, s9, v59, vcc_lo
	v_lshlrev_b64 v[62:63], 3, v[13:14]
	v_add_nc_u32_e32 v13, -6, v12
	global_load_b128 v[58:61], v[58:59], off
	v_add_co_u32 v62, vcc_lo, s8, v62
	v_add_co_ci_u32_e32 v63, vcc_lo, s9, v63, vcc_lo
	v_lshlrev_b64 v[67:68], 3, v[13:14]
	v_add_nc_u32_e32 v13, 8, v66
	global_load_b128 v[62:65], v[62:63], off
	v_lshlrev_b64 v[69:70], 3, v[13:14]
	v_add_co_u32 v66, vcc_lo, s8, v67
	v_add_co_ci_u32_e32 v67, vcc_lo, s9, v68, vcc_lo
	v_add_nc_u32_e32 v13, -4, v12
	s_delay_alu instid0(VALU_DEP_4)
	v_add_co_u32 v74, vcc_lo, s10, v69
	v_add_co_ci_u32_e32 v75, vcc_lo, s11, v70, vcc_lo
	global_load_b128 v[66:69], v[66:67], off
	s_clause 0x1
	global_load_b128 v[70:73], v[74:75], off
	global_load_b128 v[74:77], v[74:75], off offset:16
	s_waitcnt vmcnt(12)
	v_fma_f64 v[22:23], v[22:23], v[26:27], v[8:9]
	v_fma_f64 v[24:25], v[24:25], v[26:27], v[10:11]
	v_lshlrev_b64 v[7:8], 3, v[13:14]
	v_add_nc_u32_e32 v13, -2, v12
	s_delay_alu instid0(VALU_DEP_2) | instskip(NEXT) | instid1(VALU_DEP_3)
	v_add_co_u32 v7, vcc_lo, s8, v7
	v_add_co_ci_u32_e32 v8, vcc_lo, s9, v8, vcc_lo
	global_load_b128 v[7:10], v[7:8], off
	v_fma_f64 v[22:23], v[18:19], v[28:29], v[22:23]
	v_fma_f64 v[24:25], v[20:21], v[28:29], v[24:25]
	v_lshlrev_b64 v[18:19], 3, v[13:14]
	v_mov_b32_e32 v13, v14
	s_delay_alu instid0(VALU_DEP_2) | instskip(NEXT) | instid1(VALU_DEP_3)
	v_add_co_u32 v18, vcc_lo, s8, v18
	v_add_co_ci_u32_e32 v19, vcc_lo, s9, v19, vcc_lo
	global_load_b128 v[18:21], v[18:19], off
	s_waitcnt vmcnt(12)
	v_fma_f64 v[26:27], v[34:35], v[30:31], v[22:23]
	v_fma_f64 v[28:29], v[36:37], v[30:31], v[24:25]
	v_lshlrev_b64 v[22:23], 3, v[12:13]
	v_add_nc_u32_e32 v12, 0x180, v12
	s_delay_alu instid0(VALU_DEP_2) | instskip(NEXT) | instid1(VALU_DEP_3)
	v_add_co_u32 v22, vcc_lo, s8, v22
	v_add_co_ci_u32_e32 v23, vcc_lo, s9, v23, vcc_lo
	v_cmp_ge_i32_e32 vcc_lo, v15, v17
	global_load_b128 v[22:25], v[22:23], off
	s_or_b32 s4, vcc_lo, s4
	s_waitcnt vmcnt(12)
	v_fma_f64 v[26:27], v[38:39], v[32:33], v[26:27]
	v_fma_f64 v[28:29], v[40:41], v[32:33], v[28:29]
	s_waitcnt vmcnt(10)
	s_delay_alu instid0(VALU_DEP_2) | instskip(NEXT) | instid1(VALU_DEP_2)
	v_fma_f64 v[26:27], v[42:43], v[46:47], v[26:27]
	v_fma_f64 v[28:29], v[44:45], v[46:47], v[28:29]
	s_waitcnt vmcnt(8)
	s_delay_alu instid0(VALU_DEP_2) | instskip(NEXT) | instid1(VALU_DEP_2)
	;; [unrolled: 4-line block ×8, first 2 shown]
	v_fma_f64 v[8:9], v[22:23], v[76:77], v[7:8]
	v_fma_f64 v[10:11], v[24:25], v[76:77], v[10:11]
	s_and_not1_b32 exec_lo, exec_lo, s4
	s_cbranch_execnz .LBB128_9
; %bb.10:
	s_or_b32 exec_lo, exec_lo, s4
.LBB128_11:
	s_delay_alu instid0(SALU_CYCLE_1)
	s_or_b32 exec_lo, exec_lo, s3
	s_cbranch_execz .LBB128_13
	s_branch .LBB128_18
.LBB128_12:
                                        ; implicit-def: $vgpr8_vgpr9
                                        ; implicit-def: $vgpr10_vgpr11
.LBB128_13:
	v_mov_b32_e32 v8, 0
	v_mov_b32_e32 v9, 0
	s_delay_alu instid0(VALU_DEP_1)
	v_dual_mov_b32 v11, v9 :: v_dual_mov_b32 v10, v8
	s_and_saveexec_b32 s3, s2
	s_cbranch_execz .LBB128_17
; %bb.14:
	v_mov_b32_e32 v8, 0
	v_dual_mov_b32 v9, 0 :: v_dual_mov_b32 v14, 0
	v_mad_u64_u32 v[12:13], null, v6, 24, 23
	s_mov_b32 s2, 0
	s_delay_alu instid0(VALU_DEP_2)
	v_dual_mov_b32 v11, v9 :: v_dual_mov_b32 v10, v8
.LBB128_15:                             ; =>This Inner Loop Header: Depth=1
	v_ashrrev_i32_e32 v7, 31, v6
	s_delay_alu instid0(VALU_DEP_3) | instskip(SKIP_1) | instid1(VALU_DEP_3)
	v_subrev_nc_u32_e32 v13, 23, v12
	v_mov_b32_e32 v51, v14
	v_lshlrev_b64 v[15:16], 2, v[6:7]
	v_add_nc_u32_e32 v6, 16, v6
	s_delay_alu instid0(VALU_DEP_4) | instskip(SKIP_1) | instid1(VALU_DEP_4)
	v_lshlrev_b64 v[18:19], 3, v[13:14]
	v_add_nc_u32_e32 v13, -10, v12
	v_add_co_u32 v15, vcc_lo, s6, v15
	v_add_co_ci_u32_e32 v16, vcc_lo, s7, v16, vcc_lo
	s_delay_alu instid0(VALU_DEP_4)
	v_add_co_u32 v38, vcc_lo, s8, v18
	v_add_co_ci_u32_e32 v39, vcc_lo, s9, v19, vcc_lo
	global_load_b32 v7, v[15:16], off
	v_dual_mov_b32 v16, v14 :: v_dual_add_nc_u32 v15, -11, v12
	s_clause 0x1
	global_load_b128 v[18:21], v[38:39], off offset:16
	global_load_b128 v[22:25], v[38:39], off
	v_lshlrev_b64 v[34:35], 3, v[13:14]
	v_add_nc_u32_e32 v13, -9, v12
	v_lshlrev_b64 v[15:16], 3, v[15:16]
	s_delay_alu instid0(VALU_DEP_1) | instskip(NEXT) | instid1(VALU_DEP_2)
	v_add_co_u32 v15, vcc_lo, s8, v15
	v_add_co_ci_u32_e32 v16, vcc_lo, s9, v16, vcc_lo
	global_load_b64 v[15:16], v[15:16], off
	s_waitcnt vmcnt(3)
	v_subrev_nc_u32_e32 v7, s12, v7
	s_delay_alu instid0(VALU_DEP_1) | instskip(NEXT) | instid1(VALU_DEP_1)
	v_mul_lo_u32 v50, v7, 12
	v_lshlrev_b64 v[26:27], 3, v[50:51]
	s_delay_alu instid0(VALU_DEP_1) | instskip(NEXT) | instid1(VALU_DEP_2)
	v_add_co_u32 v30, vcc_lo, s10, v26
	v_add_co_ci_u32_e32 v31, vcc_lo, s11, v27, vcc_lo
	v_add_co_u32 v34, vcc_lo, s8, v34
	s_clause 0x1
	global_load_b128 v[26:29], v[30:31], off
	global_load_b128 v[30:33], v[30:31], off offset:16
	v_add_co_ci_u32_e32 v35, vcc_lo, s9, v35, vcc_lo
	global_load_b64 v[58:59], v[34:35], off
	v_lshlrev_b64 v[34:35], 3, v[13:14]
	v_add_nc_u32_e32 v13, -8, v12
	s_delay_alu instid0(VALU_DEP_2) | instskip(NEXT) | instid1(VALU_DEP_3)
	v_add_co_u32 v34, vcc_lo, s8, v34
	v_add_co_ci_u32_e32 v35, vcc_lo, s9, v35, vcc_lo
	global_load_b64 v[60:61], v[34:35], off
	v_lshlrev_b64 v[34:35], 3, v[13:14]
	v_add_nc_u32_e32 v13, 4, v50
	s_delay_alu instid0(VALU_DEP_2) | instskip(NEXT) | instid1(VALU_DEP_3)
	v_add_co_u32 v34, vcc_lo, s8, v34
	v_add_co_ci_u32_e32 v35, vcc_lo, s9, v35, vcc_lo
	global_load_b64 v[62:63], v[34:35], off
	v_lshlrev_b64 v[34:35], 3, v[13:14]
	v_add_nc_u32_e32 v13, -7, v12
	s_delay_alu instid0(VALU_DEP_1) | instskip(NEXT) | instid1(VALU_DEP_3)
	v_lshlrev_b64 v[36:37], 3, v[13:14]
	v_add_co_u32 v46, vcc_lo, s10, v34
	s_delay_alu instid0(VALU_DEP_4) | instskip(SKIP_1) | instid1(VALU_DEP_4)
	v_add_co_ci_u32_e32 v47, vcc_lo, s11, v35, vcc_lo
	v_add_nc_u32_e32 v13, -6, v12
	v_add_co_u32 v51, vcc_lo, s8, v36
	v_add_co_ci_u32_e32 v52, vcc_lo, s9, v37, vcc_lo
	s_clause 0x1
	global_load_b128 v[34:37], v[38:39], off offset:48
	global_load_b128 v[38:41], v[38:39], off offset:32
	s_clause 0x1
	global_load_b128 v[42:45], v[46:47], off offset:16
	global_load_b128 v[46:49], v[46:47], off
	global_load_b64 v[64:65], v[51:52], off
	v_lshlrev_b64 v[51:52], 3, v[13:14]
	v_add_nc_u32_e32 v13, -5, v12
	s_delay_alu instid0(VALU_DEP_2) | instskip(NEXT) | instid1(VALU_DEP_3)
	v_add_co_u32 v51, vcc_lo, s8, v51
	v_add_co_ci_u32_e32 v52, vcc_lo, s9, v52, vcc_lo
	global_load_b64 v[66:67], v[51:52], off
	v_lshlrev_b64 v[51:52], 3, v[13:14]
	v_add_nc_u32_e32 v13, -4, v12
	s_delay_alu instid0(VALU_DEP_2) | instskip(NEXT) | instid1(VALU_DEP_3)
	v_add_co_u32 v51, vcc_lo, s8, v51
	v_add_co_ci_u32_e32 v52, vcc_lo, s9, v52, vcc_lo
	;; [unrolled: 6-line block ×3, first 2 shown]
	global_load_b64 v[70:71], v[51:52], off
	v_lshlrev_b64 v[51:52], 3, v[13:14]
	v_add_nc_u32_e32 v13, 8, v50
	s_delay_alu instid0(VALU_DEP_1) | instskip(SKIP_1) | instid1(VALU_DEP_4)
	v_lshlrev_b64 v[53:54], 3, v[13:14]
	v_add_nc_u32_e32 v13, -3, v12
	v_add_co_u32 v50, vcc_lo, s8, v51
	v_add_co_ci_u32_e32 v51, vcc_lo, s9, v52, vcc_lo
	s_delay_alu instid0(VALU_DEP_3) | instskip(SKIP_3) | instid1(VALU_DEP_4)
	v_lshlrev_b64 v[55:56], 3, v[13:14]
	v_add_co_u32 v72, vcc_lo, s10, v53
	v_add_co_ci_u32_e32 v73, vcc_lo, s11, v54, vcc_lo
	v_add_nc_u32_e32 v13, -14, v12
	v_add_co_u32 v74, vcc_lo, s8, v55
	v_add_co_ci_u32_e32 v75, vcc_lo, s9, v56, vcc_lo
	global_load_b64 v[76:77], v[50:51], off
	s_clause 0x1
	global_load_b128 v[50:53], v[72:73], off offset:16
	global_load_b128 v[54:57], v[72:73], off
	global_load_b64 v[72:73], v[74:75], off
	s_waitcnt vmcnt(16)
	v_fma_f64 v[7:8], v[22:23], v[26:27], v[8:9]
	v_fma_f64 v[9:10], v[15:16], v[26:27], v[10:11]
	v_lshlrev_b64 v[15:16], 3, v[13:14]
	v_add_nc_u32_e32 v13, -2, v12
	s_delay_alu instid0(VALU_DEP_1) | instskip(NEXT) | instid1(VALU_DEP_3)
	v_lshlrev_b64 v[22:23], 3, v[13:14]
	v_add_co_u32 v15, vcc_lo, s8, v15
	s_delay_alu instid0(VALU_DEP_4) | instskip(SKIP_1) | instid1(VALU_DEP_4)
	v_add_co_ci_u32_e32 v16, vcc_lo, s9, v16, vcc_lo
	v_add_nc_u32_e32 v13, -13, v12
	v_add_co_u32 v22, vcc_lo, s8, v22
	v_add_co_ci_u32_e32 v23, vcc_lo, s9, v23, vcc_lo
	s_clause 0x1
	global_load_b64 v[15:16], v[15:16], off
	global_load_b64 v[22:23], v[22:23], off
	v_fma_f64 v[7:8], v[24:25], v[28:29], v[7:8]
	s_waitcnt vmcnt(16)
	v_fma_f64 v[9:10], v[58:59], v[28:29], v[9:10]
	v_lshlrev_b64 v[24:25], 3, v[13:14]
	v_add_nc_u32_e32 v13, -1, v12
	s_delay_alu instid0(VALU_DEP_1) | instskip(NEXT) | instid1(VALU_DEP_3)
	v_lshlrev_b64 v[26:27], 3, v[13:14]
	v_add_co_u32 v24, vcc_lo, s8, v24
	s_delay_alu instid0(VALU_DEP_4) | instskip(SKIP_1) | instid1(VALU_DEP_4)
	v_add_co_ci_u32_e32 v25, vcc_lo, s9, v25, vcc_lo
	v_mov_b32_e32 v13, v14
	v_add_co_u32 v26, vcc_lo, s8, v26
	v_add_co_ci_u32_e32 v27, vcc_lo, s9, v27, vcc_lo
	s_clause 0x1
	global_load_b64 v[24:25], v[24:25], off
	global_load_b64 v[26:27], v[26:27], off
	v_fma_f64 v[7:8], v[18:19], v[30:31], v[7:8]
	s_waitcnt vmcnt(17)
	v_fma_f64 v[9:10], v[60:61], v[30:31], v[9:10]
	v_lshlrev_b64 v[18:19], 3, v[12:13]
	v_add_nc_u32_e32 v13, -12, v12
	v_add_nc_u32_e32 v12, 0x180, v12
	s_delay_alu instid0(VALU_DEP_2) | instskip(NEXT) | instid1(VALU_DEP_4)
	v_lshlrev_b64 v[28:29], 3, v[13:14]
	v_add_co_u32 v18, vcc_lo, s8, v18
	v_add_co_ci_u32_e32 v19, vcc_lo, s9, v19, vcc_lo
	s_delay_alu instid0(VALU_DEP_3) | instskip(NEXT) | instid1(VALU_DEP_4)
	v_add_co_u32 v28, vcc_lo, s8, v28
	v_add_co_ci_u32_e32 v29, vcc_lo, s9, v29, vcc_lo
	s_clause 0x1
	global_load_b64 v[28:29], v[28:29], off
	global_load_b64 v[18:19], v[18:19], off
	v_cmp_ge_i32_e32 vcc_lo, v6, v17
	s_or_b32 s2, vcc_lo, s2
	v_fma_f64 v[7:8], v[20:21], v[32:33], v[7:8]
	s_waitcnt vmcnt(18)
	v_fma_f64 v[9:10], v[62:63], v[32:33], v[9:10]
	s_waitcnt vmcnt(14)
	s_delay_alu instid0(VALU_DEP_2) | instskip(SKIP_1) | instid1(VALU_DEP_2)
	v_fma_f64 v[7:8], v[38:39], v[46:47], v[7:8]
	s_waitcnt vmcnt(13)
	v_fma_f64 v[9:10], v[64:65], v[46:47], v[9:10]
	s_delay_alu instid0(VALU_DEP_2) | instskip(SKIP_1) | instid1(VALU_DEP_2)
	v_fma_f64 v[7:8], v[40:41], v[48:49], v[7:8]
	s_waitcnt vmcnt(12)
	v_fma_f64 v[9:10], v[66:67], v[48:49], v[9:10]
	;; [unrolled: 4-line block ×4, first 2 shown]
	s_waitcnt vmcnt(7)
	s_delay_alu instid0(VALU_DEP_2) | instskip(SKIP_1) | instid1(VALU_DEP_2)
	v_fma_f64 v[7:8], v[76:77], v[54:55], v[7:8]
	s_waitcnt vmcnt(6)
	v_fma_f64 v[9:10], v[72:73], v[54:55], v[9:10]
	s_waitcnt vmcnt(5)
	s_delay_alu instid0(VALU_DEP_2) | instskip(SKIP_1) | instid1(VALU_DEP_2)
	v_fma_f64 v[7:8], v[15:16], v[56:57], v[7:8]
	s_waitcnt vmcnt(4)
	v_fma_f64 v[9:10], v[22:23], v[56:57], v[9:10]
	;; [unrolled: 5-line block ×4, first 2 shown]
	s_and_not1_b32 exec_lo, exec_lo, s2
	s_cbranch_execnz .LBB128_15
; %bb.16:
	s_or_b32 exec_lo, exec_lo, s2
.LBB128_17:
	s_delay_alu instid0(SALU_CYCLE_1)
	s_or_b32 exec_lo, exec_lo, s3
.LBB128_18:
	v_mbcnt_lo_u32_b32 v14, -1, 0
	s_delay_alu instid0(VALU_DEP_1) | instskip(NEXT) | instid1(VALU_DEP_1)
	v_xor_b32_e32 v6, 8, v14
	v_cmp_gt_i32_e32 vcc_lo, 32, v6
	v_cndmask_b32_e32 v6, v14, v6, vcc_lo
	s_delay_alu instid0(VALU_DEP_1)
	v_lshlrev_b32_e32 v13, 2, v6
	ds_bpermute_b32 v6, v13, v8
	ds_bpermute_b32 v7, v13, v9
	;; [unrolled: 1-line block ×4, first 2 shown]
	s_waitcnt lgkmcnt(2)
	v_add_f64 v[6:7], v[8:9], v[6:7]
	s_waitcnt lgkmcnt(0)
	v_add_f64 v[8:9], v[10:11], v[12:13]
	v_xor_b32_e32 v10, 4, v14
	s_delay_alu instid0(VALU_DEP_1) | instskip(SKIP_1) | instid1(VALU_DEP_1)
	v_cmp_gt_i32_e32 vcc_lo, 32, v10
	v_cndmask_b32_e32 v10, v14, v10, vcc_lo
	v_lshlrev_b32_e32 v13, 2, v10
	ds_bpermute_b32 v10, v13, v6
	ds_bpermute_b32 v11, v13, v7
	ds_bpermute_b32 v12, v13, v8
	ds_bpermute_b32 v13, v13, v9
	s_waitcnt lgkmcnt(2)
	v_add_f64 v[6:7], v[6:7], v[10:11]
	v_xor_b32_e32 v10, 2, v14
	s_waitcnt lgkmcnt(0)
	v_add_f64 v[8:9], v[8:9], v[12:13]
	s_delay_alu instid0(VALU_DEP_2) | instskip(SKIP_1) | instid1(VALU_DEP_1)
	v_cmp_gt_i32_e32 vcc_lo, 32, v10
	v_cndmask_b32_e32 v10, v14, v10, vcc_lo
	v_lshlrev_b32_e32 v13, 2, v10
	ds_bpermute_b32 v10, v13, v6
	ds_bpermute_b32 v11, v13, v7
	;; [unrolled: 1-line block ×4, first 2 shown]
	s_waitcnt lgkmcnt(2)
	v_add_f64 v[6:7], v[6:7], v[10:11]
	s_waitcnt lgkmcnt(0)
	v_add_f64 v[10:11], v[8:9], v[12:13]
	v_xor_b32_e32 v8, 1, v14
	s_delay_alu instid0(VALU_DEP_1) | instskip(SKIP_2) | instid1(VALU_DEP_2)
	v_cmp_gt_i32_e32 vcc_lo, 32, v8
	v_cndmask_b32_e32 v8, v14, v8, vcc_lo
	v_cmp_eq_u32_e32 vcc_lo, 15, v0
	v_lshlrev_b32_e32 v13, 2, v8
	ds_bpermute_b32 v8, v13, v6
	ds_bpermute_b32 v9, v13, v7
	;; [unrolled: 1-line block ×4, first 2 shown]
	s_and_b32 exec_lo, exec_lo, vcc_lo
	s_cbranch_execz .LBB128_23
; %bb.19:
	s_waitcnt lgkmcnt(2)
	v_add_f64 v[8:9], v[6:7], v[8:9]
	s_waitcnt lgkmcnt(0)
	v_add_f64 v[6:7], v[10:11], v[12:13]
	s_load_b64 s[0:1], s[0:1], 0x38
	s_mov_b32 s2, exec_lo
	v_cmpx_eq_f64_e32 0, v[3:4]
	s_xor_b32 s2, exec_lo, s2
	s_cbranch_execz .LBB128_21
; %bb.20:
	s_delay_alu instid0(VALU_DEP_3) | instskip(NEXT) | instid1(VALU_DEP_3)
	v_mul_f64 v[8:9], v[1:2], v[8:9]
	v_mul_f64 v[10:11], v[1:2], v[6:7]
	v_lshlrev_b32_e32 v0, 1, v5
                                        ; implicit-def: $vgpr5
                                        ; implicit-def: $vgpr3_vgpr4
                                        ; implicit-def: $vgpr6_vgpr7
	s_delay_alu instid0(VALU_DEP_1) | instskip(NEXT) | instid1(VALU_DEP_1)
	v_ashrrev_i32_e32 v1, 31, v0
	v_lshlrev_b64 v[0:1], 3, v[0:1]
	s_waitcnt lgkmcnt(0)
	s_delay_alu instid0(VALU_DEP_1) | instskip(NEXT) | instid1(VALU_DEP_2)
	v_add_co_u32 v0, vcc_lo, s0, v0
	v_add_co_ci_u32_e32 v1, vcc_lo, s1, v1, vcc_lo
	global_store_b128 v[0:1], v[8:11], off
                                        ; implicit-def: $vgpr1_vgpr2
                                        ; implicit-def: $vgpr8_vgpr9
.LBB128_21:
	s_and_not1_saveexec_b32 s2, s2
	s_cbranch_execz .LBB128_23
; %bb.22:
	v_lshlrev_b32_e32 v10, 1, v5
	s_delay_alu instid0(VALU_DEP_4) | instskip(NEXT) | instid1(VALU_DEP_4)
	v_mul_f64 v[8:9], v[1:2], v[8:9]
	v_mul_f64 v[5:6], v[1:2], v[6:7]
	s_delay_alu instid0(VALU_DEP_3) | instskip(NEXT) | instid1(VALU_DEP_1)
	v_ashrrev_i32_e32 v11, 31, v10
	v_lshlrev_b64 v[10:11], 3, v[10:11]
	s_waitcnt lgkmcnt(0)
	s_delay_alu instid0(VALU_DEP_1) | instskip(NEXT) | instid1(VALU_DEP_2)
	v_add_co_u32 v14, vcc_lo, s0, v10
	v_add_co_ci_u32_e32 v15, vcc_lo, s1, v11, vcc_lo
	global_load_b128 v[10:13], v[14:15], off
	s_waitcnt vmcnt(0)
	v_fma_f64 v[0:1], v[3:4], v[10:11], v[8:9]
	v_fma_f64 v[2:3], v[3:4], v[12:13], v[5:6]
	global_store_b128 v[14:15], v[0:3], off
.LBB128_23:
	s_nop 0
	s_sendmsg sendmsg(MSG_DEALLOC_VGPRS)
	s_endpgm
	.section	.rodata,"a",@progbits
	.p2align	6, 0x0
	.amdhsa_kernel _ZN9rocsparseL19gebsrmvn_2xn_kernelILj128ELj12ELj16EdEEvi20rocsparse_direction_NS_24const_host_device_scalarIT2_EEPKiS6_PKS3_S8_S4_PS3_21rocsparse_index_base_b
		.amdhsa_group_segment_fixed_size 0
		.amdhsa_private_segment_fixed_size 0
		.amdhsa_kernarg_size 72
		.amdhsa_user_sgpr_count 15
		.amdhsa_user_sgpr_dispatch_ptr 0
		.amdhsa_user_sgpr_queue_ptr 0
		.amdhsa_user_sgpr_kernarg_segment_ptr 1
		.amdhsa_user_sgpr_dispatch_id 0
		.amdhsa_user_sgpr_private_segment_size 0
		.amdhsa_wavefront_size32 1
		.amdhsa_uses_dynamic_stack 0
		.amdhsa_enable_private_segment 0
		.amdhsa_system_sgpr_workgroup_id_x 1
		.amdhsa_system_sgpr_workgroup_id_y 0
		.amdhsa_system_sgpr_workgroup_id_z 0
		.amdhsa_system_sgpr_workgroup_info 0
		.amdhsa_system_vgpr_workitem_id 0
		.amdhsa_next_free_vgpr 78
		.amdhsa_next_free_sgpr 16
		.amdhsa_reserve_vcc 1
		.amdhsa_float_round_mode_32 0
		.amdhsa_float_round_mode_16_64 0
		.amdhsa_float_denorm_mode_32 3
		.amdhsa_float_denorm_mode_16_64 3
		.amdhsa_dx10_clamp 1
		.amdhsa_ieee_mode 1
		.amdhsa_fp16_overflow 0
		.amdhsa_workgroup_processor_mode 1
		.amdhsa_memory_ordered 1
		.amdhsa_forward_progress 0
		.amdhsa_shared_vgpr_count 0
		.amdhsa_exception_fp_ieee_invalid_op 0
		.amdhsa_exception_fp_denorm_src 0
		.amdhsa_exception_fp_ieee_div_zero 0
		.amdhsa_exception_fp_ieee_overflow 0
		.amdhsa_exception_fp_ieee_underflow 0
		.amdhsa_exception_fp_ieee_inexact 0
		.amdhsa_exception_int_div_zero 0
	.end_amdhsa_kernel
	.section	.text._ZN9rocsparseL19gebsrmvn_2xn_kernelILj128ELj12ELj16EdEEvi20rocsparse_direction_NS_24const_host_device_scalarIT2_EEPKiS6_PKS3_S8_S4_PS3_21rocsparse_index_base_b,"axG",@progbits,_ZN9rocsparseL19gebsrmvn_2xn_kernelILj128ELj12ELj16EdEEvi20rocsparse_direction_NS_24const_host_device_scalarIT2_EEPKiS6_PKS3_S8_S4_PS3_21rocsparse_index_base_b,comdat
.Lfunc_end128:
	.size	_ZN9rocsparseL19gebsrmvn_2xn_kernelILj128ELj12ELj16EdEEvi20rocsparse_direction_NS_24const_host_device_scalarIT2_EEPKiS6_PKS3_S8_S4_PS3_21rocsparse_index_base_b, .Lfunc_end128-_ZN9rocsparseL19gebsrmvn_2xn_kernelILj128ELj12ELj16EdEEvi20rocsparse_direction_NS_24const_host_device_scalarIT2_EEPKiS6_PKS3_S8_S4_PS3_21rocsparse_index_base_b
                                        ; -- End function
	.section	.AMDGPU.csdata,"",@progbits
; Kernel info:
; codeLenInByte = 2996
; NumSgprs: 18
; NumVgprs: 78
; ScratchSize: 0
; MemoryBound: 1
; FloatMode: 240
; IeeeMode: 1
; LDSByteSize: 0 bytes/workgroup (compile time only)
; SGPRBlocks: 2
; VGPRBlocks: 9
; NumSGPRsForWavesPerEU: 18
; NumVGPRsForWavesPerEU: 78
; Occupancy: 16
; WaveLimiterHint : 1
; COMPUTE_PGM_RSRC2:SCRATCH_EN: 0
; COMPUTE_PGM_RSRC2:USER_SGPR: 15
; COMPUTE_PGM_RSRC2:TRAP_HANDLER: 0
; COMPUTE_PGM_RSRC2:TGID_X_EN: 1
; COMPUTE_PGM_RSRC2:TGID_Y_EN: 0
; COMPUTE_PGM_RSRC2:TGID_Z_EN: 0
; COMPUTE_PGM_RSRC2:TIDIG_COMP_CNT: 0
	.section	.text._ZN9rocsparseL19gebsrmvn_2xn_kernelILj128ELj12ELj32EdEEvi20rocsparse_direction_NS_24const_host_device_scalarIT2_EEPKiS6_PKS3_S8_S4_PS3_21rocsparse_index_base_b,"axG",@progbits,_ZN9rocsparseL19gebsrmvn_2xn_kernelILj128ELj12ELj32EdEEvi20rocsparse_direction_NS_24const_host_device_scalarIT2_EEPKiS6_PKS3_S8_S4_PS3_21rocsparse_index_base_b,comdat
	.globl	_ZN9rocsparseL19gebsrmvn_2xn_kernelILj128ELj12ELj32EdEEvi20rocsparse_direction_NS_24const_host_device_scalarIT2_EEPKiS6_PKS3_S8_S4_PS3_21rocsparse_index_base_b ; -- Begin function _ZN9rocsparseL19gebsrmvn_2xn_kernelILj128ELj12ELj32EdEEvi20rocsparse_direction_NS_24const_host_device_scalarIT2_EEPKiS6_PKS3_S8_S4_PS3_21rocsparse_index_base_b
	.p2align	8
	.type	_ZN9rocsparseL19gebsrmvn_2xn_kernelILj128ELj12ELj32EdEEvi20rocsparse_direction_NS_24const_host_device_scalarIT2_EEPKiS6_PKS3_S8_S4_PS3_21rocsparse_index_base_b,@function
_ZN9rocsparseL19gebsrmvn_2xn_kernelILj128ELj12ELj32EdEEvi20rocsparse_direction_NS_24const_host_device_scalarIT2_EEPKiS6_PKS3_S8_S4_PS3_21rocsparse_index_base_b: ; @_ZN9rocsparseL19gebsrmvn_2xn_kernelILj128ELj12ELj32EdEEvi20rocsparse_direction_NS_24const_host_device_scalarIT2_EEPKiS6_PKS3_S8_S4_PS3_21rocsparse_index_base_b
; %bb.0:
	s_clause 0x2
	s_load_b64 s[12:13], s[0:1], 0x40
	s_load_b64 s[4:5], s[0:1], 0x8
	;; [unrolled: 1-line block ×3, first 2 shown]
	s_waitcnt lgkmcnt(0)
	s_bitcmp1_b32 s13, 0
	v_dual_mov_b32 v1, s4 :: v_dual_mov_b32 v2, s5
	s_cselect_b32 s6, -1, 0
	s_delay_alu instid0(SALU_CYCLE_1)
	s_and_b32 vcc_lo, exec_lo, s6
	s_xor_b32 s6, s6, -1
	s_cbranch_vccnz .LBB129_2
; %bb.1:
	v_dual_mov_b32 v1, s4 :: v_dual_mov_b32 v2, s5
	flat_load_b64 v[1:2], v[1:2]
.LBB129_2:
	v_dual_mov_b32 v4, s3 :: v_dual_mov_b32 v3, s2
	s_and_not1_b32 vcc_lo, exec_lo, s6
	s_cbranch_vccnz .LBB129_4
; %bb.3:
	v_dual_mov_b32 v4, s3 :: v_dual_mov_b32 v3, s2
	flat_load_b64 v[3:4], v[3:4]
.LBB129_4:
	s_waitcnt vmcnt(0) lgkmcnt(0)
	v_cmp_neq_f64_e32 vcc_lo, 0, v[1:2]
	v_cmp_neq_f64_e64 s2, 1.0, v[3:4]
	s_delay_alu instid0(VALU_DEP_1) | instskip(NEXT) | instid1(SALU_CYCLE_1)
	s_or_b32 s2, vcc_lo, s2
	s_and_saveexec_b32 s3, s2
	s_cbranch_execz .LBB129_23
; %bb.5:
	s_load_b64 s[2:3], s[0:1], 0x0
	v_lshrrev_b32_e32 v5, 5, v0
	s_delay_alu instid0(VALU_DEP_1) | instskip(SKIP_1) | instid1(VALU_DEP_1)
	v_lshl_or_b32 v5, s15, 2, v5
	s_waitcnt lgkmcnt(0)
	v_cmp_gt_i32_e32 vcc_lo, s2, v5
	s_and_b32 exec_lo, exec_lo, vcc_lo
	s_cbranch_execz .LBB129_23
; %bb.6:
	s_load_b256 s[4:11], s[0:1], 0x10
	v_ashrrev_i32_e32 v6, 31, v5
	v_and_b32_e32 v0, 31, v0
	s_cmp_lg_u32 s3, 0
	s_delay_alu instid0(VALU_DEP_2) | instskip(SKIP_1) | instid1(VALU_DEP_1)
	v_lshlrev_b64 v[6:7], 2, v[5:6]
	s_waitcnt lgkmcnt(0)
	v_add_co_u32 v6, vcc_lo, s4, v6
	s_delay_alu instid0(VALU_DEP_2) | instskip(SKIP_4) | instid1(VALU_DEP_2)
	v_add_co_ci_u32_e32 v7, vcc_lo, s5, v7, vcc_lo
	global_load_b64 v[6:7], v[6:7], off
	s_waitcnt vmcnt(0)
	v_subrev_nc_u32_e32 v6, s12, v6
	v_subrev_nc_u32_e32 v17, s12, v7
	v_add_nc_u32_e32 v6, v6, v0
	s_delay_alu instid0(VALU_DEP_1)
	v_cmp_lt_i32_e64 s2, v6, v17
	s_cbranch_scc0 .LBB129_12
; %bb.7:
	v_mov_b32_e32 v8, 0
	v_mov_b32_e32 v9, 0
	s_delay_alu instid0(VALU_DEP_1)
	v_dual_mov_b32 v11, v9 :: v_dual_mov_b32 v10, v8
	s_and_saveexec_b32 s3, s2
	s_cbranch_execz .LBB129_11
; %bb.8:
	v_dual_mov_b32 v8, 0 :: v_dual_mov_b32 v15, v6
	v_dual_mov_b32 v9, 0 :: v_dual_mov_b32 v14, 0
	v_mad_u64_u32 v[12:13], null, v6, 24, 22
	s_mov_b32 s4, 0
	s_delay_alu instid0(VALU_DEP_2)
	v_dual_mov_b32 v11, v9 :: v_dual_mov_b32 v10, v8
.LBB129_9:                              ; =>This Inner Loop Header: Depth=1
	v_ashrrev_i32_e32 v16, 31, v15
	s_delay_alu instid0(VALU_DEP_3) | instskip(SKIP_1) | instid1(VALU_DEP_3)
	v_subrev_nc_u32_e32 v13, 22, v12
	v_mov_b32_e32 v67, v14
	v_lshlrev_b64 v[18:19], 2, v[15:16]
	v_add_nc_u32_e32 v15, 32, v15
	s_delay_alu instid0(VALU_DEP_2) | instskip(NEXT) | instid1(VALU_DEP_3)
	v_add_co_u32 v18, vcc_lo, s6, v18
	v_add_co_ci_u32_e32 v19, vcc_lo, s7, v19, vcc_lo
	global_load_b32 v7, v[18:19], off
	v_lshlrev_b64 v[18:19], 3, v[13:14]
	v_add_nc_u32_e32 v13, -14, v12
	s_delay_alu instid0(VALU_DEP_1) | instskip(NEXT) | instid1(VALU_DEP_3)
	v_lshlrev_b64 v[42:43], 3, v[13:14]
	v_add_co_u32 v38, vcc_lo, s8, v18
	s_delay_alu instid0(VALU_DEP_4) | instskip(SKIP_2) | instid1(VALU_DEP_1)
	v_add_co_ci_u32_e32 v39, vcc_lo, s9, v19, vcc_lo
	s_waitcnt vmcnt(0)
	v_subrev_nc_u32_e32 v7, s12, v7
	v_mul_lo_u32 v66, v7, 12
	s_delay_alu instid0(VALU_DEP_1) | instskip(SKIP_1) | instid1(VALU_DEP_1)
	v_lshlrev_b64 v[20:21], 3, v[66:67]
	v_add_nc_u32_e32 v13, 4, v66
	v_lshlrev_b64 v[44:45], 3, v[13:14]
	s_delay_alu instid0(VALU_DEP_3) | instskip(NEXT) | instid1(VALU_DEP_4)
	v_add_co_u32 v30, vcc_lo, s10, v20
	v_add_co_ci_u32_e32 v31, vcc_lo, s11, v21, vcc_lo
	s_clause 0x1
	global_load_b128 v[18:21], v[38:39], off offset:16
	global_load_b128 v[22:25], v[38:39], off
	s_clause 0x1
	global_load_b128 v[26:29], v[30:31], off
	global_load_b128 v[30:33], v[30:31], off offset:16
	s_clause 0x1
	global_load_b128 v[34:37], v[38:39], off offset:32
	global_load_b128 v[38:41], v[38:39], off offset:48
	v_add_co_u32 v42, vcc_lo, s8, v42
	v_add_co_ci_u32_e32 v43, vcc_lo, s9, v43, vcc_lo
	v_add_co_u32 v50, vcc_lo, s10, v44
	v_add_co_ci_u32_e32 v51, vcc_lo, s11, v45, vcc_lo
	global_load_b128 v[42:45], v[42:43], off
	s_clause 0x1
	global_load_b128 v[46:49], v[50:51], off
	global_load_b128 v[50:53], v[50:51], off offset:16
	v_add_nc_u32_e32 v13, -12, v12
	s_delay_alu instid0(VALU_DEP_1) | instskip(SKIP_1) | instid1(VALU_DEP_2)
	v_lshlrev_b64 v[54:55], 3, v[13:14]
	v_add_nc_u32_e32 v13, -10, v12
	v_add_co_u32 v54, vcc_lo, s8, v54
	s_delay_alu instid0(VALU_DEP_3) | instskip(NEXT) | instid1(VALU_DEP_3)
	v_add_co_ci_u32_e32 v55, vcc_lo, s9, v55, vcc_lo
	v_lshlrev_b64 v[58:59], 3, v[13:14]
	v_add_nc_u32_e32 v13, -8, v12
	global_load_b128 v[54:57], v[54:55], off
	v_add_co_u32 v58, vcc_lo, s8, v58
	v_add_co_ci_u32_e32 v59, vcc_lo, s9, v59, vcc_lo
	v_lshlrev_b64 v[62:63], 3, v[13:14]
	v_add_nc_u32_e32 v13, -6, v12
	global_load_b128 v[58:61], v[58:59], off
	v_add_co_u32 v62, vcc_lo, s8, v62
	v_add_co_ci_u32_e32 v63, vcc_lo, s9, v63, vcc_lo
	v_lshlrev_b64 v[67:68], 3, v[13:14]
	v_add_nc_u32_e32 v13, 8, v66
	global_load_b128 v[62:65], v[62:63], off
	v_lshlrev_b64 v[69:70], 3, v[13:14]
	v_add_co_u32 v66, vcc_lo, s8, v67
	v_add_co_ci_u32_e32 v67, vcc_lo, s9, v68, vcc_lo
	v_add_nc_u32_e32 v13, -4, v12
	s_delay_alu instid0(VALU_DEP_4)
	v_add_co_u32 v74, vcc_lo, s10, v69
	v_add_co_ci_u32_e32 v75, vcc_lo, s11, v70, vcc_lo
	global_load_b128 v[66:69], v[66:67], off
	s_clause 0x1
	global_load_b128 v[70:73], v[74:75], off
	global_load_b128 v[74:77], v[74:75], off offset:16
	s_waitcnt vmcnt(12)
	v_fma_f64 v[22:23], v[22:23], v[26:27], v[8:9]
	v_fma_f64 v[24:25], v[24:25], v[26:27], v[10:11]
	v_lshlrev_b64 v[7:8], 3, v[13:14]
	v_add_nc_u32_e32 v13, -2, v12
	s_delay_alu instid0(VALU_DEP_2) | instskip(NEXT) | instid1(VALU_DEP_3)
	v_add_co_u32 v7, vcc_lo, s8, v7
	v_add_co_ci_u32_e32 v8, vcc_lo, s9, v8, vcc_lo
	global_load_b128 v[7:10], v[7:8], off
	v_fma_f64 v[22:23], v[18:19], v[28:29], v[22:23]
	v_fma_f64 v[24:25], v[20:21], v[28:29], v[24:25]
	v_lshlrev_b64 v[18:19], 3, v[13:14]
	v_mov_b32_e32 v13, v14
	s_delay_alu instid0(VALU_DEP_2) | instskip(NEXT) | instid1(VALU_DEP_3)
	v_add_co_u32 v18, vcc_lo, s8, v18
	v_add_co_ci_u32_e32 v19, vcc_lo, s9, v19, vcc_lo
	global_load_b128 v[18:21], v[18:19], off
	s_waitcnt vmcnt(12)
	v_fma_f64 v[26:27], v[34:35], v[30:31], v[22:23]
	v_fma_f64 v[28:29], v[36:37], v[30:31], v[24:25]
	v_lshlrev_b64 v[22:23], 3, v[12:13]
	v_add_nc_u32_e32 v12, 0x300, v12
	s_delay_alu instid0(VALU_DEP_2) | instskip(NEXT) | instid1(VALU_DEP_3)
	v_add_co_u32 v22, vcc_lo, s8, v22
	v_add_co_ci_u32_e32 v23, vcc_lo, s9, v23, vcc_lo
	v_cmp_ge_i32_e32 vcc_lo, v15, v17
	global_load_b128 v[22:25], v[22:23], off
	s_or_b32 s4, vcc_lo, s4
	s_waitcnt vmcnt(12)
	v_fma_f64 v[26:27], v[38:39], v[32:33], v[26:27]
	v_fma_f64 v[28:29], v[40:41], v[32:33], v[28:29]
	s_waitcnt vmcnt(10)
	s_delay_alu instid0(VALU_DEP_2) | instskip(NEXT) | instid1(VALU_DEP_2)
	v_fma_f64 v[26:27], v[42:43], v[46:47], v[26:27]
	v_fma_f64 v[28:29], v[44:45], v[46:47], v[28:29]
	s_waitcnt vmcnt(8)
	s_delay_alu instid0(VALU_DEP_2) | instskip(NEXT) | instid1(VALU_DEP_2)
	;; [unrolled: 4-line block ×8, first 2 shown]
	v_fma_f64 v[8:9], v[22:23], v[76:77], v[7:8]
	v_fma_f64 v[10:11], v[24:25], v[76:77], v[10:11]
	s_and_not1_b32 exec_lo, exec_lo, s4
	s_cbranch_execnz .LBB129_9
; %bb.10:
	s_or_b32 exec_lo, exec_lo, s4
.LBB129_11:
	s_delay_alu instid0(SALU_CYCLE_1)
	s_or_b32 exec_lo, exec_lo, s3
	s_cbranch_execz .LBB129_13
	s_branch .LBB129_18
.LBB129_12:
                                        ; implicit-def: $vgpr8_vgpr9
                                        ; implicit-def: $vgpr10_vgpr11
.LBB129_13:
	v_mov_b32_e32 v8, 0
	v_mov_b32_e32 v9, 0
	s_delay_alu instid0(VALU_DEP_1)
	v_dual_mov_b32 v11, v9 :: v_dual_mov_b32 v10, v8
	s_and_saveexec_b32 s3, s2
	s_cbranch_execz .LBB129_17
; %bb.14:
	v_mov_b32_e32 v8, 0
	v_dual_mov_b32 v9, 0 :: v_dual_mov_b32 v14, 0
	v_mad_u64_u32 v[12:13], null, v6, 24, 23
	s_mov_b32 s2, 0
	s_delay_alu instid0(VALU_DEP_2)
	v_dual_mov_b32 v11, v9 :: v_dual_mov_b32 v10, v8
.LBB129_15:                             ; =>This Inner Loop Header: Depth=1
	v_ashrrev_i32_e32 v7, 31, v6
	s_delay_alu instid0(VALU_DEP_3) | instskip(SKIP_1) | instid1(VALU_DEP_3)
	v_subrev_nc_u32_e32 v13, 23, v12
	v_mov_b32_e32 v51, v14
	v_lshlrev_b64 v[15:16], 2, v[6:7]
	v_add_nc_u32_e32 v6, 32, v6
	s_delay_alu instid0(VALU_DEP_4) | instskip(SKIP_1) | instid1(VALU_DEP_4)
	v_lshlrev_b64 v[18:19], 3, v[13:14]
	v_add_nc_u32_e32 v13, -10, v12
	v_add_co_u32 v15, vcc_lo, s6, v15
	v_add_co_ci_u32_e32 v16, vcc_lo, s7, v16, vcc_lo
	s_delay_alu instid0(VALU_DEP_4)
	v_add_co_u32 v38, vcc_lo, s8, v18
	v_add_co_ci_u32_e32 v39, vcc_lo, s9, v19, vcc_lo
	global_load_b32 v7, v[15:16], off
	v_dual_mov_b32 v16, v14 :: v_dual_add_nc_u32 v15, -11, v12
	s_clause 0x1
	global_load_b128 v[18:21], v[38:39], off offset:16
	global_load_b128 v[22:25], v[38:39], off
	v_lshlrev_b64 v[34:35], 3, v[13:14]
	v_add_nc_u32_e32 v13, -9, v12
	v_lshlrev_b64 v[15:16], 3, v[15:16]
	s_delay_alu instid0(VALU_DEP_1) | instskip(NEXT) | instid1(VALU_DEP_2)
	v_add_co_u32 v15, vcc_lo, s8, v15
	v_add_co_ci_u32_e32 v16, vcc_lo, s9, v16, vcc_lo
	global_load_b64 v[15:16], v[15:16], off
	s_waitcnt vmcnt(3)
	v_subrev_nc_u32_e32 v7, s12, v7
	s_delay_alu instid0(VALU_DEP_1) | instskip(NEXT) | instid1(VALU_DEP_1)
	v_mul_lo_u32 v50, v7, 12
	v_lshlrev_b64 v[26:27], 3, v[50:51]
	s_delay_alu instid0(VALU_DEP_1) | instskip(NEXT) | instid1(VALU_DEP_2)
	v_add_co_u32 v30, vcc_lo, s10, v26
	v_add_co_ci_u32_e32 v31, vcc_lo, s11, v27, vcc_lo
	v_add_co_u32 v34, vcc_lo, s8, v34
	s_clause 0x1
	global_load_b128 v[26:29], v[30:31], off
	global_load_b128 v[30:33], v[30:31], off offset:16
	v_add_co_ci_u32_e32 v35, vcc_lo, s9, v35, vcc_lo
	global_load_b64 v[58:59], v[34:35], off
	v_lshlrev_b64 v[34:35], 3, v[13:14]
	v_add_nc_u32_e32 v13, -8, v12
	s_delay_alu instid0(VALU_DEP_2) | instskip(NEXT) | instid1(VALU_DEP_3)
	v_add_co_u32 v34, vcc_lo, s8, v34
	v_add_co_ci_u32_e32 v35, vcc_lo, s9, v35, vcc_lo
	global_load_b64 v[60:61], v[34:35], off
	v_lshlrev_b64 v[34:35], 3, v[13:14]
	v_add_nc_u32_e32 v13, 4, v50
	s_delay_alu instid0(VALU_DEP_2) | instskip(NEXT) | instid1(VALU_DEP_3)
	v_add_co_u32 v34, vcc_lo, s8, v34
	v_add_co_ci_u32_e32 v35, vcc_lo, s9, v35, vcc_lo
	global_load_b64 v[62:63], v[34:35], off
	v_lshlrev_b64 v[34:35], 3, v[13:14]
	v_add_nc_u32_e32 v13, -7, v12
	s_delay_alu instid0(VALU_DEP_1) | instskip(NEXT) | instid1(VALU_DEP_3)
	v_lshlrev_b64 v[36:37], 3, v[13:14]
	v_add_co_u32 v46, vcc_lo, s10, v34
	s_delay_alu instid0(VALU_DEP_4) | instskip(SKIP_1) | instid1(VALU_DEP_4)
	v_add_co_ci_u32_e32 v47, vcc_lo, s11, v35, vcc_lo
	v_add_nc_u32_e32 v13, -6, v12
	v_add_co_u32 v51, vcc_lo, s8, v36
	v_add_co_ci_u32_e32 v52, vcc_lo, s9, v37, vcc_lo
	s_clause 0x1
	global_load_b128 v[34:37], v[38:39], off offset:48
	global_load_b128 v[38:41], v[38:39], off offset:32
	s_clause 0x1
	global_load_b128 v[42:45], v[46:47], off offset:16
	global_load_b128 v[46:49], v[46:47], off
	global_load_b64 v[64:65], v[51:52], off
	v_lshlrev_b64 v[51:52], 3, v[13:14]
	v_add_nc_u32_e32 v13, -5, v12
	s_delay_alu instid0(VALU_DEP_2) | instskip(NEXT) | instid1(VALU_DEP_3)
	v_add_co_u32 v51, vcc_lo, s8, v51
	v_add_co_ci_u32_e32 v52, vcc_lo, s9, v52, vcc_lo
	global_load_b64 v[66:67], v[51:52], off
	v_lshlrev_b64 v[51:52], 3, v[13:14]
	v_add_nc_u32_e32 v13, -4, v12
	s_delay_alu instid0(VALU_DEP_2) | instskip(NEXT) | instid1(VALU_DEP_3)
	v_add_co_u32 v51, vcc_lo, s8, v51
	v_add_co_ci_u32_e32 v52, vcc_lo, s9, v52, vcc_lo
	global_load_b64 v[68:69], v[51:52], off
	v_lshlrev_b64 v[51:52], 3, v[13:14]
	v_add_nc_u32_e32 v13, -15, v12
	s_delay_alu instid0(VALU_DEP_2) | instskip(NEXT) | instid1(VALU_DEP_3)
	v_add_co_u32 v51, vcc_lo, s8, v51
	v_add_co_ci_u32_e32 v52, vcc_lo, s9, v52, vcc_lo
	global_load_b64 v[70:71], v[51:52], off
	v_lshlrev_b64 v[51:52], 3, v[13:14]
	v_add_nc_u32_e32 v13, 8, v50
	s_delay_alu instid0(VALU_DEP_1) | instskip(SKIP_1) | instid1(VALU_DEP_4)
	v_lshlrev_b64 v[53:54], 3, v[13:14]
	v_add_nc_u32_e32 v13, -3, v12
	v_add_co_u32 v50, vcc_lo, s8, v51
	v_add_co_ci_u32_e32 v51, vcc_lo, s9, v52, vcc_lo
	s_delay_alu instid0(VALU_DEP_3) | instskip(SKIP_3) | instid1(VALU_DEP_4)
	v_lshlrev_b64 v[55:56], 3, v[13:14]
	v_add_co_u32 v72, vcc_lo, s10, v53
	v_add_co_ci_u32_e32 v73, vcc_lo, s11, v54, vcc_lo
	v_add_nc_u32_e32 v13, -14, v12
	v_add_co_u32 v74, vcc_lo, s8, v55
	v_add_co_ci_u32_e32 v75, vcc_lo, s9, v56, vcc_lo
	global_load_b64 v[76:77], v[50:51], off
	s_clause 0x1
	global_load_b128 v[50:53], v[72:73], off offset:16
	global_load_b128 v[54:57], v[72:73], off
	global_load_b64 v[72:73], v[74:75], off
	s_waitcnt vmcnt(16)
	v_fma_f64 v[7:8], v[22:23], v[26:27], v[8:9]
	v_fma_f64 v[9:10], v[15:16], v[26:27], v[10:11]
	v_lshlrev_b64 v[15:16], 3, v[13:14]
	v_add_nc_u32_e32 v13, -2, v12
	s_delay_alu instid0(VALU_DEP_1) | instskip(NEXT) | instid1(VALU_DEP_3)
	v_lshlrev_b64 v[22:23], 3, v[13:14]
	v_add_co_u32 v15, vcc_lo, s8, v15
	s_delay_alu instid0(VALU_DEP_4) | instskip(SKIP_1) | instid1(VALU_DEP_4)
	v_add_co_ci_u32_e32 v16, vcc_lo, s9, v16, vcc_lo
	v_add_nc_u32_e32 v13, -13, v12
	v_add_co_u32 v22, vcc_lo, s8, v22
	v_add_co_ci_u32_e32 v23, vcc_lo, s9, v23, vcc_lo
	s_clause 0x1
	global_load_b64 v[15:16], v[15:16], off
	global_load_b64 v[22:23], v[22:23], off
	v_fma_f64 v[7:8], v[24:25], v[28:29], v[7:8]
	s_waitcnt vmcnt(16)
	v_fma_f64 v[9:10], v[58:59], v[28:29], v[9:10]
	v_lshlrev_b64 v[24:25], 3, v[13:14]
	v_add_nc_u32_e32 v13, -1, v12
	s_delay_alu instid0(VALU_DEP_1) | instskip(NEXT) | instid1(VALU_DEP_3)
	v_lshlrev_b64 v[26:27], 3, v[13:14]
	v_add_co_u32 v24, vcc_lo, s8, v24
	s_delay_alu instid0(VALU_DEP_4) | instskip(SKIP_1) | instid1(VALU_DEP_4)
	v_add_co_ci_u32_e32 v25, vcc_lo, s9, v25, vcc_lo
	v_mov_b32_e32 v13, v14
	v_add_co_u32 v26, vcc_lo, s8, v26
	v_add_co_ci_u32_e32 v27, vcc_lo, s9, v27, vcc_lo
	s_clause 0x1
	global_load_b64 v[24:25], v[24:25], off
	global_load_b64 v[26:27], v[26:27], off
	v_fma_f64 v[7:8], v[18:19], v[30:31], v[7:8]
	s_waitcnt vmcnt(17)
	v_fma_f64 v[9:10], v[60:61], v[30:31], v[9:10]
	v_lshlrev_b64 v[18:19], 3, v[12:13]
	v_add_nc_u32_e32 v13, -12, v12
	v_add_nc_u32_e32 v12, 0x300, v12
	s_delay_alu instid0(VALU_DEP_2) | instskip(NEXT) | instid1(VALU_DEP_4)
	v_lshlrev_b64 v[28:29], 3, v[13:14]
	v_add_co_u32 v18, vcc_lo, s8, v18
	v_add_co_ci_u32_e32 v19, vcc_lo, s9, v19, vcc_lo
	s_delay_alu instid0(VALU_DEP_3) | instskip(NEXT) | instid1(VALU_DEP_4)
	v_add_co_u32 v28, vcc_lo, s8, v28
	v_add_co_ci_u32_e32 v29, vcc_lo, s9, v29, vcc_lo
	s_clause 0x1
	global_load_b64 v[28:29], v[28:29], off
	global_load_b64 v[18:19], v[18:19], off
	v_cmp_ge_i32_e32 vcc_lo, v6, v17
	s_or_b32 s2, vcc_lo, s2
	v_fma_f64 v[7:8], v[20:21], v[32:33], v[7:8]
	s_waitcnt vmcnt(18)
	v_fma_f64 v[9:10], v[62:63], v[32:33], v[9:10]
	s_waitcnt vmcnt(14)
	s_delay_alu instid0(VALU_DEP_2) | instskip(SKIP_1) | instid1(VALU_DEP_2)
	v_fma_f64 v[7:8], v[38:39], v[46:47], v[7:8]
	s_waitcnt vmcnt(13)
	v_fma_f64 v[9:10], v[64:65], v[46:47], v[9:10]
	s_delay_alu instid0(VALU_DEP_2) | instskip(SKIP_1) | instid1(VALU_DEP_2)
	v_fma_f64 v[7:8], v[40:41], v[48:49], v[7:8]
	s_waitcnt vmcnt(12)
	v_fma_f64 v[9:10], v[66:67], v[48:49], v[9:10]
	;; [unrolled: 4-line block ×4, first 2 shown]
	s_waitcnt vmcnt(7)
	s_delay_alu instid0(VALU_DEP_2) | instskip(SKIP_1) | instid1(VALU_DEP_2)
	v_fma_f64 v[7:8], v[76:77], v[54:55], v[7:8]
	s_waitcnt vmcnt(6)
	v_fma_f64 v[9:10], v[72:73], v[54:55], v[9:10]
	s_waitcnt vmcnt(5)
	s_delay_alu instid0(VALU_DEP_2) | instskip(SKIP_1) | instid1(VALU_DEP_2)
	v_fma_f64 v[7:8], v[15:16], v[56:57], v[7:8]
	s_waitcnt vmcnt(4)
	v_fma_f64 v[9:10], v[22:23], v[56:57], v[9:10]
	;; [unrolled: 5-line block ×4, first 2 shown]
	s_and_not1_b32 exec_lo, exec_lo, s2
	s_cbranch_execnz .LBB129_15
; %bb.16:
	s_or_b32 exec_lo, exec_lo, s2
.LBB129_17:
	s_delay_alu instid0(SALU_CYCLE_1)
	s_or_b32 exec_lo, exec_lo, s3
.LBB129_18:
	v_mbcnt_lo_u32_b32 v14, -1, 0
	s_delay_alu instid0(VALU_DEP_1) | instskip(NEXT) | instid1(VALU_DEP_1)
	v_xor_b32_e32 v6, 16, v14
	v_cmp_gt_i32_e32 vcc_lo, 32, v6
	v_cndmask_b32_e32 v6, v14, v6, vcc_lo
	s_delay_alu instid0(VALU_DEP_1)
	v_lshlrev_b32_e32 v13, 2, v6
	ds_bpermute_b32 v6, v13, v8
	ds_bpermute_b32 v7, v13, v9
	;; [unrolled: 1-line block ×4, first 2 shown]
	s_waitcnt lgkmcnt(2)
	v_add_f64 v[6:7], v[8:9], v[6:7]
	s_waitcnt lgkmcnt(0)
	v_add_f64 v[8:9], v[10:11], v[12:13]
	v_xor_b32_e32 v10, 8, v14
	s_delay_alu instid0(VALU_DEP_1) | instskip(SKIP_1) | instid1(VALU_DEP_1)
	v_cmp_gt_i32_e32 vcc_lo, 32, v10
	v_cndmask_b32_e32 v10, v14, v10, vcc_lo
	v_lshlrev_b32_e32 v13, 2, v10
	ds_bpermute_b32 v10, v13, v6
	ds_bpermute_b32 v11, v13, v7
	;; [unrolled: 1-line block ×4, first 2 shown]
	s_waitcnt lgkmcnt(2)
	v_add_f64 v[6:7], v[6:7], v[10:11]
	v_xor_b32_e32 v10, 4, v14
	s_waitcnt lgkmcnt(0)
	v_add_f64 v[8:9], v[8:9], v[12:13]
	s_delay_alu instid0(VALU_DEP_2) | instskip(SKIP_1) | instid1(VALU_DEP_1)
	v_cmp_gt_i32_e32 vcc_lo, 32, v10
	v_cndmask_b32_e32 v10, v14, v10, vcc_lo
	v_lshlrev_b32_e32 v13, 2, v10
	ds_bpermute_b32 v10, v13, v6
	ds_bpermute_b32 v11, v13, v7
	;; [unrolled: 1-line block ×4, first 2 shown]
	s_waitcnt lgkmcnt(2)
	v_add_f64 v[6:7], v[6:7], v[10:11]
	v_xor_b32_e32 v10, 2, v14
	s_waitcnt lgkmcnt(0)
	v_add_f64 v[8:9], v[8:9], v[12:13]
	s_delay_alu instid0(VALU_DEP_2) | instskip(SKIP_1) | instid1(VALU_DEP_1)
	v_cmp_gt_i32_e32 vcc_lo, 32, v10
	v_cndmask_b32_e32 v10, v14, v10, vcc_lo
	v_lshlrev_b32_e32 v13, 2, v10
	ds_bpermute_b32 v10, v13, v6
	ds_bpermute_b32 v11, v13, v7
	;; [unrolled: 1-line block ×4, first 2 shown]
	s_waitcnt lgkmcnt(2)
	v_add_f64 v[6:7], v[6:7], v[10:11]
	s_waitcnt lgkmcnt(0)
	v_add_f64 v[10:11], v[8:9], v[12:13]
	v_xor_b32_e32 v8, 1, v14
	s_delay_alu instid0(VALU_DEP_1) | instskip(SKIP_2) | instid1(VALU_DEP_2)
	v_cmp_gt_i32_e32 vcc_lo, 32, v8
	v_cndmask_b32_e32 v8, v14, v8, vcc_lo
	v_cmp_eq_u32_e32 vcc_lo, 31, v0
	v_lshlrev_b32_e32 v13, 2, v8
	ds_bpermute_b32 v8, v13, v6
	ds_bpermute_b32 v9, v13, v7
	;; [unrolled: 1-line block ×4, first 2 shown]
	s_and_b32 exec_lo, exec_lo, vcc_lo
	s_cbranch_execz .LBB129_23
; %bb.19:
	s_waitcnt lgkmcnt(2)
	v_add_f64 v[8:9], v[6:7], v[8:9]
	s_waitcnt lgkmcnt(0)
	v_add_f64 v[6:7], v[10:11], v[12:13]
	s_load_b64 s[0:1], s[0:1], 0x38
	s_mov_b32 s2, exec_lo
	v_cmpx_eq_f64_e32 0, v[3:4]
	s_xor_b32 s2, exec_lo, s2
	s_cbranch_execz .LBB129_21
; %bb.20:
	s_delay_alu instid0(VALU_DEP_3) | instskip(NEXT) | instid1(VALU_DEP_3)
	v_mul_f64 v[8:9], v[1:2], v[8:9]
	v_mul_f64 v[10:11], v[1:2], v[6:7]
	v_lshlrev_b32_e32 v0, 1, v5
                                        ; implicit-def: $vgpr5
                                        ; implicit-def: $vgpr3_vgpr4
                                        ; implicit-def: $vgpr6_vgpr7
	s_delay_alu instid0(VALU_DEP_1) | instskip(NEXT) | instid1(VALU_DEP_1)
	v_ashrrev_i32_e32 v1, 31, v0
	v_lshlrev_b64 v[0:1], 3, v[0:1]
	s_waitcnt lgkmcnt(0)
	s_delay_alu instid0(VALU_DEP_1) | instskip(NEXT) | instid1(VALU_DEP_2)
	v_add_co_u32 v0, vcc_lo, s0, v0
	v_add_co_ci_u32_e32 v1, vcc_lo, s1, v1, vcc_lo
	global_store_b128 v[0:1], v[8:11], off
                                        ; implicit-def: $vgpr1_vgpr2
                                        ; implicit-def: $vgpr8_vgpr9
.LBB129_21:
	s_and_not1_saveexec_b32 s2, s2
	s_cbranch_execz .LBB129_23
; %bb.22:
	v_lshlrev_b32_e32 v10, 1, v5
	s_delay_alu instid0(VALU_DEP_4) | instskip(NEXT) | instid1(VALU_DEP_4)
	v_mul_f64 v[8:9], v[1:2], v[8:9]
	v_mul_f64 v[5:6], v[1:2], v[6:7]
	s_delay_alu instid0(VALU_DEP_3) | instskip(NEXT) | instid1(VALU_DEP_1)
	v_ashrrev_i32_e32 v11, 31, v10
	v_lshlrev_b64 v[10:11], 3, v[10:11]
	s_waitcnt lgkmcnt(0)
	s_delay_alu instid0(VALU_DEP_1) | instskip(NEXT) | instid1(VALU_DEP_2)
	v_add_co_u32 v14, vcc_lo, s0, v10
	v_add_co_ci_u32_e32 v15, vcc_lo, s1, v11, vcc_lo
	global_load_b128 v[10:13], v[14:15], off
	s_waitcnt vmcnt(0)
	v_fma_f64 v[0:1], v[3:4], v[10:11], v[8:9]
	v_fma_f64 v[2:3], v[3:4], v[12:13], v[5:6]
	global_store_b128 v[14:15], v[0:3], off
.LBB129_23:
	s_nop 0
	s_sendmsg sendmsg(MSG_DEALLOC_VGPRS)
	s_endpgm
	.section	.rodata,"a",@progbits
	.p2align	6, 0x0
	.amdhsa_kernel _ZN9rocsparseL19gebsrmvn_2xn_kernelILj128ELj12ELj32EdEEvi20rocsparse_direction_NS_24const_host_device_scalarIT2_EEPKiS6_PKS3_S8_S4_PS3_21rocsparse_index_base_b
		.amdhsa_group_segment_fixed_size 0
		.amdhsa_private_segment_fixed_size 0
		.amdhsa_kernarg_size 72
		.amdhsa_user_sgpr_count 15
		.amdhsa_user_sgpr_dispatch_ptr 0
		.amdhsa_user_sgpr_queue_ptr 0
		.amdhsa_user_sgpr_kernarg_segment_ptr 1
		.amdhsa_user_sgpr_dispatch_id 0
		.amdhsa_user_sgpr_private_segment_size 0
		.amdhsa_wavefront_size32 1
		.amdhsa_uses_dynamic_stack 0
		.amdhsa_enable_private_segment 0
		.amdhsa_system_sgpr_workgroup_id_x 1
		.amdhsa_system_sgpr_workgroup_id_y 0
		.amdhsa_system_sgpr_workgroup_id_z 0
		.amdhsa_system_sgpr_workgroup_info 0
		.amdhsa_system_vgpr_workitem_id 0
		.amdhsa_next_free_vgpr 78
		.amdhsa_next_free_sgpr 16
		.amdhsa_reserve_vcc 1
		.amdhsa_float_round_mode_32 0
		.amdhsa_float_round_mode_16_64 0
		.amdhsa_float_denorm_mode_32 3
		.amdhsa_float_denorm_mode_16_64 3
		.amdhsa_dx10_clamp 1
		.amdhsa_ieee_mode 1
		.amdhsa_fp16_overflow 0
		.amdhsa_workgroup_processor_mode 1
		.amdhsa_memory_ordered 1
		.amdhsa_forward_progress 0
		.amdhsa_shared_vgpr_count 0
		.amdhsa_exception_fp_ieee_invalid_op 0
		.amdhsa_exception_fp_denorm_src 0
		.amdhsa_exception_fp_ieee_div_zero 0
		.amdhsa_exception_fp_ieee_overflow 0
		.amdhsa_exception_fp_ieee_underflow 0
		.amdhsa_exception_fp_ieee_inexact 0
		.amdhsa_exception_int_div_zero 0
	.end_amdhsa_kernel
	.section	.text._ZN9rocsparseL19gebsrmvn_2xn_kernelILj128ELj12ELj32EdEEvi20rocsparse_direction_NS_24const_host_device_scalarIT2_EEPKiS6_PKS3_S8_S4_PS3_21rocsparse_index_base_b,"axG",@progbits,_ZN9rocsparseL19gebsrmvn_2xn_kernelILj128ELj12ELj32EdEEvi20rocsparse_direction_NS_24const_host_device_scalarIT2_EEPKiS6_PKS3_S8_S4_PS3_21rocsparse_index_base_b,comdat
.Lfunc_end129:
	.size	_ZN9rocsparseL19gebsrmvn_2xn_kernelILj128ELj12ELj32EdEEvi20rocsparse_direction_NS_24const_host_device_scalarIT2_EEPKiS6_PKS3_S8_S4_PS3_21rocsparse_index_base_b, .Lfunc_end129-_ZN9rocsparseL19gebsrmvn_2xn_kernelILj128ELj12ELj32EdEEvi20rocsparse_direction_NS_24const_host_device_scalarIT2_EEPKiS6_PKS3_S8_S4_PS3_21rocsparse_index_base_b
                                        ; -- End function
	.section	.AMDGPU.csdata,"",@progbits
; Kernel info:
; codeLenInByte = 3072
; NumSgprs: 18
; NumVgprs: 78
; ScratchSize: 0
; MemoryBound: 1
; FloatMode: 240
; IeeeMode: 1
; LDSByteSize: 0 bytes/workgroup (compile time only)
; SGPRBlocks: 2
; VGPRBlocks: 9
; NumSGPRsForWavesPerEU: 18
; NumVGPRsForWavesPerEU: 78
; Occupancy: 16
; WaveLimiterHint : 1
; COMPUTE_PGM_RSRC2:SCRATCH_EN: 0
; COMPUTE_PGM_RSRC2:USER_SGPR: 15
; COMPUTE_PGM_RSRC2:TRAP_HANDLER: 0
; COMPUTE_PGM_RSRC2:TGID_X_EN: 1
; COMPUTE_PGM_RSRC2:TGID_Y_EN: 0
; COMPUTE_PGM_RSRC2:TGID_Z_EN: 0
; COMPUTE_PGM_RSRC2:TIDIG_COMP_CNT: 0
	.section	.text._ZN9rocsparseL19gebsrmvn_2xn_kernelILj128ELj12ELj64EdEEvi20rocsparse_direction_NS_24const_host_device_scalarIT2_EEPKiS6_PKS3_S8_S4_PS3_21rocsparse_index_base_b,"axG",@progbits,_ZN9rocsparseL19gebsrmvn_2xn_kernelILj128ELj12ELj64EdEEvi20rocsparse_direction_NS_24const_host_device_scalarIT2_EEPKiS6_PKS3_S8_S4_PS3_21rocsparse_index_base_b,comdat
	.globl	_ZN9rocsparseL19gebsrmvn_2xn_kernelILj128ELj12ELj64EdEEvi20rocsparse_direction_NS_24const_host_device_scalarIT2_EEPKiS6_PKS3_S8_S4_PS3_21rocsparse_index_base_b ; -- Begin function _ZN9rocsparseL19gebsrmvn_2xn_kernelILj128ELj12ELj64EdEEvi20rocsparse_direction_NS_24const_host_device_scalarIT2_EEPKiS6_PKS3_S8_S4_PS3_21rocsparse_index_base_b
	.p2align	8
	.type	_ZN9rocsparseL19gebsrmvn_2xn_kernelILj128ELj12ELj64EdEEvi20rocsparse_direction_NS_24const_host_device_scalarIT2_EEPKiS6_PKS3_S8_S4_PS3_21rocsparse_index_base_b,@function
_ZN9rocsparseL19gebsrmvn_2xn_kernelILj128ELj12ELj64EdEEvi20rocsparse_direction_NS_24const_host_device_scalarIT2_EEPKiS6_PKS3_S8_S4_PS3_21rocsparse_index_base_b: ; @_ZN9rocsparseL19gebsrmvn_2xn_kernelILj128ELj12ELj64EdEEvi20rocsparse_direction_NS_24const_host_device_scalarIT2_EEPKiS6_PKS3_S8_S4_PS3_21rocsparse_index_base_b
; %bb.0:
	s_clause 0x2
	s_load_b64 s[12:13], s[0:1], 0x40
	s_load_b64 s[4:5], s[0:1], 0x8
	;; [unrolled: 1-line block ×3, first 2 shown]
	s_waitcnt lgkmcnt(0)
	s_bitcmp1_b32 s13, 0
	v_dual_mov_b32 v1, s4 :: v_dual_mov_b32 v2, s5
	s_cselect_b32 s6, -1, 0
	s_delay_alu instid0(SALU_CYCLE_1)
	s_and_b32 vcc_lo, exec_lo, s6
	s_xor_b32 s6, s6, -1
	s_cbranch_vccnz .LBB130_2
; %bb.1:
	v_dual_mov_b32 v1, s4 :: v_dual_mov_b32 v2, s5
	flat_load_b64 v[1:2], v[1:2]
.LBB130_2:
	v_dual_mov_b32 v4, s3 :: v_dual_mov_b32 v3, s2
	s_and_not1_b32 vcc_lo, exec_lo, s6
	s_cbranch_vccnz .LBB130_4
; %bb.3:
	v_dual_mov_b32 v4, s3 :: v_dual_mov_b32 v3, s2
	flat_load_b64 v[3:4], v[3:4]
.LBB130_4:
	s_waitcnt vmcnt(0) lgkmcnt(0)
	v_cmp_neq_f64_e32 vcc_lo, 0, v[1:2]
	v_cmp_neq_f64_e64 s2, 1.0, v[3:4]
	s_delay_alu instid0(VALU_DEP_1) | instskip(NEXT) | instid1(SALU_CYCLE_1)
	s_or_b32 s2, vcc_lo, s2
	s_and_saveexec_b32 s3, s2
	s_cbranch_execz .LBB130_23
; %bb.5:
	s_load_b64 s[2:3], s[0:1], 0x0
	v_lshrrev_b32_e32 v5, 6, v0
	s_delay_alu instid0(VALU_DEP_1) | instskip(SKIP_1) | instid1(VALU_DEP_1)
	v_lshl_or_b32 v5, s15, 1, v5
	s_waitcnt lgkmcnt(0)
	v_cmp_gt_i32_e32 vcc_lo, s2, v5
	s_and_b32 exec_lo, exec_lo, vcc_lo
	s_cbranch_execz .LBB130_23
; %bb.6:
	s_load_b256 s[4:11], s[0:1], 0x10
	v_ashrrev_i32_e32 v6, 31, v5
	v_and_b32_e32 v0, 63, v0
	s_cmp_lg_u32 s3, 0
	s_delay_alu instid0(VALU_DEP_2) | instskip(SKIP_1) | instid1(VALU_DEP_1)
	v_lshlrev_b64 v[6:7], 2, v[5:6]
	s_waitcnt lgkmcnt(0)
	v_add_co_u32 v6, vcc_lo, s4, v6
	s_delay_alu instid0(VALU_DEP_2) | instskip(SKIP_4) | instid1(VALU_DEP_2)
	v_add_co_ci_u32_e32 v7, vcc_lo, s5, v7, vcc_lo
	global_load_b64 v[6:7], v[6:7], off
	s_waitcnt vmcnt(0)
	v_subrev_nc_u32_e32 v6, s12, v6
	v_subrev_nc_u32_e32 v17, s12, v7
	v_add_nc_u32_e32 v6, v6, v0
	s_delay_alu instid0(VALU_DEP_1)
	v_cmp_lt_i32_e64 s2, v6, v17
	s_cbranch_scc0 .LBB130_12
; %bb.7:
	v_mov_b32_e32 v8, 0
	v_mov_b32_e32 v9, 0
	s_delay_alu instid0(VALU_DEP_1)
	v_dual_mov_b32 v11, v9 :: v_dual_mov_b32 v10, v8
	s_and_saveexec_b32 s3, s2
	s_cbranch_execz .LBB130_11
; %bb.8:
	v_dual_mov_b32 v8, 0 :: v_dual_mov_b32 v15, v6
	v_dual_mov_b32 v9, 0 :: v_dual_mov_b32 v14, 0
	v_mad_u64_u32 v[12:13], null, v6, 24, 22
	s_mov_b32 s4, 0
	s_delay_alu instid0(VALU_DEP_2)
	v_dual_mov_b32 v11, v9 :: v_dual_mov_b32 v10, v8
.LBB130_9:                              ; =>This Inner Loop Header: Depth=1
	v_ashrrev_i32_e32 v16, 31, v15
	s_delay_alu instid0(VALU_DEP_3) | instskip(SKIP_1) | instid1(VALU_DEP_3)
	v_subrev_nc_u32_e32 v13, 22, v12
	v_mov_b32_e32 v67, v14
	v_lshlrev_b64 v[18:19], 2, v[15:16]
	v_add_nc_u32_e32 v15, 64, v15
	s_delay_alu instid0(VALU_DEP_2) | instskip(NEXT) | instid1(VALU_DEP_3)
	v_add_co_u32 v18, vcc_lo, s6, v18
	v_add_co_ci_u32_e32 v19, vcc_lo, s7, v19, vcc_lo
	global_load_b32 v7, v[18:19], off
	v_lshlrev_b64 v[18:19], 3, v[13:14]
	v_add_nc_u32_e32 v13, -14, v12
	s_delay_alu instid0(VALU_DEP_1) | instskip(NEXT) | instid1(VALU_DEP_3)
	v_lshlrev_b64 v[42:43], 3, v[13:14]
	v_add_co_u32 v38, vcc_lo, s8, v18
	s_delay_alu instid0(VALU_DEP_4) | instskip(SKIP_2) | instid1(VALU_DEP_1)
	v_add_co_ci_u32_e32 v39, vcc_lo, s9, v19, vcc_lo
	s_waitcnt vmcnt(0)
	v_subrev_nc_u32_e32 v7, s12, v7
	v_mul_lo_u32 v66, v7, 12
	s_delay_alu instid0(VALU_DEP_1) | instskip(SKIP_1) | instid1(VALU_DEP_1)
	v_lshlrev_b64 v[20:21], 3, v[66:67]
	v_add_nc_u32_e32 v13, 4, v66
	v_lshlrev_b64 v[44:45], 3, v[13:14]
	s_delay_alu instid0(VALU_DEP_3) | instskip(NEXT) | instid1(VALU_DEP_4)
	v_add_co_u32 v30, vcc_lo, s10, v20
	v_add_co_ci_u32_e32 v31, vcc_lo, s11, v21, vcc_lo
	s_clause 0x1
	global_load_b128 v[18:21], v[38:39], off offset:16
	global_load_b128 v[22:25], v[38:39], off
	s_clause 0x1
	global_load_b128 v[26:29], v[30:31], off
	global_load_b128 v[30:33], v[30:31], off offset:16
	s_clause 0x1
	global_load_b128 v[34:37], v[38:39], off offset:32
	global_load_b128 v[38:41], v[38:39], off offset:48
	v_add_co_u32 v42, vcc_lo, s8, v42
	v_add_co_ci_u32_e32 v43, vcc_lo, s9, v43, vcc_lo
	v_add_co_u32 v50, vcc_lo, s10, v44
	v_add_co_ci_u32_e32 v51, vcc_lo, s11, v45, vcc_lo
	global_load_b128 v[42:45], v[42:43], off
	s_clause 0x1
	global_load_b128 v[46:49], v[50:51], off
	global_load_b128 v[50:53], v[50:51], off offset:16
	v_add_nc_u32_e32 v13, -12, v12
	s_delay_alu instid0(VALU_DEP_1) | instskip(SKIP_1) | instid1(VALU_DEP_2)
	v_lshlrev_b64 v[54:55], 3, v[13:14]
	v_add_nc_u32_e32 v13, -10, v12
	v_add_co_u32 v54, vcc_lo, s8, v54
	s_delay_alu instid0(VALU_DEP_3) | instskip(NEXT) | instid1(VALU_DEP_3)
	v_add_co_ci_u32_e32 v55, vcc_lo, s9, v55, vcc_lo
	v_lshlrev_b64 v[58:59], 3, v[13:14]
	v_add_nc_u32_e32 v13, -8, v12
	global_load_b128 v[54:57], v[54:55], off
	v_add_co_u32 v58, vcc_lo, s8, v58
	v_add_co_ci_u32_e32 v59, vcc_lo, s9, v59, vcc_lo
	v_lshlrev_b64 v[62:63], 3, v[13:14]
	v_add_nc_u32_e32 v13, -6, v12
	global_load_b128 v[58:61], v[58:59], off
	v_add_co_u32 v62, vcc_lo, s8, v62
	v_add_co_ci_u32_e32 v63, vcc_lo, s9, v63, vcc_lo
	v_lshlrev_b64 v[67:68], 3, v[13:14]
	v_add_nc_u32_e32 v13, 8, v66
	global_load_b128 v[62:65], v[62:63], off
	v_lshlrev_b64 v[69:70], 3, v[13:14]
	v_add_co_u32 v66, vcc_lo, s8, v67
	v_add_co_ci_u32_e32 v67, vcc_lo, s9, v68, vcc_lo
	v_add_nc_u32_e32 v13, -4, v12
	s_delay_alu instid0(VALU_DEP_4)
	v_add_co_u32 v74, vcc_lo, s10, v69
	v_add_co_ci_u32_e32 v75, vcc_lo, s11, v70, vcc_lo
	global_load_b128 v[66:69], v[66:67], off
	s_clause 0x1
	global_load_b128 v[70:73], v[74:75], off
	global_load_b128 v[74:77], v[74:75], off offset:16
	s_waitcnt vmcnt(12)
	v_fma_f64 v[22:23], v[22:23], v[26:27], v[8:9]
	v_fma_f64 v[24:25], v[24:25], v[26:27], v[10:11]
	v_lshlrev_b64 v[7:8], 3, v[13:14]
	v_add_nc_u32_e32 v13, -2, v12
	s_delay_alu instid0(VALU_DEP_2) | instskip(NEXT) | instid1(VALU_DEP_3)
	v_add_co_u32 v7, vcc_lo, s8, v7
	v_add_co_ci_u32_e32 v8, vcc_lo, s9, v8, vcc_lo
	global_load_b128 v[7:10], v[7:8], off
	v_fma_f64 v[22:23], v[18:19], v[28:29], v[22:23]
	v_fma_f64 v[24:25], v[20:21], v[28:29], v[24:25]
	v_lshlrev_b64 v[18:19], 3, v[13:14]
	v_mov_b32_e32 v13, v14
	s_delay_alu instid0(VALU_DEP_2) | instskip(NEXT) | instid1(VALU_DEP_3)
	v_add_co_u32 v18, vcc_lo, s8, v18
	v_add_co_ci_u32_e32 v19, vcc_lo, s9, v19, vcc_lo
	global_load_b128 v[18:21], v[18:19], off
	s_waitcnt vmcnt(12)
	v_fma_f64 v[26:27], v[34:35], v[30:31], v[22:23]
	v_fma_f64 v[28:29], v[36:37], v[30:31], v[24:25]
	v_lshlrev_b64 v[22:23], 3, v[12:13]
	v_add_nc_u32_e32 v12, 0x600, v12
	s_delay_alu instid0(VALU_DEP_2) | instskip(NEXT) | instid1(VALU_DEP_3)
	v_add_co_u32 v22, vcc_lo, s8, v22
	v_add_co_ci_u32_e32 v23, vcc_lo, s9, v23, vcc_lo
	v_cmp_ge_i32_e32 vcc_lo, v15, v17
	global_load_b128 v[22:25], v[22:23], off
	s_or_b32 s4, vcc_lo, s4
	s_waitcnt vmcnt(12)
	v_fma_f64 v[26:27], v[38:39], v[32:33], v[26:27]
	v_fma_f64 v[28:29], v[40:41], v[32:33], v[28:29]
	s_waitcnt vmcnt(10)
	s_delay_alu instid0(VALU_DEP_2) | instskip(NEXT) | instid1(VALU_DEP_2)
	v_fma_f64 v[26:27], v[42:43], v[46:47], v[26:27]
	v_fma_f64 v[28:29], v[44:45], v[46:47], v[28:29]
	s_waitcnt vmcnt(8)
	s_delay_alu instid0(VALU_DEP_2) | instskip(NEXT) | instid1(VALU_DEP_2)
	;; [unrolled: 4-line block ×8, first 2 shown]
	v_fma_f64 v[8:9], v[22:23], v[76:77], v[7:8]
	v_fma_f64 v[10:11], v[24:25], v[76:77], v[10:11]
	s_and_not1_b32 exec_lo, exec_lo, s4
	s_cbranch_execnz .LBB130_9
; %bb.10:
	s_or_b32 exec_lo, exec_lo, s4
.LBB130_11:
	s_delay_alu instid0(SALU_CYCLE_1)
	s_or_b32 exec_lo, exec_lo, s3
	s_cbranch_execz .LBB130_13
	s_branch .LBB130_18
.LBB130_12:
                                        ; implicit-def: $vgpr8_vgpr9
                                        ; implicit-def: $vgpr10_vgpr11
.LBB130_13:
	v_mov_b32_e32 v8, 0
	v_mov_b32_e32 v9, 0
	s_delay_alu instid0(VALU_DEP_1)
	v_dual_mov_b32 v11, v9 :: v_dual_mov_b32 v10, v8
	s_and_saveexec_b32 s3, s2
	s_cbranch_execz .LBB130_17
; %bb.14:
	v_mov_b32_e32 v8, 0
	v_dual_mov_b32 v9, 0 :: v_dual_mov_b32 v14, 0
	v_mad_u64_u32 v[12:13], null, v6, 24, 23
	s_mov_b32 s2, 0
	s_delay_alu instid0(VALU_DEP_2)
	v_dual_mov_b32 v11, v9 :: v_dual_mov_b32 v10, v8
.LBB130_15:                             ; =>This Inner Loop Header: Depth=1
	v_ashrrev_i32_e32 v7, 31, v6
	s_delay_alu instid0(VALU_DEP_3) | instskip(SKIP_1) | instid1(VALU_DEP_3)
	v_subrev_nc_u32_e32 v13, 23, v12
	v_mov_b32_e32 v51, v14
	v_lshlrev_b64 v[15:16], 2, v[6:7]
	v_add_nc_u32_e32 v6, 64, v6
	s_delay_alu instid0(VALU_DEP_4) | instskip(SKIP_1) | instid1(VALU_DEP_4)
	v_lshlrev_b64 v[18:19], 3, v[13:14]
	v_add_nc_u32_e32 v13, -10, v12
	v_add_co_u32 v15, vcc_lo, s6, v15
	v_add_co_ci_u32_e32 v16, vcc_lo, s7, v16, vcc_lo
	s_delay_alu instid0(VALU_DEP_4)
	v_add_co_u32 v38, vcc_lo, s8, v18
	v_add_co_ci_u32_e32 v39, vcc_lo, s9, v19, vcc_lo
	global_load_b32 v7, v[15:16], off
	v_dual_mov_b32 v16, v14 :: v_dual_add_nc_u32 v15, -11, v12
	s_clause 0x1
	global_load_b128 v[18:21], v[38:39], off offset:16
	global_load_b128 v[22:25], v[38:39], off
	v_lshlrev_b64 v[34:35], 3, v[13:14]
	v_add_nc_u32_e32 v13, -9, v12
	v_lshlrev_b64 v[15:16], 3, v[15:16]
	s_delay_alu instid0(VALU_DEP_1) | instskip(NEXT) | instid1(VALU_DEP_2)
	v_add_co_u32 v15, vcc_lo, s8, v15
	v_add_co_ci_u32_e32 v16, vcc_lo, s9, v16, vcc_lo
	global_load_b64 v[15:16], v[15:16], off
	s_waitcnt vmcnt(3)
	v_subrev_nc_u32_e32 v7, s12, v7
	s_delay_alu instid0(VALU_DEP_1) | instskip(NEXT) | instid1(VALU_DEP_1)
	v_mul_lo_u32 v50, v7, 12
	v_lshlrev_b64 v[26:27], 3, v[50:51]
	s_delay_alu instid0(VALU_DEP_1) | instskip(NEXT) | instid1(VALU_DEP_2)
	v_add_co_u32 v30, vcc_lo, s10, v26
	v_add_co_ci_u32_e32 v31, vcc_lo, s11, v27, vcc_lo
	v_add_co_u32 v34, vcc_lo, s8, v34
	s_clause 0x1
	global_load_b128 v[26:29], v[30:31], off
	global_load_b128 v[30:33], v[30:31], off offset:16
	v_add_co_ci_u32_e32 v35, vcc_lo, s9, v35, vcc_lo
	global_load_b64 v[58:59], v[34:35], off
	v_lshlrev_b64 v[34:35], 3, v[13:14]
	v_add_nc_u32_e32 v13, -8, v12
	s_delay_alu instid0(VALU_DEP_2) | instskip(NEXT) | instid1(VALU_DEP_3)
	v_add_co_u32 v34, vcc_lo, s8, v34
	v_add_co_ci_u32_e32 v35, vcc_lo, s9, v35, vcc_lo
	global_load_b64 v[60:61], v[34:35], off
	v_lshlrev_b64 v[34:35], 3, v[13:14]
	v_add_nc_u32_e32 v13, 4, v50
	s_delay_alu instid0(VALU_DEP_2) | instskip(NEXT) | instid1(VALU_DEP_3)
	v_add_co_u32 v34, vcc_lo, s8, v34
	v_add_co_ci_u32_e32 v35, vcc_lo, s9, v35, vcc_lo
	global_load_b64 v[62:63], v[34:35], off
	v_lshlrev_b64 v[34:35], 3, v[13:14]
	v_add_nc_u32_e32 v13, -7, v12
	s_delay_alu instid0(VALU_DEP_1) | instskip(NEXT) | instid1(VALU_DEP_3)
	v_lshlrev_b64 v[36:37], 3, v[13:14]
	v_add_co_u32 v46, vcc_lo, s10, v34
	s_delay_alu instid0(VALU_DEP_4) | instskip(SKIP_1) | instid1(VALU_DEP_4)
	v_add_co_ci_u32_e32 v47, vcc_lo, s11, v35, vcc_lo
	v_add_nc_u32_e32 v13, -6, v12
	v_add_co_u32 v51, vcc_lo, s8, v36
	v_add_co_ci_u32_e32 v52, vcc_lo, s9, v37, vcc_lo
	s_clause 0x1
	global_load_b128 v[34:37], v[38:39], off offset:48
	global_load_b128 v[38:41], v[38:39], off offset:32
	s_clause 0x1
	global_load_b128 v[42:45], v[46:47], off offset:16
	global_load_b128 v[46:49], v[46:47], off
	global_load_b64 v[64:65], v[51:52], off
	v_lshlrev_b64 v[51:52], 3, v[13:14]
	v_add_nc_u32_e32 v13, -5, v12
	s_delay_alu instid0(VALU_DEP_2) | instskip(NEXT) | instid1(VALU_DEP_3)
	v_add_co_u32 v51, vcc_lo, s8, v51
	v_add_co_ci_u32_e32 v52, vcc_lo, s9, v52, vcc_lo
	global_load_b64 v[66:67], v[51:52], off
	v_lshlrev_b64 v[51:52], 3, v[13:14]
	v_add_nc_u32_e32 v13, -4, v12
	s_delay_alu instid0(VALU_DEP_2) | instskip(NEXT) | instid1(VALU_DEP_3)
	v_add_co_u32 v51, vcc_lo, s8, v51
	v_add_co_ci_u32_e32 v52, vcc_lo, s9, v52, vcc_lo
	;; [unrolled: 6-line block ×3, first 2 shown]
	global_load_b64 v[70:71], v[51:52], off
	v_lshlrev_b64 v[51:52], 3, v[13:14]
	v_add_nc_u32_e32 v13, 8, v50
	s_delay_alu instid0(VALU_DEP_1) | instskip(SKIP_1) | instid1(VALU_DEP_4)
	v_lshlrev_b64 v[53:54], 3, v[13:14]
	v_add_nc_u32_e32 v13, -3, v12
	v_add_co_u32 v50, vcc_lo, s8, v51
	v_add_co_ci_u32_e32 v51, vcc_lo, s9, v52, vcc_lo
	s_delay_alu instid0(VALU_DEP_3) | instskip(SKIP_3) | instid1(VALU_DEP_4)
	v_lshlrev_b64 v[55:56], 3, v[13:14]
	v_add_co_u32 v72, vcc_lo, s10, v53
	v_add_co_ci_u32_e32 v73, vcc_lo, s11, v54, vcc_lo
	v_add_nc_u32_e32 v13, -14, v12
	v_add_co_u32 v74, vcc_lo, s8, v55
	v_add_co_ci_u32_e32 v75, vcc_lo, s9, v56, vcc_lo
	global_load_b64 v[76:77], v[50:51], off
	s_clause 0x1
	global_load_b128 v[50:53], v[72:73], off offset:16
	global_load_b128 v[54:57], v[72:73], off
	global_load_b64 v[72:73], v[74:75], off
	s_waitcnt vmcnt(16)
	v_fma_f64 v[7:8], v[22:23], v[26:27], v[8:9]
	v_fma_f64 v[9:10], v[15:16], v[26:27], v[10:11]
	v_lshlrev_b64 v[15:16], 3, v[13:14]
	v_add_nc_u32_e32 v13, -2, v12
	s_delay_alu instid0(VALU_DEP_1) | instskip(NEXT) | instid1(VALU_DEP_3)
	v_lshlrev_b64 v[22:23], 3, v[13:14]
	v_add_co_u32 v15, vcc_lo, s8, v15
	s_delay_alu instid0(VALU_DEP_4) | instskip(SKIP_1) | instid1(VALU_DEP_4)
	v_add_co_ci_u32_e32 v16, vcc_lo, s9, v16, vcc_lo
	v_add_nc_u32_e32 v13, -13, v12
	v_add_co_u32 v22, vcc_lo, s8, v22
	v_add_co_ci_u32_e32 v23, vcc_lo, s9, v23, vcc_lo
	s_clause 0x1
	global_load_b64 v[15:16], v[15:16], off
	global_load_b64 v[22:23], v[22:23], off
	v_fma_f64 v[7:8], v[24:25], v[28:29], v[7:8]
	s_waitcnt vmcnt(16)
	v_fma_f64 v[9:10], v[58:59], v[28:29], v[9:10]
	v_lshlrev_b64 v[24:25], 3, v[13:14]
	v_add_nc_u32_e32 v13, -1, v12
	s_delay_alu instid0(VALU_DEP_1) | instskip(NEXT) | instid1(VALU_DEP_3)
	v_lshlrev_b64 v[26:27], 3, v[13:14]
	v_add_co_u32 v24, vcc_lo, s8, v24
	s_delay_alu instid0(VALU_DEP_4) | instskip(SKIP_1) | instid1(VALU_DEP_4)
	v_add_co_ci_u32_e32 v25, vcc_lo, s9, v25, vcc_lo
	v_mov_b32_e32 v13, v14
	v_add_co_u32 v26, vcc_lo, s8, v26
	v_add_co_ci_u32_e32 v27, vcc_lo, s9, v27, vcc_lo
	s_clause 0x1
	global_load_b64 v[24:25], v[24:25], off
	global_load_b64 v[26:27], v[26:27], off
	v_fma_f64 v[7:8], v[18:19], v[30:31], v[7:8]
	s_waitcnt vmcnt(17)
	v_fma_f64 v[9:10], v[60:61], v[30:31], v[9:10]
	v_lshlrev_b64 v[18:19], 3, v[12:13]
	v_add_nc_u32_e32 v13, -12, v12
	v_add_nc_u32_e32 v12, 0x600, v12
	s_delay_alu instid0(VALU_DEP_2) | instskip(NEXT) | instid1(VALU_DEP_4)
	v_lshlrev_b64 v[28:29], 3, v[13:14]
	v_add_co_u32 v18, vcc_lo, s8, v18
	v_add_co_ci_u32_e32 v19, vcc_lo, s9, v19, vcc_lo
	s_delay_alu instid0(VALU_DEP_3) | instskip(NEXT) | instid1(VALU_DEP_4)
	v_add_co_u32 v28, vcc_lo, s8, v28
	v_add_co_ci_u32_e32 v29, vcc_lo, s9, v29, vcc_lo
	s_clause 0x1
	global_load_b64 v[28:29], v[28:29], off
	global_load_b64 v[18:19], v[18:19], off
	v_cmp_ge_i32_e32 vcc_lo, v6, v17
	s_or_b32 s2, vcc_lo, s2
	v_fma_f64 v[7:8], v[20:21], v[32:33], v[7:8]
	s_waitcnt vmcnt(18)
	v_fma_f64 v[9:10], v[62:63], v[32:33], v[9:10]
	s_waitcnt vmcnt(14)
	s_delay_alu instid0(VALU_DEP_2) | instskip(SKIP_1) | instid1(VALU_DEP_2)
	v_fma_f64 v[7:8], v[38:39], v[46:47], v[7:8]
	s_waitcnt vmcnt(13)
	v_fma_f64 v[9:10], v[64:65], v[46:47], v[9:10]
	s_delay_alu instid0(VALU_DEP_2) | instskip(SKIP_1) | instid1(VALU_DEP_2)
	v_fma_f64 v[7:8], v[40:41], v[48:49], v[7:8]
	s_waitcnt vmcnt(12)
	v_fma_f64 v[9:10], v[66:67], v[48:49], v[9:10]
	;; [unrolled: 4-line block ×4, first 2 shown]
	s_waitcnt vmcnt(7)
	s_delay_alu instid0(VALU_DEP_2) | instskip(SKIP_1) | instid1(VALU_DEP_2)
	v_fma_f64 v[7:8], v[76:77], v[54:55], v[7:8]
	s_waitcnt vmcnt(6)
	v_fma_f64 v[9:10], v[72:73], v[54:55], v[9:10]
	s_waitcnt vmcnt(5)
	s_delay_alu instid0(VALU_DEP_2) | instskip(SKIP_1) | instid1(VALU_DEP_2)
	v_fma_f64 v[7:8], v[15:16], v[56:57], v[7:8]
	s_waitcnt vmcnt(4)
	v_fma_f64 v[9:10], v[22:23], v[56:57], v[9:10]
	;; [unrolled: 5-line block ×4, first 2 shown]
	s_and_not1_b32 exec_lo, exec_lo, s2
	s_cbranch_execnz .LBB130_15
; %bb.16:
	s_or_b32 exec_lo, exec_lo, s2
.LBB130_17:
	s_delay_alu instid0(SALU_CYCLE_1)
	s_or_b32 exec_lo, exec_lo, s3
.LBB130_18:
	v_mbcnt_lo_u32_b32 v14, -1, 0
	s_delay_alu instid0(VALU_DEP_1) | instskip(NEXT) | instid1(VALU_DEP_1)
	v_or_b32_e32 v6, 32, v14
	v_cmp_gt_i32_e32 vcc_lo, 32, v6
	v_cndmask_b32_e32 v6, v14, v6, vcc_lo
	s_delay_alu instid0(VALU_DEP_1)
	v_lshlrev_b32_e32 v13, 2, v6
	ds_bpermute_b32 v6, v13, v8
	ds_bpermute_b32 v7, v13, v9
	;; [unrolled: 1-line block ×4, first 2 shown]
	s_waitcnt lgkmcnt(2)
	v_add_f64 v[6:7], v[8:9], v[6:7]
	s_waitcnt lgkmcnt(0)
	v_add_f64 v[8:9], v[10:11], v[12:13]
	v_xor_b32_e32 v10, 16, v14
	s_delay_alu instid0(VALU_DEP_1) | instskip(SKIP_1) | instid1(VALU_DEP_1)
	v_cmp_gt_i32_e32 vcc_lo, 32, v10
	v_cndmask_b32_e32 v10, v14, v10, vcc_lo
	v_lshlrev_b32_e32 v13, 2, v10
	ds_bpermute_b32 v10, v13, v6
	ds_bpermute_b32 v11, v13, v7
	ds_bpermute_b32 v12, v13, v8
	ds_bpermute_b32 v13, v13, v9
	s_waitcnt lgkmcnt(2)
	v_add_f64 v[6:7], v[6:7], v[10:11]
	v_xor_b32_e32 v10, 8, v14
	s_waitcnt lgkmcnt(0)
	v_add_f64 v[8:9], v[8:9], v[12:13]
	s_delay_alu instid0(VALU_DEP_2) | instskip(SKIP_1) | instid1(VALU_DEP_1)
	v_cmp_gt_i32_e32 vcc_lo, 32, v10
	v_cndmask_b32_e32 v10, v14, v10, vcc_lo
	v_lshlrev_b32_e32 v13, 2, v10
	ds_bpermute_b32 v10, v13, v6
	ds_bpermute_b32 v11, v13, v7
	ds_bpermute_b32 v12, v13, v8
	ds_bpermute_b32 v13, v13, v9
	s_waitcnt lgkmcnt(2)
	v_add_f64 v[6:7], v[6:7], v[10:11]
	v_xor_b32_e32 v10, 4, v14
	s_waitcnt lgkmcnt(0)
	v_add_f64 v[8:9], v[8:9], v[12:13]
	s_delay_alu instid0(VALU_DEP_2) | instskip(SKIP_1) | instid1(VALU_DEP_1)
	;; [unrolled: 13-line block ×3, first 2 shown]
	v_cmp_gt_i32_e32 vcc_lo, 32, v10
	v_cndmask_b32_e32 v10, v14, v10, vcc_lo
	v_lshlrev_b32_e32 v13, 2, v10
	ds_bpermute_b32 v10, v13, v6
	ds_bpermute_b32 v11, v13, v7
	;; [unrolled: 1-line block ×4, first 2 shown]
	s_waitcnt lgkmcnt(2)
	v_add_f64 v[6:7], v[6:7], v[10:11]
	s_waitcnt lgkmcnt(0)
	v_add_f64 v[10:11], v[8:9], v[12:13]
	v_xor_b32_e32 v8, 1, v14
	s_delay_alu instid0(VALU_DEP_1) | instskip(SKIP_2) | instid1(VALU_DEP_2)
	v_cmp_gt_i32_e32 vcc_lo, 32, v8
	v_cndmask_b32_e32 v8, v14, v8, vcc_lo
	v_cmp_eq_u32_e32 vcc_lo, 63, v0
	v_lshlrev_b32_e32 v13, 2, v8
	ds_bpermute_b32 v8, v13, v6
	ds_bpermute_b32 v9, v13, v7
	ds_bpermute_b32 v12, v13, v10
	ds_bpermute_b32 v13, v13, v11
	s_and_b32 exec_lo, exec_lo, vcc_lo
	s_cbranch_execz .LBB130_23
; %bb.19:
	s_waitcnt lgkmcnt(2)
	v_add_f64 v[8:9], v[6:7], v[8:9]
	s_waitcnt lgkmcnt(0)
	v_add_f64 v[6:7], v[10:11], v[12:13]
	s_load_b64 s[0:1], s[0:1], 0x38
	s_mov_b32 s2, exec_lo
	v_cmpx_eq_f64_e32 0, v[3:4]
	s_xor_b32 s2, exec_lo, s2
	s_cbranch_execz .LBB130_21
; %bb.20:
	s_delay_alu instid0(VALU_DEP_3) | instskip(NEXT) | instid1(VALU_DEP_3)
	v_mul_f64 v[8:9], v[1:2], v[8:9]
	v_mul_f64 v[10:11], v[1:2], v[6:7]
	v_lshlrev_b32_e32 v0, 1, v5
                                        ; implicit-def: $vgpr5
                                        ; implicit-def: $vgpr3_vgpr4
                                        ; implicit-def: $vgpr6_vgpr7
	s_delay_alu instid0(VALU_DEP_1) | instskip(NEXT) | instid1(VALU_DEP_1)
	v_ashrrev_i32_e32 v1, 31, v0
	v_lshlrev_b64 v[0:1], 3, v[0:1]
	s_waitcnt lgkmcnt(0)
	s_delay_alu instid0(VALU_DEP_1) | instskip(NEXT) | instid1(VALU_DEP_2)
	v_add_co_u32 v0, vcc_lo, s0, v0
	v_add_co_ci_u32_e32 v1, vcc_lo, s1, v1, vcc_lo
	global_store_b128 v[0:1], v[8:11], off
                                        ; implicit-def: $vgpr1_vgpr2
                                        ; implicit-def: $vgpr8_vgpr9
.LBB130_21:
	s_and_not1_saveexec_b32 s2, s2
	s_cbranch_execz .LBB130_23
; %bb.22:
	v_lshlrev_b32_e32 v10, 1, v5
	s_delay_alu instid0(VALU_DEP_4) | instskip(NEXT) | instid1(VALU_DEP_4)
	v_mul_f64 v[8:9], v[1:2], v[8:9]
	v_mul_f64 v[5:6], v[1:2], v[6:7]
	s_delay_alu instid0(VALU_DEP_3) | instskip(NEXT) | instid1(VALU_DEP_1)
	v_ashrrev_i32_e32 v11, 31, v10
	v_lshlrev_b64 v[10:11], 3, v[10:11]
	s_waitcnt lgkmcnt(0)
	s_delay_alu instid0(VALU_DEP_1) | instskip(NEXT) | instid1(VALU_DEP_2)
	v_add_co_u32 v14, vcc_lo, s0, v10
	v_add_co_ci_u32_e32 v15, vcc_lo, s1, v11, vcc_lo
	global_load_b128 v[10:13], v[14:15], off
	s_waitcnt vmcnt(0)
	v_fma_f64 v[0:1], v[3:4], v[10:11], v[8:9]
	v_fma_f64 v[2:3], v[3:4], v[12:13], v[5:6]
	global_store_b128 v[14:15], v[0:3], off
.LBB130_23:
	s_nop 0
	s_sendmsg sendmsg(MSG_DEALLOC_VGPRS)
	s_endpgm
	.section	.rodata,"a",@progbits
	.p2align	6, 0x0
	.amdhsa_kernel _ZN9rocsparseL19gebsrmvn_2xn_kernelILj128ELj12ELj64EdEEvi20rocsparse_direction_NS_24const_host_device_scalarIT2_EEPKiS6_PKS3_S8_S4_PS3_21rocsparse_index_base_b
		.amdhsa_group_segment_fixed_size 0
		.amdhsa_private_segment_fixed_size 0
		.amdhsa_kernarg_size 72
		.amdhsa_user_sgpr_count 15
		.amdhsa_user_sgpr_dispatch_ptr 0
		.amdhsa_user_sgpr_queue_ptr 0
		.amdhsa_user_sgpr_kernarg_segment_ptr 1
		.amdhsa_user_sgpr_dispatch_id 0
		.amdhsa_user_sgpr_private_segment_size 0
		.amdhsa_wavefront_size32 1
		.amdhsa_uses_dynamic_stack 0
		.amdhsa_enable_private_segment 0
		.amdhsa_system_sgpr_workgroup_id_x 1
		.amdhsa_system_sgpr_workgroup_id_y 0
		.amdhsa_system_sgpr_workgroup_id_z 0
		.amdhsa_system_sgpr_workgroup_info 0
		.amdhsa_system_vgpr_workitem_id 0
		.amdhsa_next_free_vgpr 78
		.amdhsa_next_free_sgpr 16
		.amdhsa_reserve_vcc 1
		.amdhsa_float_round_mode_32 0
		.amdhsa_float_round_mode_16_64 0
		.amdhsa_float_denorm_mode_32 3
		.amdhsa_float_denorm_mode_16_64 3
		.amdhsa_dx10_clamp 1
		.amdhsa_ieee_mode 1
		.amdhsa_fp16_overflow 0
		.amdhsa_workgroup_processor_mode 1
		.amdhsa_memory_ordered 1
		.amdhsa_forward_progress 0
		.amdhsa_shared_vgpr_count 0
		.amdhsa_exception_fp_ieee_invalid_op 0
		.amdhsa_exception_fp_denorm_src 0
		.amdhsa_exception_fp_ieee_div_zero 0
		.amdhsa_exception_fp_ieee_overflow 0
		.amdhsa_exception_fp_ieee_underflow 0
		.amdhsa_exception_fp_ieee_inexact 0
		.amdhsa_exception_int_div_zero 0
	.end_amdhsa_kernel
	.section	.text._ZN9rocsparseL19gebsrmvn_2xn_kernelILj128ELj12ELj64EdEEvi20rocsparse_direction_NS_24const_host_device_scalarIT2_EEPKiS6_PKS3_S8_S4_PS3_21rocsparse_index_base_b,"axG",@progbits,_ZN9rocsparseL19gebsrmvn_2xn_kernelILj128ELj12ELj64EdEEvi20rocsparse_direction_NS_24const_host_device_scalarIT2_EEPKiS6_PKS3_S8_S4_PS3_21rocsparse_index_base_b,comdat
.Lfunc_end130:
	.size	_ZN9rocsparseL19gebsrmvn_2xn_kernelILj128ELj12ELj64EdEEvi20rocsparse_direction_NS_24const_host_device_scalarIT2_EEPKiS6_PKS3_S8_S4_PS3_21rocsparse_index_base_b, .Lfunc_end130-_ZN9rocsparseL19gebsrmvn_2xn_kernelILj128ELj12ELj64EdEEvi20rocsparse_direction_NS_24const_host_device_scalarIT2_EEPKiS6_PKS3_S8_S4_PS3_21rocsparse_index_base_b
                                        ; -- End function
	.section	.AMDGPU.csdata,"",@progbits
; Kernel info:
; codeLenInByte = 3148
; NumSgprs: 18
; NumVgprs: 78
; ScratchSize: 0
; MemoryBound: 1
; FloatMode: 240
; IeeeMode: 1
; LDSByteSize: 0 bytes/workgroup (compile time only)
; SGPRBlocks: 2
; VGPRBlocks: 9
; NumSGPRsForWavesPerEU: 18
; NumVGPRsForWavesPerEU: 78
; Occupancy: 16
; WaveLimiterHint : 1
; COMPUTE_PGM_RSRC2:SCRATCH_EN: 0
; COMPUTE_PGM_RSRC2:USER_SGPR: 15
; COMPUTE_PGM_RSRC2:TRAP_HANDLER: 0
; COMPUTE_PGM_RSRC2:TGID_X_EN: 1
; COMPUTE_PGM_RSRC2:TGID_Y_EN: 0
; COMPUTE_PGM_RSRC2:TGID_Z_EN: 0
; COMPUTE_PGM_RSRC2:TIDIG_COMP_CNT: 0
	.section	.text._ZN9rocsparseL19gebsrmvn_2xn_kernelILj128ELj13ELj4EdEEvi20rocsparse_direction_NS_24const_host_device_scalarIT2_EEPKiS6_PKS3_S8_S4_PS3_21rocsparse_index_base_b,"axG",@progbits,_ZN9rocsparseL19gebsrmvn_2xn_kernelILj128ELj13ELj4EdEEvi20rocsparse_direction_NS_24const_host_device_scalarIT2_EEPKiS6_PKS3_S8_S4_PS3_21rocsparse_index_base_b,comdat
	.globl	_ZN9rocsparseL19gebsrmvn_2xn_kernelILj128ELj13ELj4EdEEvi20rocsparse_direction_NS_24const_host_device_scalarIT2_EEPKiS6_PKS3_S8_S4_PS3_21rocsparse_index_base_b ; -- Begin function _ZN9rocsparseL19gebsrmvn_2xn_kernelILj128ELj13ELj4EdEEvi20rocsparse_direction_NS_24const_host_device_scalarIT2_EEPKiS6_PKS3_S8_S4_PS3_21rocsparse_index_base_b
	.p2align	8
	.type	_ZN9rocsparseL19gebsrmvn_2xn_kernelILj128ELj13ELj4EdEEvi20rocsparse_direction_NS_24const_host_device_scalarIT2_EEPKiS6_PKS3_S8_S4_PS3_21rocsparse_index_base_b,@function
_ZN9rocsparseL19gebsrmvn_2xn_kernelILj128ELj13ELj4EdEEvi20rocsparse_direction_NS_24const_host_device_scalarIT2_EEPKiS6_PKS3_S8_S4_PS3_21rocsparse_index_base_b: ; @_ZN9rocsparseL19gebsrmvn_2xn_kernelILj128ELj13ELj4EdEEvi20rocsparse_direction_NS_24const_host_device_scalarIT2_EEPKiS6_PKS3_S8_S4_PS3_21rocsparse_index_base_b
; %bb.0:
	s_clause 0x2
	s_load_b64 s[12:13], s[0:1], 0x40
	s_load_b64 s[4:5], s[0:1], 0x8
	;; [unrolled: 1-line block ×3, first 2 shown]
	s_waitcnt lgkmcnt(0)
	s_bitcmp1_b32 s13, 0
	v_dual_mov_b32 v1, s4 :: v_dual_mov_b32 v2, s5
	s_cselect_b32 s6, -1, 0
	s_delay_alu instid0(SALU_CYCLE_1)
	s_and_b32 vcc_lo, exec_lo, s6
	s_xor_b32 s6, s6, -1
	s_cbranch_vccnz .LBB131_2
; %bb.1:
	v_dual_mov_b32 v1, s4 :: v_dual_mov_b32 v2, s5
	flat_load_b64 v[1:2], v[1:2]
.LBB131_2:
	v_dual_mov_b32 v4, s3 :: v_dual_mov_b32 v3, s2
	s_and_not1_b32 vcc_lo, exec_lo, s6
	s_cbranch_vccnz .LBB131_4
; %bb.3:
	v_dual_mov_b32 v4, s3 :: v_dual_mov_b32 v3, s2
	flat_load_b64 v[3:4], v[3:4]
.LBB131_4:
	s_waitcnt vmcnt(0) lgkmcnt(0)
	v_cmp_neq_f64_e32 vcc_lo, 0, v[1:2]
	v_cmp_neq_f64_e64 s2, 1.0, v[3:4]
	s_delay_alu instid0(VALU_DEP_1) | instskip(NEXT) | instid1(SALU_CYCLE_1)
	s_or_b32 s2, vcc_lo, s2
	s_and_saveexec_b32 s3, s2
	s_cbranch_execz .LBB131_23
; %bb.5:
	s_load_b64 s[2:3], s[0:1], 0x0
	v_lshrrev_b32_e32 v5, 2, v0
	s_delay_alu instid0(VALU_DEP_1) | instskip(SKIP_1) | instid1(VALU_DEP_1)
	v_lshl_or_b32 v5, s15, 5, v5
	s_waitcnt lgkmcnt(0)
	v_cmp_gt_i32_e32 vcc_lo, s2, v5
	s_and_b32 exec_lo, exec_lo, vcc_lo
	s_cbranch_execz .LBB131_23
; %bb.6:
	s_load_b256 s[4:11], s[0:1], 0x10
	v_ashrrev_i32_e32 v6, 31, v5
	v_and_b32_e32 v0, 3, v0
	s_cmp_lg_u32 s3, 0
	s_delay_alu instid0(VALU_DEP_2) | instskip(SKIP_1) | instid1(VALU_DEP_1)
	v_lshlrev_b64 v[6:7], 2, v[5:6]
	s_waitcnt lgkmcnt(0)
	v_add_co_u32 v6, vcc_lo, s4, v6
	s_delay_alu instid0(VALU_DEP_2) | instskip(SKIP_4) | instid1(VALU_DEP_2)
	v_add_co_ci_u32_e32 v7, vcc_lo, s5, v7, vcc_lo
	global_load_b64 v[6:7], v[6:7], off
	s_waitcnt vmcnt(0)
	v_subrev_nc_u32_e32 v6, s12, v6
	v_subrev_nc_u32_e32 v17, s12, v7
	v_add_nc_u32_e32 v6, v6, v0
	s_delay_alu instid0(VALU_DEP_1)
	v_cmp_lt_i32_e64 s2, v6, v17
	s_cbranch_scc0 .LBB131_12
; %bb.7:
	v_mov_b32_e32 v8, 0
	v_mov_b32_e32 v9, 0
	s_delay_alu instid0(VALU_DEP_1)
	v_dual_mov_b32 v11, v9 :: v_dual_mov_b32 v10, v8
	s_and_saveexec_b32 s3, s2
	s_cbranch_execz .LBB131_11
; %bb.8:
	v_dual_mov_b32 v8, 0 :: v_dual_mov_b32 v15, v6
	v_dual_mov_b32 v9, 0 :: v_dual_mov_b32 v14, 0
	v_mad_u64_u32 v[12:13], null, v6, 26, 24
	s_mov_b32 s4, 0
	s_delay_alu instid0(VALU_DEP_2)
	v_dual_mov_b32 v11, v9 :: v_dual_mov_b32 v10, v8
.LBB131_9:                              ; =>This Inner Loop Header: Depth=1
	v_ashrrev_i32_e32 v16, 31, v15
	s_delay_alu instid0(VALU_DEP_3) | instskip(SKIP_1) | instid1(VALU_DEP_3)
	v_subrev_nc_u32_e32 v13, 24, v12
	v_mov_b32_e32 v55, v14
	v_lshlrev_b64 v[18:19], 2, v[15:16]
	v_add_nc_u32_e32 v15, 4, v15
	s_delay_alu instid0(VALU_DEP_2) | instskip(NEXT) | instid1(VALU_DEP_3)
	v_add_co_u32 v18, vcc_lo, s6, v18
	v_add_co_ci_u32_e32 v19, vcc_lo, s7, v19, vcc_lo
	global_load_b32 v7, v[18:19], off
	v_lshlrev_b64 v[18:19], 3, v[13:14]
	v_subrev_nc_u32_e32 v13, 22, v12
	s_delay_alu instid0(VALU_DEP_2) | instskip(NEXT) | instid1(VALU_DEP_3)
	v_add_co_u32 v18, vcc_lo, s8, v18
	v_add_co_ci_u32_e32 v19, vcc_lo, s9, v19, vcc_lo
	global_load_b128 v[18:21], v[18:19], off
	s_waitcnt vmcnt(1)
	v_subrev_nc_u32_e32 v7, s12, v7
	s_delay_alu instid0(VALU_DEP_1) | instskip(NEXT) | instid1(VALU_DEP_1)
	v_mul_lo_u32 v54, v7, 13
	v_lshlrev_b64 v[22:23], 3, v[54:55]
	s_delay_alu instid0(VALU_DEP_1) | instskip(NEXT) | instid1(VALU_DEP_2)
	v_add_co_u32 v22, vcc_lo, s10, v22
	v_add_co_ci_u32_e32 v23, vcc_lo, s11, v23, vcc_lo
	global_load_b64 v[55:56], v[22:23], off
	v_lshlrev_b64 v[22:23], 3, v[13:14]
	v_add_nc_u32_e32 v13, 1, v54
	s_delay_alu instid0(VALU_DEP_1) | instskip(NEXT) | instid1(VALU_DEP_3)
	v_lshlrev_b64 v[26:27], 3, v[13:14]
	v_add_co_u32 v22, vcc_lo, s8, v22
	s_delay_alu instid0(VALU_DEP_4) | instskip(SKIP_1) | instid1(VALU_DEP_4)
	v_add_co_ci_u32_e32 v23, vcc_lo, s9, v23, vcc_lo
	v_subrev_nc_u32_e32 v13, 20, v12
	v_add_co_u32 v26, vcc_lo, s10, v26
	v_add_co_ci_u32_e32 v27, vcc_lo, s11, v27, vcc_lo
	global_load_b128 v[22:25], v[22:23], off
	global_load_b64 v[57:58], v[26:27], off
	v_lshlrev_b64 v[26:27], 3, v[13:14]
	v_add_nc_u32_e32 v13, 2, v54
	s_delay_alu instid0(VALU_DEP_1) | instskip(NEXT) | instid1(VALU_DEP_3)
	v_lshlrev_b64 v[28:29], 3, v[13:14]
	v_add_co_u32 v26, vcc_lo, s8, v26
	s_delay_alu instid0(VALU_DEP_4) | instskip(SKIP_1) | instid1(VALU_DEP_4)
	v_add_co_ci_u32_e32 v27, vcc_lo, s9, v27, vcc_lo
	v_subrev_nc_u32_e32 v13, 18, v12
	v_add_co_u32 v30, vcc_lo, s10, v28
	v_add_co_ci_u32_e32 v31, vcc_lo, s11, v29, vcc_lo
	global_load_b128 v[26:29], v[26:27], off
	global_load_b64 v[59:60], v[30:31], off
	v_lshlrev_b64 v[30:31], 3, v[13:14]
	v_add_nc_u32_e32 v13, 3, v54
	s_delay_alu instid0(VALU_DEP_1) | instskip(NEXT) | instid1(VALU_DEP_3)
	v_lshlrev_b64 v[32:33], 3, v[13:14]
	v_add_co_u32 v30, vcc_lo, s8, v30
	s_delay_alu instid0(VALU_DEP_4) | instskip(SKIP_1) | instid1(VALU_DEP_4)
	v_add_co_ci_u32_e32 v31, vcc_lo, s9, v31, vcc_lo
	v_add_nc_u32_e32 v13, -16, v12
	v_add_co_u32 v34, vcc_lo, s10, v32
	v_add_co_ci_u32_e32 v35, vcc_lo, s11, v33, vcc_lo
	global_load_b128 v[30:33], v[30:31], off
	global_load_b64 v[61:62], v[34:35], off
	v_lshlrev_b64 v[34:35], 3, v[13:14]
	v_add_nc_u32_e32 v13, 4, v54
	s_delay_alu instid0(VALU_DEP_1) | instskip(NEXT) | instid1(VALU_DEP_3)
	v_lshlrev_b64 v[36:37], 3, v[13:14]
	v_add_co_u32 v34, vcc_lo, s8, v34
	s_delay_alu instid0(VALU_DEP_4) | instskip(SKIP_1) | instid1(VALU_DEP_4)
	v_add_co_ci_u32_e32 v35, vcc_lo, s9, v35, vcc_lo
	v_add_nc_u32_e32 v13, -14, v12
	;; [unrolled: 12-line block ×6, first 2 shown]
	v_add_co_u32 v71, vcc_lo, s10, v52
	v_add_co_ci_u32_e32 v72, vcc_lo, s11, v53, vcc_lo
	global_load_b128 v[50:53], v[50:51], off
	global_load_b64 v[71:72], v[71:72], off
	s_waitcnt vmcnt(16)
	v_fma_f64 v[18:19], v[18:19], v[55:56], v[8:9]
	v_fma_f64 v[20:21], v[20:21], v[55:56], v[10:11]
	v_lshlrev_b64 v[7:8], 3, v[13:14]
	v_add_nc_u32_e32 v13, 9, v54
	s_delay_alu instid0(VALU_DEP_1) | instskip(NEXT) | instid1(VALU_DEP_3)
	v_lshlrev_b64 v[9:10], 3, v[13:14]
	v_add_co_u32 v7, vcc_lo, s8, v7
	s_delay_alu instid0(VALU_DEP_4) | instskip(SKIP_1) | instid1(VALU_DEP_4)
	v_add_co_ci_u32_e32 v8, vcc_lo, s9, v8, vcc_lo
	v_add_nc_u32_e32 v13, -4, v12
	v_add_co_u32 v55, vcc_lo, s10, v9
	v_add_co_ci_u32_e32 v56, vcc_lo, s11, v10, vcc_lo
	global_load_b128 v[7:10], v[7:8], off
	global_load_b64 v[55:56], v[55:56], off
	s_waitcnt vmcnt(16)
	v_fma_f64 v[22:23], v[22:23], v[57:58], v[18:19]
	v_fma_f64 v[24:25], v[24:25], v[57:58], v[20:21]
	v_lshlrev_b64 v[18:19], 3, v[13:14]
	v_add_nc_u32_e32 v13, 10, v54
	s_delay_alu instid0(VALU_DEP_1) | instskip(NEXT) | instid1(VALU_DEP_3)
	v_lshlrev_b64 v[20:21], 3, v[13:14]
	v_add_co_u32 v18, vcc_lo, s8, v18
	s_delay_alu instid0(VALU_DEP_4) | instskip(SKIP_1) | instid1(VALU_DEP_4)
	v_add_co_ci_u32_e32 v19, vcc_lo, s9, v19, vcc_lo
	v_add_nc_u32_e32 v13, -2, v12
	v_add_co_u32 v57, vcc_lo, s10, v20
	v_add_co_ci_u32_e32 v58, vcc_lo, s11, v21, vcc_lo
	global_load_b128 v[18:21], v[18:19], off
	global_load_b64 v[57:58], v[57:58], off
	s_waitcnt vmcnt(16)
	v_fma_f64 v[26:27], v[26:27], v[59:60], v[22:23]
	v_fma_f64 v[28:29], v[28:29], v[59:60], v[24:25]
	v_lshlrev_b64 v[22:23], 3, v[13:14]
	v_add_nc_u32_e32 v13, 11, v54
	s_delay_alu instid0(VALU_DEP_1) | instskip(NEXT) | instid1(VALU_DEP_3)
	v_lshlrev_b64 v[24:25], 3, v[13:14]
	v_add_co_u32 v22, vcc_lo, s8, v22
	s_delay_alu instid0(VALU_DEP_4) | instskip(SKIP_1) | instid1(VALU_DEP_4)
	v_add_co_ci_u32_e32 v23, vcc_lo, s9, v23, vcc_lo
	v_mov_b32_e32 v13, v14
	v_add_co_u32 v59, vcc_lo, s10, v24
	v_add_co_ci_u32_e32 v60, vcc_lo, s11, v25, vcc_lo
	global_load_b128 v[22:25], v[22:23], off
	global_load_b64 v[59:60], v[59:60], off
	s_waitcnt vmcnt(16)
	v_fma_f64 v[30:31], v[30:31], v[61:62], v[26:27]
	v_fma_f64 v[32:33], v[32:33], v[61:62], v[28:29]
	v_lshlrev_b64 v[26:27], 3, v[12:13]
	v_add_nc_u32_e32 v12, 0x68, v12
	v_add_nc_u32_e32 v13, 12, v54
	s_delay_alu instid0(VALU_DEP_3) | instskip(NEXT) | instid1(VALU_DEP_2)
	v_add_co_u32 v26, vcc_lo, s8, v26
	v_lshlrev_b64 v[28:29], 3, v[13:14]
	v_add_co_ci_u32_e32 v27, vcc_lo, s9, v27, vcc_lo
	s_delay_alu instid0(VALU_DEP_2) | instskip(NEXT) | instid1(VALU_DEP_3)
	v_add_co_u32 v61, vcc_lo, s10, v28
	v_add_co_ci_u32_e32 v62, vcc_lo, s11, v29, vcc_lo
	global_load_b128 v[26:29], v[26:27], off
	global_load_b64 v[61:62], v[61:62], off
	v_cmp_ge_i32_e32 vcc_lo, v15, v17
	s_or_b32 s4, vcc_lo, s4
	s_waitcnt vmcnt(16)
	v_fma_f64 v[30:31], v[34:35], v[63:64], v[30:31]
	v_fma_f64 v[32:33], v[36:37], v[63:64], v[32:33]
	s_waitcnt vmcnt(14)
	s_delay_alu instid0(VALU_DEP_2) | instskip(NEXT) | instid1(VALU_DEP_2)
	v_fma_f64 v[30:31], v[38:39], v[65:66], v[30:31]
	v_fma_f64 v[32:33], v[40:41], v[65:66], v[32:33]
	s_waitcnt vmcnt(12)
	s_delay_alu instid0(VALU_DEP_2) | instskip(NEXT) | instid1(VALU_DEP_2)
	;; [unrolled: 4-line block ×8, first 2 shown]
	v_fma_f64 v[8:9], v[26:27], v[61:62], v[7:8]
	v_fma_f64 v[10:11], v[28:29], v[61:62], v[10:11]
	s_and_not1_b32 exec_lo, exec_lo, s4
	s_cbranch_execnz .LBB131_9
; %bb.10:
	s_or_b32 exec_lo, exec_lo, s4
.LBB131_11:
	s_delay_alu instid0(SALU_CYCLE_1)
	s_or_b32 exec_lo, exec_lo, s3
	s_cbranch_execz .LBB131_13
	s_branch .LBB131_18
.LBB131_12:
                                        ; implicit-def: $vgpr8_vgpr9
                                        ; implicit-def: $vgpr10_vgpr11
.LBB131_13:
	v_mov_b32_e32 v8, 0
	v_mov_b32_e32 v9, 0
	s_delay_alu instid0(VALU_DEP_1)
	v_dual_mov_b32 v11, v9 :: v_dual_mov_b32 v10, v8
	s_and_saveexec_b32 s3, s2
	s_cbranch_execz .LBB131_17
; %bb.14:
	v_mov_b32_e32 v8, 0
	v_dual_mov_b32 v9, 0 :: v_dual_mov_b32 v14, 0
	v_mad_u64_u32 v[12:13], null, v6, 26, 25
	s_mov_b32 s2, 0
	s_delay_alu instid0(VALU_DEP_2)
	v_dual_mov_b32 v11, v9 :: v_dual_mov_b32 v10, v8
.LBB131_15:                             ; =>This Inner Loop Header: Depth=1
	v_ashrrev_i32_e32 v7, 31, v6
	s_delay_alu instid0(VALU_DEP_3) | instskip(SKIP_1) | instid1(VALU_DEP_3)
	v_subrev_nc_u32_e32 v13, 25, v12
	v_mov_b32_e32 v23, v14
	v_lshlrev_b64 v[15:16], 2, v[6:7]
	v_add_nc_u32_e32 v6, 4, v6
	s_delay_alu instid0(VALU_DEP_4) | instskip(NEXT) | instid1(VALU_DEP_3)
	v_lshlrev_b64 v[18:19], 3, v[13:14]
	v_add_co_u32 v15, vcc_lo, s6, v15
	s_delay_alu instid0(VALU_DEP_4) | instskip(NEXT) | instid1(VALU_DEP_3)
	v_add_co_ci_u32_e32 v16, vcc_lo, s7, v16, vcc_lo
	v_add_co_u32 v18, vcc_lo, s8, v18
	s_delay_alu instid0(VALU_DEP_4) | instskip(SKIP_2) | instid1(VALU_DEP_1)
	v_add_co_ci_u32_e32 v19, vcc_lo, s9, v19, vcc_lo
	global_load_b32 v7, v[15:16], off
	v_dual_mov_b32 v16, v14 :: v_dual_add_nc_u32 v15, -12, v12
	v_lshlrev_b64 v[15:16], 3, v[15:16]
	s_delay_alu instid0(VALU_DEP_1) | instskip(NEXT) | instid1(VALU_DEP_2)
	v_add_co_u32 v15, vcc_lo, s8, v15
	v_add_co_ci_u32_e32 v16, vcc_lo, s9, v16, vcc_lo
	s_clause 0x1
	global_load_b128 v[18:21], v[18:19], off
	global_load_b64 v[15:16], v[15:16], off
	s_waitcnt vmcnt(2)
	v_subrev_nc_u32_e32 v7, s12, v7
	s_delay_alu instid0(VALU_DEP_1) | instskip(NEXT) | instid1(VALU_DEP_1)
	v_mul_lo_u32 v22, v7, 13
	v_lshlrev_b64 v[23:24], 3, v[22:23]
	v_add_nc_u32_e32 v13, 1, v22
	s_delay_alu instid0(VALU_DEP_1) | instskip(NEXT) | instid1(VALU_DEP_3)
	v_lshlrev_b64 v[25:26], 3, v[13:14]
	v_add_co_u32 v23, vcc_lo, s10, v23
	s_delay_alu instid0(VALU_DEP_4) | instskip(SKIP_1) | instid1(VALU_DEP_4)
	v_add_co_ci_u32_e32 v24, vcc_lo, s11, v24, vcc_lo
	v_add_nc_u32_e32 v13, -11, v12
	v_add_co_u32 v25, vcc_lo, s10, v25
	global_load_b64 v[23:24], v[23:24], off
	v_add_co_ci_u32_e32 v26, vcc_lo, s11, v26, vcc_lo
	v_lshlrev_b64 v[27:28], 3, v[13:14]
	v_subrev_nc_u32_e32 v13, 23, v12
	s_delay_alu instid0(VALU_DEP_2) | instskip(NEXT) | instid1(VALU_DEP_3)
	v_add_co_u32 v27, vcc_lo, s8, v27
	v_add_co_ci_u32_e32 v28, vcc_lo, s9, v28, vcc_lo
	global_load_b64 v[25:26], v[25:26], off
	global_load_b64 v[27:28], v[27:28], off
	v_lshlrev_b64 v[29:30], 3, v[13:14]
	v_add_nc_u32_e32 v13, 2, v22
	s_delay_alu instid0(VALU_DEP_1) | instskip(SKIP_1) | instid1(VALU_DEP_4)
	v_lshlrev_b64 v[31:32], 3, v[13:14]
	v_add_nc_u32_e32 v13, -10, v12
	v_add_co_u32 v29, vcc_lo, s8, v29
	v_add_co_ci_u32_e32 v30, vcc_lo, s9, v30, vcc_lo
	s_delay_alu instid0(VALU_DEP_3)
	v_lshlrev_b64 v[33:34], 3, v[13:14]
	v_add_co_u32 v31, vcc_lo, s10, v31
	v_add_co_ci_u32_e32 v32, vcc_lo, s11, v32, vcc_lo
	global_load_b64 v[29:30], v[29:30], off
	v_add_co_u32 v33, vcc_lo, s8, v33
	v_add_co_ci_u32_e32 v34, vcc_lo, s9, v34, vcc_lo
	global_load_b64 v[31:32], v[31:32], off
	global_load_b64 v[33:34], v[33:34], off
	v_subrev_nc_u32_e32 v13, 22, v12
	s_delay_alu instid0(VALU_DEP_1) | instskip(SKIP_1) | instid1(VALU_DEP_1)
	v_lshlrev_b64 v[35:36], 3, v[13:14]
	v_add_nc_u32_e32 v13, 3, v22
	v_lshlrev_b64 v[37:38], 3, v[13:14]
	v_add_nc_u32_e32 v13, -9, v12
	s_delay_alu instid0(VALU_DEP_4) | instskip(SKIP_1) | instid1(VALU_DEP_3)
	v_add_co_u32 v35, vcc_lo, s8, v35
	v_add_co_ci_u32_e32 v36, vcc_lo, s9, v36, vcc_lo
	v_lshlrev_b64 v[39:40], 3, v[13:14]
	v_add_co_u32 v37, vcc_lo, s10, v37
	v_add_co_ci_u32_e32 v38, vcc_lo, s11, v38, vcc_lo
	global_load_b64 v[35:36], v[35:36], off
	v_add_co_u32 v39, vcc_lo, s8, v39
	v_add_co_ci_u32_e32 v40, vcc_lo, s9, v40, vcc_lo
	global_load_b64 v[37:38], v[37:38], off
	global_load_b64 v[39:40], v[39:40], off
	v_subrev_nc_u32_e32 v13, 21, v12
	s_delay_alu instid0(VALU_DEP_1) | instskip(SKIP_1) | instid1(VALU_DEP_1)
	v_lshlrev_b64 v[41:42], 3, v[13:14]
	v_add_nc_u32_e32 v13, 4, v22
	v_lshlrev_b64 v[43:44], 3, v[13:14]
	v_add_nc_u32_e32 v13, -8, v12
	s_delay_alu instid0(VALU_DEP_4) | instskip(SKIP_1) | instid1(VALU_DEP_3)
	v_add_co_u32 v41, vcc_lo, s8, v41
	v_add_co_ci_u32_e32 v42, vcc_lo, s9, v42, vcc_lo
	v_lshlrev_b64 v[45:46], 3, v[13:14]
	v_add_co_u32 v43, vcc_lo, s10, v43
	v_add_co_ci_u32_e32 v44, vcc_lo, s11, v44, vcc_lo
	v_subrev_nc_u32_e32 v13, 20, v12
	s_delay_alu instid0(VALU_DEP_4)
	v_add_co_u32 v45, vcc_lo, s8, v45
	v_add_co_ci_u32_e32 v46, vcc_lo, s9, v46, vcc_lo
	global_load_b64 v[41:42], v[41:42], off
	global_load_b64 v[43:44], v[43:44], off
	global_load_b64 v[45:46], v[45:46], off
	v_lshlrev_b64 v[47:48], 3, v[13:14]
	v_add_nc_u32_e32 v13, 5, v22
	s_delay_alu instid0(VALU_DEP_1) | instskip(SKIP_1) | instid1(VALU_DEP_4)
	v_lshlrev_b64 v[49:50], 3, v[13:14]
	v_add_nc_u32_e32 v13, -7, v12
	v_add_co_u32 v47, vcc_lo, s8, v47
	v_add_co_ci_u32_e32 v48, vcc_lo, s9, v48, vcc_lo
	s_delay_alu instid0(VALU_DEP_3) | instskip(SKIP_3) | instid1(VALU_DEP_4)
	v_lshlrev_b64 v[51:52], 3, v[13:14]
	v_add_co_u32 v49, vcc_lo, s10, v49
	v_add_co_ci_u32_e32 v50, vcc_lo, s11, v50, vcc_lo
	v_subrev_nc_u32_e32 v13, 19, v12
	v_add_co_u32 v51, vcc_lo, s8, v51
	v_add_co_ci_u32_e32 v52, vcc_lo, s9, v52, vcc_lo
	global_load_b64 v[47:48], v[47:48], off
	global_load_b64 v[49:50], v[49:50], off
	global_load_b64 v[51:52], v[51:52], off
	v_lshlrev_b64 v[53:54], 3, v[13:14]
	v_add_nc_u32_e32 v13, 6, v22
	s_delay_alu instid0(VALU_DEP_1) | instskip(SKIP_1) | instid1(VALU_DEP_4)
	v_lshlrev_b64 v[55:56], 3, v[13:14]
	v_add_nc_u32_e32 v13, -6, v12
	v_add_co_u32 v53, vcc_lo, s8, v53
	v_add_co_ci_u32_e32 v54, vcc_lo, s9, v54, vcc_lo
	s_delay_alu instid0(VALU_DEP_3) | instskip(SKIP_3) | instid1(VALU_DEP_4)
	v_lshlrev_b64 v[57:58], 3, v[13:14]
	v_add_co_u32 v55, vcc_lo, s10, v55
	v_add_co_ci_u32_e32 v56, vcc_lo, s11, v56, vcc_lo
	v_subrev_nc_u32_e32 v13, 18, v12
	;; [unrolled: 17-line block ×3, first 2 shown]
	v_add_co_u32 v63, vcc_lo, s8, v63
	v_add_co_ci_u32_e32 v64, vcc_lo, s9, v64, vcc_lo
	global_load_b64 v[59:60], v[59:60], off
	global_load_b64 v[61:62], v[61:62], off
	;; [unrolled: 1-line block ×3, first 2 shown]
	v_lshlrev_b64 v[65:66], 3, v[13:14]
	v_add_nc_u32_e32 v13, 8, v22
	s_delay_alu instid0(VALU_DEP_1) | instskip(SKIP_1) | instid1(VALU_DEP_4)
	v_lshlrev_b64 v[67:68], 3, v[13:14]
	v_add_nc_u32_e32 v13, -4, v12
	v_add_co_u32 v65, vcc_lo, s8, v65
	v_add_co_ci_u32_e32 v66, vcc_lo, s9, v66, vcc_lo
	s_delay_alu instid0(VALU_DEP_3) | instskip(SKIP_3) | instid1(VALU_DEP_4)
	v_lshlrev_b64 v[69:70], 3, v[13:14]
	v_add_co_u32 v67, vcc_lo, s10, v67
	v_add_co_ci_u32_e32 v68, vcc_lo, s11, v68, vcc_lo
	v_add_nc_u32_e32 v13, -16, v12
	v_add_co_u32 v69, vcc_lo, s8, v69
	v_add_co_ci_u32_e32 v70, vcc_lo, s9, v70, vcc_lo
	global_load_b64 v[65:66], v[65:66], off
	global_load_b64 v[67:68], v[67:68], off
	;; [unrolled: 1-line block ×3, first 2 shown]
	v_lshlrev_b64 v[71:72], 3, v[13:14]
	v_add_nc_u32_e32 v13, 9, v22
	s_waitcnt vmcnt(23)
	v_fma_f64 v[7:8], v[18:19], v[23:24], v[8:9]
	v_fma_f64 v[9:10], v[15:16], v[23:24], v[10:11]
	s_delay_alu instid0(VALU_DEP_3) | instskip(SKIP_3) | instid1(VALU_DEP_3)
	v_lshlrev_b64 v[15:16], 3, v[13:14]
	v_add_nc_u32_e32 v13, -3, v12
	v_add_co_u32 v18, vcc_lo, s8, v71
	v_add_co_ci_u32_e32 v19, vcc_lo, s9, v72, vcc_lo
	v_lshlrev_b64 v[23:24], 3, v[13:14]
	v_add_co_u32 v15, vcc_lo, s10, v15
	v_add_co_ci_u32_e32 v16, vcc_lo, s11, v16, vcc_lo
	v_add_nc_u32_e32 v13, -15, v12
	s_delay_alu instid0(VALU_DEP_4)
	v_add_co_u32 v23, vcc_lo, s8, v23
	v_add_co_ci_u32_e32 v24, vcc_lo, s9, v24, vcc_lo
	global_load_b64 v[18:19], v[18:19], off
	global_load_b64 v[15:16], v[15:16], off
	;; [unrolled: 1-line block ×3, first 2 shown]
	v_lshlrev_b64 v[71:72], 3, v[13:14]
	v_add_nc_u32_e32 v13, 10, v22
	s_waitcnt vmcnt(25)
	v_fma_f64 v[7:8], v[20:21], v[25:26], v[7:8]
	s_waitcnt vmcnt(24)
	v_fma_f64 v[9:10], v[27:28], v[25:26], v[9:10]
	v_lshlrev_b64 v[20:21], 3, v[13:14]
	v_add_nc_u32_e32 v13, -2, v12
	v_add_co_u32 v25, vcc_lo, s8, v71
	v_add_co_ci_u32_e32 v26, vcc_lo, s9, v72, vcc_lo
	s_delay_alu instid0(VALU_DEP_3) | instskip(SKIP_3) | instid1(VALU_DEP_4)
	v_lshlrev_b64 v[27:28], 3, v[13:14]
	v_add_co_u32 v20, vcc_lo, s10, v20
	v_add_co_ci_u32_e32 v21, vcc_lo, s11, v21, vcc_lo
	v_add_nc_u32_e32 v13, -14, v12
	v_add_co_u32 v27, vcc_lo, s8, v27
	v_add_co_ci_u32_e32 v28, vcc_lo, s9, v28, vcc_lo
	global_load_b64 v[25:26], v[25:26], off
	global_load_b64 v[20:21], v[20:21], off
	;; [unrolled: 1-line block ×3, first 2 shown]
	v_lshlrev_b64 v[71:72], 3, v[13:14]
	v_add_nc_u32_e32 v13, 11, v22
	s_waitcnt vmcnt(25)
	v_fma_f64 v[7:8], v[29:30], v[31:32], v[7:8]
	s_waitcnt vmcnt(24)
	v_fma_f64 v[9:10], v[33:34], v[31:32], v[9:10]
	v_lshlrev_b64 v[29:30], 3, v[13:14]
	v_add_nc_u32_e32 v13, -1, v12
	v_add_co_u32 v31, vcc_lo, s8, v71
	v_add_co_ci_u32_e32 v32, vcc_lo, s9, v72, vcc_lo
	s_delay_alu instid0(VALU_DEP_3) | instskip(SKIP_3) | instid1(VALU_DEP_4)
	v_lshlrev_b64 v[33:34], 3, v[13:14]
	v_add_co_u32 v29, vcc_lo, s10, v29
	v_add_co_ci_u32_e32 v30, vcc_lo, s11, v30, vcc_lo
	v_mov_b32_e32 v13, v14
	v_add_co_u32 v33, vcc_lo, s8, v33
	v_add_co_ci_u32_e32 v34, vcc_lo, s9, v34, vcc_lo
	global_load_b64 v[31:32], v[31:32], off
	global_load_b64 v[29:30], v[29:30], off
	global_load_b64 v[33:34], v[33:34], off
	v_lshlrev_b64 v[71:72], 3, v[12:13]
	v_add_nc_u32_e32 v13, -13, v12
	v_add_nc_u32_e32 v12, 0x68, v12
	s_delay_alu instid0(VALU_DEP_3) | instskip(NEXT) | instid1(VALU_DEP_4)
	v_add_co_u32 v71, vcc_lo, s8, v71
	v_add_co_ci_u32_e32 v72, vcc_lo, s9, v72, vcc_lo
	s_waitcnt vmcnt(25)
	v_fma_f64 v[7:8], v[35:36], v[37:38], v[7:8]
	s_waitcnt vmcnt(24)
	v_fma_f64 v[9:10], v[39:40], v[37:38], v[9:10]
	v_lshlrev_b64 v[35:36], 3, v[13:14]
	v_add_nc_u32_e32 v13, 12, v22
	s_delay_alu instid0(VALU_DEP_1) | instskip(NEXT) | instid1(VALU_DEP_3)
	v_lshlrev_b64 v[37:38], 3, v[13:14]
	v_add_co_u32 v35, vcc_lo, s8, v35
	s_delay_alu instid0(VALU_DEP_4) | instskip(NEXT) | instid1(VALU_DEP_3)
	v_add_co_ci_u32_e32 v36, vcc_lo, s9, v36, vcc_lo
	v_add_co_u32 v37, vcc_lo, s10, v37
	s_delay_alu instid0(VALU_DEP_4)
	v_add_co_ci_u32_e32 v38, vcc_lo, s11, v38, vcc_lo
	s_clause 0x1
	global_load_b64 v[39:40], v[71:72], off
	global_load_b64 v[35:36], v[35:36], off
	;; [unrolled: 1-line block ×3, first 2 shown]
	v_cmp_ge_i32_e32 vcc_lo, v6, v17
	s_or_b32 s2, vcc_lo, s2
	s_waitcnt vmcnt(25)
	v_fma_f64 v[7:8], v[41:42], v[43:44], v[7:8]
	s_waitcnt vmcnt(24)
	v_fma_f64 v[9:10], v[45:46], v[43:44], v[9:10]
	s_waitcnt vmcnt(22)
	s_delay_alu instid0(VALU_DEP_2) | instskip(SKIP_1) | instid1(VALU_DEP_2)
	v_fma_f64 v[7:8], v[47:48], v[49:50], v[7:8]
	s_waitcnt vmcnt(21)
	v_fma_f64 v[9:10], v[51:52], v[49:50], v[9:10]
	s_waitcnt vmcnt(19)
	s_delay_alu instid0(VALU_DEP_2) | instskip(SKIP_1) | instid1(VALU_DEP_2)
	;; [unrolled: 5-line block ×7, first 2 shown]
	v_fma_f64 v[7:8], v[31:32], v[29:30], v[7:8]
	s_waitcnt vmcnt(3)
	v_fma_f64 v[10:11], v[33:34], v[29:30], v[9:10]
	s_waitcnt vmcnt(0)
	s_delay_alu instid0(VALU_DEP_2) | instskip(NEXT) | instid1(VALU_DEP_2)
	v_fma_f64 v[8:9], v[35:36], v[37:38], v[7:8]
	v_fma_f64 v[10:11], v[39:40], v[37:38], v[10:11]
	s_and_not1_b32 exec_lo, exec_lo, s2
	s_cbranch_execnz .LBB131_15
; %bb.16:
	s_or_b32 exec_lo, exec_lo, s2
.LBB131_17:
	s_delay_alu instid0(SALU_CYCLE_1)
	s_or_b32 exec_lo, exec_lo, s3
.LBB131_18:
	v_mbcnt_lo_u32_b32 v14, -1, 0
	s_delay_alu instid0(VALU_DEP_1) | instskip(NEXT) | instid1(VALU_DEP_1)
	v_xor_b32_e32 v6, 2, v14
	v_cmp_gt_i32_e32 vcc_lo, 32, v6
	v_cndmask_b32_e32 v6, v14, v6, vcc_lo
	s_delay_alu instid0(VALU_DEP_1)
	v_lshlrev_b32_e32 v13, 2, v6
	ds_bpermute_b32 v6, v13, v8
	ds_bpermute_b32 v7, v13, v9
	s_waitcnt lgkmcnt(0)
	v_add_f64 v[6:7], v[8:9], v[6:7]
	v_xor_b32_e32 v8, 1, v14
	s_delay_alu instid0(VALU_DEP_1)
	v_cmp_gt_i32_e32 vcc_lo, 32, v8
	v_cndmask_b32_e32 v8, v14, v8, vcc_lo
	ds_bpermute_b32 v12, v13, v10
	ds_bpermute_b32 v13, v13, v11
	v_cmp_eq_u32_e32 vcc_lo, 3, v0
	s_waitcnt lgkmcnt(0)
	v_add_f64 v[10:11], v[10:11], v[12:13]
	v_lshlrev_b32_e32 v13, 2, v8
	ds_bpermute_b32 v8, v13, v6
	ds_bpermute_b32 v9, v13, v7
	;; [unrolled: 1-line block ×4, first 2 shown]
	s_and_b32 exec_lo, exec_lo, vcc_lo
	s_cbranch_execz .LBB131_23
; %bb.19:
	s_waitcnt lgkmcnt(2)
	v_add_f64 v[8:9], v[6:7], v[8:9]
	s_waitcnt lgkmcnt(0)
	v_add_f64 v[6:7], v[10:11], v[12:13]
	s_load_b64 s[0:1], s[0:1], 0x38
	s_mov_b32 s2, exec_lo
	v_cmpx_eq_f64_e32 0, v[3:4]
	s_xor_b32 s2, exec_lo, s2
	s_cbranch_execz .LBB131_21
; %bb.20:
	s_delay_alu instid0(VALU_DEP_3) | instskip(NEXT) | instid1(VALU_DEP_3)
	v_mul_f64 v[8:9], v[1:2], v[8:9]
	v_mul_f64 v[10:11], v[1:2], v[6:7]
	v_lshlrev_b32_e32 v0, 1, v5
                                        ; implicit-def: $vgpr5
                                        ; implicit-def: $vgpr3_vgpr4
                                        ; implicit-def: $vgpr6_vgpr7
	s_delay_alu instid0(VALU_DEP_1) | instskip(NEXT) | instid1(VALU_DEP_1)
	v_ashrrev_i32_e32 v1, 31, v0
	v_lshlrev_b64 v[0:1], 3, v[0:1]
	s_waitcnt lgkmcnt(0)
	s_delay_alu instid0(VALU_DEP_1) | instskip(NEXT) | instid1(VALU_DEP_2)
	v_add_co_u32 v0, vcc_lo, s0, v0
	v_add_co_ci_u32_e32 v1, vcc_lo, s1, v1, vcc_lo
	global_store_b128 v[0:1], v[8:11], off
                                        ; implicit-def: $vgpr1_vgpr2
                                        ; implicit-def: $vgpr8_vgpr9
.LBB131_21:
	s_and_not1_saveexec_b32 s2, s2
	s_cbranch_execz .LBB131_23
; %bb.22:
	v_lshlrev_b32_e32 v10, 1, v5
	s_delay_alu instid0(VALU_DEP_4) | instskip(NEXT) | instid1(VALU_DEP_4)
	v_mul_f64 v[8:9], v[1:2], v[8:9]
	v_mul_f64 v[5:6], v[1:2], v[6:7]
	s_delay_alu instid0(VALU_DEP_3) | instskip(NEXT) | instid1(VALU_DEP_1)
	v_ashrrev_i32_e32 v11, 31, v10
	v_lshlrev_b64 v[10:11], 3, v[10:11]
	s_waitcnt lgkmcnt(0)
	s_delay_alu instid0(VALU_DEP_1) | instskip(NEXT) | instid1(VALU_DEP_2)
	v_add_co_u32 v14, vcc_lo, s0, v10
	v_add_co_ci_u32_e32 v15, vcc_lo, s1, v11, vcc_lo
	global_load_b128 v[10:13], v[14:15], off
	s_waitcnt vmcnt(0)
	v_fma_f64 v[0:1], v[3:4], v[10:11], v[8:9]
	v_fma_f64 v[2:3], v[3:4], v[12:13], v[5:6]
	global_store_b128 v[14:15], v[0:3], off
.LBB131_23:
	s_nop 0
	s_sendmsg sendmsg(MSG_DEALLOC_VGPRS)
	s_endpgm
	.section	.rodata,"a",@progbits
	.p2align	6, 0x0
	.amdhsa_kernel _ZN9rocsparseL19gebsrmvn_2xn_kernelILj128ELj13ELj4EdEEvi20rocsparse_direction_NS_24const_host_device_scalarIT2_EEPKiS6_PKS3_S8_S4_PS3_21rocsparse_index_base_b
		.amdhsa_group_segment_fixed_size 0
		.amdhsa_private_segment_fixed_size 0
		.amdhsa_kernarg_size 72
		.amdhsa_user_sgpr_count 15
		.amdhsa_user_sgpr_dispatch_ptr 0
		.amdhsa_user_sgpr_queue_ptr 0
		.amdhsa_user_sgpr_kernarg_segment_ptr 1
		.amdhsa_user_sgpr_dispatch_id 0
		.amdhsa_user_sgpr_private_segment_size 0
		.amdhsa_wavefront_size32 1
		.amdhsa_uses_dynamic_stack 0
		.amdhsa_enable_private_segment 0
		.amdhsa_system_sgpr_workgroup_id_x 1
		.amdhsa_system_sgpr_workgroup_id_y 0
		.amdhsa_system_sgpr_workgroup_id_z 0
		.amdhsa_system_sgpr_workgroup_info 0
		.amdhsa_system_vgpr_workitem_id 0
		.amdhsa_next_free_vgpr 73
		.amdhsa_next_free_sgpr 16
		.amdhsa_reserve_vcc 1
		.amdhsa_float_round_mode_32 0
		.amdhsa_float_round_mode_16_64 0
		.amdhsa_float_denorm_mode_32 3
		.amdhsa_float_denorm_mode_16_64 3
		.amdhsa_dx10_clamp 1
		.amdhsa_ieee_mode 1
		.amdhsa_fp16_overflow 0
		.amdhsa_workgroup_processor_mode 1
		.amdhsa_memory_ordered 1
		.amdhsa_forward_progress 0
		.amdhsa_shared_vgpr_count 0
		.amdhsa_exception_fp_ieee_invalid_op 0
		.amdhsa_exception_fp_denorm_src 0
		.amdhsa_exception_fp_ieee_div_zero 0
		.amdhsa_exception_fp_ieee_overflow 0
		.amdhsa_exception_fp_ieee_underflow 0
		.amdhsa_exception_fp_ieee_inexact 0
		.amdhsa_exception_int_div_zero 0
	.end_amdhsa_kernel
	.section	.text._ZN9rocsparseL19gebsrmvn_2xn_kernelILj128ELj13ELj4EdEEvi20rocsparse_direction_NS_24const_host_device_scalarIT2_EEPKiS6_PKS3_S8_S4_PS3_21rocsparse_index_base_b,"axG",@progbits,_ZN9rocsparseL19gebsrmvn_2xn_kernelILj128ELj13ELj4EdEEvi20rocsparse_direction_NS_24const_host_device_scalarIT2_EEPKiS6_PKS3_S8_S4_PS3_21rocsparse_index_base_b,comdat
.Lfunc_end131:
	.size	_ZN9rocsparseL19gebsrmvn_2xn_kernelILj128ELj13ELj4EdEEvi20rocsparse_direction_NS_24const_host_device_scalarIT2_EEPKiS6_PKS3_S8_S4_PS3_21rocsparse_index_base_b, .Lfunc_end131-_ZN9rocsparseL19gebsrmvn_2xn_kernelILj128ELj13ELj4EdEEvi20rocsparse_direction_NS_24const_host_device_scalarIT2_EEPKiS6_PKS3_S8_S4_PS3_21rocsparse_index_base_b
                                        ; -- End function
	.section	.AMDGPU.csdata,"",@progbits
; Kernel info:
; codeLenInByte = 3908
; NumSgprs: 18
; NumVgprs: 73
; ScratchSize: 0
; MemoryBound: 0
; FloatMode: 240
; IeeeMode: 1
; LDSByteSize: 0 bytes/workgroup (compile time only)
; SGPRBlocks: 2
; VGPRBlocks: 9
; NumSGPRsForWavesPerEU: 18
; NumVGPRsForWavesPerEU: 73
; Occupancy: 16
; WaveLimiterHint : 1
; COMPUTE_PGM_RSRC2:SCRATCH_EN: 0
; COMPUTE_PGM_RSRC2:USER_SGPR: 15
; COMPUTE_PGM_RSRC2:TRAP_HANDLER: 0
; COMPUTE_PGM_RSRC2:TGID_X_EN: 1
; COMPUTE_PGM_RSRC2:TGID_Y_EN: 0
; COMPUTE_PGM_RSRC2:TGID_Z_EN: 0
; COMPUTE_PGM_RSRC2:TIDIG_COMP_CNT: 0
	.section	.text._ZN9rocsparseL19gebsrmvn_2xn_kernelILj128ELj13ELj8EdEEvi20rocsparse_direction_NS_24const_host_device_scalarIT2_EEPKiS6_PKS3_S8_S4_PS3_21rocsparse_index_base_b,"axG",@progbits,_ZN9rocsparseL19gebsrmvn_2xn_kernelILj128ELj13ELj8EdEEvi20rocsparse_direction_NS_24const_host_device_scalarIT2_EEPKiS6_PKS3_S8_S4_PS3_21rocsparse_index_base_b,comdat
	.globl	_ZN9rocsparseL19gebsrmvn_2xn_kernelILj128ELj13ELj8EdEEvi20rocsparse_direction_NS_24const_host_device_scalarIT2_EEPKiS6_PKS3_S8_S4_PS3_21rocsparse_index_base_b ; -- Begin function _ZN9rocsparseL19gebsrmvn_2xn_kernelILj128ELj13ELj8EdEEvi20rocsparse_direction_NS_24const_host_device_scalarIT2_EEPKiS6_PKS3_S8_S4_PS3_21rocsparse_index_base_b
	.p2align	8
	.type	_ZN9rocsparseL19gebsrmvn_2xn_kernelILj128ELj13ELj8EdEEvi20rocsparse_direction_NS_24const_host_device_scalarIT2_EEPKiS6_PKS3_S8_S4_PS3_21rocsparse_index_base_b,@function
_ZN9rocsparseL19gebsrmvn_2xn_kernelILj128ELj13ELj8EdEEvi20rocsparse_direction_NS_24const_host_device_scalarIT2_EEPKiS6_PKS3_S8_S4_PS3_21rocsparse_index_base_b: ; @_ZN9rocsparseL19gebsrmvn_2xn_kernelILj128ELj13ELj8EdEEvi20rocsparse_direction_NS_24const_host_device_scalarIT2_EEPKiS6_PKS3_S8_S4_PS3_21rocsparse_index_base_b
; %bb.0:
	s_clause 0x2
	s_load_b64 s[12:13], s[0:1], 0x40
	s_load_b64 s[4:5], s[0:1], 0x8
	;; [unrolled: 1-line block ×3, first 2 shown]
	s_waitcnt lgkmcnt(0)
	s_bitcmp1_b32 s13, 0
	v_dual_mov_b32 v1, s4 :: v_dual_mov_b32 v2, s5
	s_cselect_b32 s6, -1, 0
	s_delay_alu instid0(SALU_CYCLE_1)
	s_and_b32 vcc_lo, exec_lo, s6
	s_xor_b32 s6, s6, -1
	s_cbranch_vccnz .LBB132_2
; %bb.1:
	v_dual_mov_b32 v1, s4 :: v_dual_mov_b32 v2, s5
	flat_load_b64 v[1:2], v[1:2]
.LBB132_2:
	v_dual_mov_b32 v4, s3 :: v_dual_mov_b32 v3, s2
	s_and_not1_b32 vcc_lo, exec_lo, s6
	s_cbranch_vccnz .LBB132_4
; %bb.3:
	v_dual_mov_b32 v4, s3 :: v_dual_mov_b32 v3, s2
	flat_load_b64 v[3:4], v[3:4]
.LBB132_4:
	s_waitcnt vmcnt(0) lgkmcnt(0)
	v_cmp_neq_f64_e32 vcc_lo, 0, v[1:2]
	v_cmp_neq_f64_e64 s2, 1.0, v[3:4]
	s_delay_alu instid0(VALU_DEP_1) | instskip(NEXT) | instid1(SALU_CYCLE_1)
	s_or_b32 s2, vcc_lo, s2
	s_and_saveexec_b32 s3, s2
	s_cbranch_execz .LBB132_23
; %bb.5:
	s_load_b64 s[2:3], s[0:1], 0x0
	v_lshrrev_b32_e32 v5, 3, v0
	s_delay_alu instid0(VALU_DEP_1) | instskip(SKIP_1) | instid1(VALU_DEP_1)
	v_lshl_or_b32 v5, s15, 4, v5
	s_waitcnt lgkmcnt(0)
	v_cmp_gt_i32_e32 vcc_lo, s2, v5
	s_and_b32 exec_lo, exec_lo, vcc_lo
	s_cbranch_execz .LBB132_23
; %bb.6:
	s_load_b256 s[4:11], s[0:1], 0x10
	v_ashrrev_i32_e32 v6, 31, v5
	v_and_b32_e32 v0, 7, v0
	s_cmp_lg_u32 s3, 0
	s_delay_alu instid0(VALU_DEP_2) | instskip(SKIP_1) | instid1(VALU_DEP_1)
	v_lshlrev_b64 v[6:7], 2, v[5:6]
	s_waitcnt lgkmcnt(0)
	v_add_co_u32 v6, vcc_lo, s4, v6
	s_delay_alu instid0(VALU_DEP_2) | instskip(SKIP_4) | instid1(VALU_DEP_2)
	v_add_co_ci_u32_e32 v7, vcc_lo, s5, v7, vcc_lo
	global_load_b64 v[6:7], v[6:7], off
	s_waitcnt vmcnt(0)
	v_subrev_nc_u32_e32 v6, s12, v6
	v_subrev_nc_u32_e32 v17, s12, v7
	v_add_nc_u32_e32 v6, v6, v0
	s_delay_alu instid0(VALU_DEP_1)
	v_cmp_lt_i32_e64 s2, v6, v17
	s_cbranch_scc0 .LBB132_12
; %bb.7:
	v_mov_b32_e32 v8, 0
	v_mov_b32_e32 v9, 0
	s_delay_alu instid0(VALU_DEP_1)
	v_dual_mov_b32 v11, v9 :: v_dual_mov_b32 v10, v8
	s_and_saveexec_b32 s3, s2
	s_cbranch_execz .LBB132_11
; %bb.8:
	v_dual_mov_b32 v8, 0 :: v_dual_mov_b32 v15, v6
	v_dual_mov_b32 v9, 0 :: v_dual_mov_b32 v14, 0
	v_mad_u64_u32 v[12:13], null, v6, 26, 24
	s_mov_b32 s4, 0
	s_delay_alu instid0(VALU_DEP_2)
	v_dual_mov_b32 v11, v9 :: v_dual_mov_b32 v10, v8
.LBB132_9:                              ; =>This Inner Loop Header: Depth=1
	v_ashrrev_i32_e32 v16, 31, v15
	s_delay_alu instid0(VALU_DEP_3) | instskip(SKIP_1) | instid1(VALU_DEP_3)
	v_subrev_nc_u32_e32 v13, 24, v12
	v_mov_b32_e32 v55, v14
	v_lshlrev_b64 v[18:19], 2, v[15:16]
	v_add_nc_u32_e32 v15, 8, v15
	s_delay_alu instid0(VALU_DEP_2) | instskip(NEXT) | instid1(VALU_DEP_3)
	v_add_co_u32 v18, vcc_lo, s6, v18
	v_add_co_ci_u32_e32 v19, vcc_lo, s7, v19, vcc_lo
	global_load_b32 v7, v[18:19], off
	v_lshlrev_b64 v[18:19], 3, v[13:14]
	v_subrev_nc_u32_e32 v13, 22, v12
	s_delay_alu instid0(VALU_DEP_2) | instskip(NEXT) | instid1(VALU_DEP_3)
	v_add_co_u32 v18, vcc_lo, s8, v18
	v_add_co_ci_u32_e32 v19, vcc_lo, s9, v19, vcc_lo
	global_load_b128 v[18:21], v[18:19], off
	s_waitcnt vmcnt(1)
	v_subrev_nc_u32_e32 v7, s12, v7
	s_delay_alu instid0(VALU_DEP_1) | instskip(NEXT) | instid1(VALU_DEP_1)
	v_mul_lo_u32 v54, v7, 13
	v_lshlrev_b64 v[22:23], 3, v[54:55]
	s_delay_alu instid0(VALU_DEP_1) | instskip(NEXT) | instid1(VALU_DEP_2)
	v_add_co_u32 v22, vcc_lo, s10, v22
	v_add_co_ci_u32_e32 v23, vcc_lo, s11, v23, vcc_lo
	global_load_b64 v[55:56], v[22:23], off
	v_lshlrev_b64 v[22:23], 3, v[13:14]
	v_add_nc_u32_e32 v13, 1, v54
	s_delay_alu instid0(VALU_DEP_1) | instskip(NEXT) | instid1(VALU_DEP_3)
	v_lshlrev_b64 v[26:27], 3, v[13:14]
	v_add_co_u32 v22, vcc_lo, s8, v22
	s_delay_alu instid0(VALU_DEP_4) | instskip(SKIP_1) | instid1(VALU_DEP_4)
	v_add_co_ci_u32_e32 v23, vcc_lo, s9, v23, vcc_lo
	v_subrev_nc_u32_e32 v13, 20, v12
	v_add_co_u32 v26, vcc_lo, s10, v26
	v_add_co_ci_u32_e32 v27, vcc_lo, s11, v27, vcc_lo
	global_load_b128 v[22:25], v[22:23], off
	global_load_b64 v[57:58], v[26:27], off
	v_lshlrev_b64 v[26:27], 3, v[13:14]
	v_add_nc_u32_e32 v13, 2, v54
	s_delay_alu instid0(VALU_DEP_1) | instskip(NEXT) | instid1(VALU_DEP_3)
	v_lshlrev_b64 v[28:29], 3, v[13:14]
	v_add_co_u32 v26, vcc_lo, s8, v26
	s_delay_alu instid0(VALU_DEP_4) | instskip(SKIP_1) | instid1(VALU_DEP_4)
	v_add_co_ci_u32_e32 v27, vcc_lo, s9, v27, vcc_lo
	v_subrev_nc_u32_e32 v13, 18, v12
	v_add_co_u32 v30, vcc_lo, s10, v28
	v_add_co_ci_u32_e32 v31, vcc_lo, s11, v29, vcc_lo
	global_load_b128 v[26:29], v[26:27], off
	global_load_b64 v[59:60], v[30:31], off
	v_lshlrev_b64 v[30:31], 3, v[13:14]
	v_add_nc_u32_e32 v13, 3, v54
	s_delay_alu instid0(VALU_DEP_1) | instskip(NEXT) | instid1(VALU_DEP_3)
	v_lshlrev_b64 v[32:33], 3, v[13:14]
	v_add_co_u32 v30, vcc_lo, s8, v30
	s_delay_alu instid0(VALU_DEP_4) | instskip(SKIP_1) | instid1(VALU_DEP_4)
	v_add_co_ci_u32_e32 v31, vcc_lo, s9, v31, vcc_lo
	v_add_nc_u32_e32 v13, -16, v12
	v_add_co_u32 v34, vcc_lo, s10, v32
	v_add_co_ci_u32_e32 v35, vcc_lo, s11, v33, vcc_lo
	global_load_b128 v[30:33], v[30:31], off
	global_load_b64 v[61:62], v[34:35], off
	v_lshlrev_b64 v[34:35], 3, v[13:14]
	v_add_nc_u32_e32 v13, 4, v54
	s_delay_alu instid0(VALU_DEP_1) | instskip(NEXT) | instid1(VALU_DEP_3)
	v_lshlrev_b64 v[36:37], 3, v[13:14]
	v_add_co_u32 v34, vcc_lo, s8, v34
	s_delay_alu instid0(VALU_DEP_4) | instskip(SKIP_1) | instid1(VALU_DEP_4)
	v_add_co_ci_u32_e32 v35, vcc_lo, s9, v35, vcc_lo
	v_add_nc_u32_e32 v13, -14, v12
	;; [unrolled: 12-line block ×6, first 2 shown]
	v_add_co_u32 v71, vcc_lo, s10, v52
	v_add_co_ci_u32_e32 v72, vcc_lo, s11, v53, vcc_lo
	global_load_b128 v[50:53], v[50:51], off
	global_load_b64 v[71:72], v[71:72], off
	s_waitcnt vmcnt(16)
	v_fma_f64 v[18:19], v[18:19], v[55:56], v[8:9]
	v_fma_f64 v[20:21], v[20:21], v[55:56], v[10:11]
	v_lshlrev_b64 v[7:8], 3, v[13:14]
	v_add_nc_u32_e32 v13, 9, v54
	s_delay_alu instid0(VALU_DEP_1) | instskip(NEXT) | instid1(VALU_DEP_3)
	v_lshlrev_b64 v[9:10], 3, v[13:14]
	v_add_co_u32 v7, vcc_lo, s8, v7
	s_delay_alu instid0(VALU_DEP_4) | instskip(SKIP_1) | instid1(VALU_DEP_4)
	v_add_co_ci_u32_e32 v8, vcc_lo, s9, v8, vcc_lo
	v_add_nc_u32_e32 v13, -4, v12
	v_add_co_u32 v55, vcc_lo, s10, v9
	v_add_co_ci_u32_e32 v56, vcc_lo, s11, v10, vcc_lo
	global_load_b128 v[7:10], v[7:8], off
	global_load_b64 v[55:56], v[55:56], off
	s_waitcnt vmcnt(16)
	v_fma_f64 v[22:23], v[22:23], v[57:58], v[18:19]
	v_fma_f64 v[24:25], v[24:25], v[57:58], v[20:21]
	v_lshlrev_b64 v[18:19], 3, v[13:14]
	v_add_nc_u32_e32 v13, 10, v54
	s_delay_alu instid0(VALU_DEP_1) | instskip(NEXT) | instid1(VALU_DEP_3)
	v_lshlrev_b64 v[20:21], 3, v[13:14]
	v_add_co_u32 v18, vcc_lo, s8, v18
	s_delay_alu instid0(VALU_DEP_4) | instskip(SKIP_1) | instid1(VALU_DEP_4)
	v_add_co_ci_u32_e32 v19, vcc_lo, s9, v19, vcc_lo
	v_add_nc_u32_e32 v13, -2, v12
	v_add_co_u32 v57, vcc_lo, s10, v20
	v_add_co_ci_u32_e32 v58, vcc_lo, s11, v21, vcc_lo
	global_load_b128 v[18:21], v[18:19], off
	global_load_b64 v[57:58], v[57:58], off
	s_waitcnt vmcnt(16)
	v_fma_f64 v[26:27], v[26:27], v[59:60], v[22:23]
	v_fma_f64 v[28:29], v[28:29], v[59:60], v[24:25]
	v_lshlrev_b64 v[22:23], 3, v[13:14]
	v_add_nc_u32_e32 v13, 11, v54
	s_delay_alu instid0(VALU_DEP_1) | instskip(NEXT) | instid1(VALU_DEP_3)
	v_lshlrev_b64 v[24:25], 3, v[13:14]
	v_add_co_u32 v22, vcc_lo, s8, v22
	s_delay_alu instid0(VALU_DEP_4) | instskip(SKIP_1) | instid1(VALU_DEP_4)
	v_add_co_ci_u32_e32 v23, vcc_lo, s9, v23, vcc_lo
	v_mov_b32_e32 v13, v14
	v_add_co_u32 v59, vcc_lo, s10, v24
	v_add_co_ci_u32_e32 v60, vcc_lo, s11, v25, vcc_lo
	global_load_b128 v[22:25], v[22:23], off
	global_load_b64 v[59:60], v[59:60], off
	s_waitcnt vmcnt(16)
	v_fma_f64 v[30:31], v[30:31], v[61:62], v[26:27]
	v_fma_f64 v[32:33], v[32:33], v[61:62], v[28:29]
	v_lshlrev_b64 v[26:27], 3, v[12:13]
	v_add_nc_u32_e32 v12, 0xd0, v12
	v_add_nc_u32_e32 v13, 12, v54
	s_delay_alu instid0(VALU_DEP_3) | instskip(NEXT) | instid1(VALU_DEP_2)
	v_add_co_u32 v26, vcc_lo, s8, v26
	v_lshlrev_b64 v[28:29], 3, v[13:14]
	v_add_co_ci_u32_e32 v27, vcc_lo, s9, v27, vcc_lo
	s_delay_alu instid0(VALU_DEP_2) | instskip(NEXT) | instid1(VALU_DEP_3)
	v_add_co_u32 v61, vcc_lo, s10, v28
	v_add_co_ci_u32_e32 v62, vcc_lo, s11, v29, vcc_lo
	global_load_b128 v[26:29], v[26:27], off
	global_load_b64 v[61:62], v[61:62], off
	v_cmp_ge_i32_e32 vcc_lo, v15, v17
	s_or_b32 s4, vcc_lo, s4
	s_waitcnt vmcnt(16)
	v_fma_f64 v[30:31], v[34:35], v[63:64], v[30:31]
	v_fma_f64 v[32:33], v[36:37], v[63:64], v[32:33]
	s_waitcnt vmcnt(14)
	s_delay_alu instid0(VALU_DEP_2) | instskip(NEXT) | instid1(VALU_DEP_2)
	v_fma_f64 v[30:31], v[38:39], v[65:66], v[30:31]
	v_fma_f64 v[32:33], v[40:41], v[65:66], v[32:33]
	s_waitcnt vmcnt(12)
	s_delay_alu instid0(VALU_DEP_2) | instskip(NEXT) | instid1(VALU_DEP_2)
	;; [unrolled: 4-line block ×8, first 2 shown]
	v_fma_f64 v[8:9], v[26:27], v[61:62], v[7:8]
	v_fma_f64 v[10:11], v[28:29], v[61:62], v[10:11]
	s_and_not1_b32 exec_lo, exec_lo, s4
	s_cbranch_execnz .LBB132_9
; %bb.10:
	s_or_b32 exec_lo, exec_lo, s4
.LBB132_11:
	s_delay_alu instid0(SALU_CYCLE_1)
	s_or_b32 exec_lo, exec_lo, s3
	s_cbranch_execz .LBB132_13
	s_branch .LBB132_18
.LBB132_12:
                                        ; implicit-def: $vgpr8_vgpr9
                                        ; implicit-def: $vgpr10_vgpr11
.LBB132_13:
	v_mov_b32_e32 v8, 0
	v_mov_b32_e32 v9, 0
	s_delay_alu instid0(VALU_DEP_1)
	v_dual_mov_b32 v11, v9 :: v_dual_mov_b32 v10, v8
	s_and_saveexec_b32 s3, s2
	s_cbranch_execz .LBB132_17
; %bb.14:
	v_mov_b32_e32 v8, 0
	v_dual_mov_b32 v9, 0 :: v_dual_mov_b32 v14, 0
	v_mad_u64_u32 v[12:13], null, v6, 26, 25
	s_mov_b32 s2, 0
	s_delay_alu instid0(VALU_DEP_2)
	v_dual_mov_b32 v11, v9 :: v_dual_mov_b32 v10, v8
.LBB132_15:                             ; =>This Inner Loop Header: Depth=1
	v_ashrrev_i32_e32 v7, 31, v6
	s_delay_alu instid0(VALU_DEP_3) | instskip(SKIP_1) | instid1(VALU_DEP_3)
	v_subrev_nc_u32_e32 v13, 25, v12
	v_mov_b32_e32 v23, v14
	v_lshlrev_b64 v[15:16], 2, v[6:7]
	v_add_nc_u32_e32 v6, 8, v6
	s_delay_alu instid0(VALU_DEP_4) | instskip(NEXT) | instid1(VALU_DEP_3)
	v_lshlrev_b64 v[18:19], 3, v[13:14]
	v_add_co_u32 v15, vcc_lo, s6, v15
	s_delay_alu instid0(VALU_DEP_4) | instskip(NEXT) | instid1(VALU_DEP_3)
	v_add_co_ci_u32_e32 v16, vcc_lo, s7, v16, vcc_lo
	v_add_co_u32 v18, vcc_lo, s8, v18
	s_delay_alu instid0(VALU_DEP_4) | instskip(SKIP_2) | instid1(VALU_DEP_1)
	v_add_co_ci_u32_e32 v19, vcc_lo, s9, v19, vcc_lo
	global_load_b32 v7, v[15:16], off
	v_dual_mov_b32 v16, v14 :: v_dual_add_nc_u32 v15, -12, v12
	v_lshlrev_b64 v[15:16], 3, v[15:16]
	s_delay_alu instid0(VALU_DEP_1) | instskip(NEXT) | instid1(VALU_DEP_2)
	v_add_co_u32 v15, vcc_lo, s8, v15
	v_add_co_ci_u32_e32 v16, vcc_lo, s9, v16, vcc_lo
	s_clause 0x1
	global_load_b128 v[18:21], v[18:19], off
	global_load_b64 v[15:16], v[15:16], off
	s_waitcnt vmcnt(2)
	v_subrev_nc_u32_e32 v7, s12, v7
	s_delay_alu instid0(VALU_DEP_1) | instskip(NEXT) | instid1(VALU_DEP_1)
	v_mul_lo_u32 v22, v7, 13
	v_lshlrev_b64 v[23:24], 3, v[22:23]
	v_add_nc_u32_e32 v13, 1, v22
	s_delay_alu instid0(VALU_DEP_1) | instskip(NEXT) | instid1(VALU_DEP_3)
	v_lshlrev_b64 v[25:26], 3, v[13:14]
	v_add_co_u32 v23, vcc_lo, s10, v23
	s_delay_alu instid0(VALU_DEP_4) | instskip(SKIP_1) | instid1(VALU_DEP_4)
	v_add_co_ci_u32_e32 v24, vcc_lo, s11, v24, vcc_lo
	v_add_nc_u32_e32 v13, -11, v12
	v_add_co_u32 v25, vcc_lo, s10, v25
	global_load_b64 v[23:24], v[23:24], off
	v_add_co_ci_u32_e32 v26, vcc_lo, s11, v26, vcc_lo
	v_lshlrev_b64 v[27:28], 3, v[13:14]
	v_subrev_nc_u32_e32 v13, 23, v12
	s_delay_alu instid0(VALU_DEP_2) | instskip(NEXT) | instid1(VALU_DEP_3)
	v_add_co_u32 v27, vcc_lo, s8, v27
	v_add_co_ci_u32_e32 v28, vcc_lo, s9, v28, vcc_lo
	global_load_b64 v[25:26], v[25:26], off
	global_load_b64 v[27:28], v[27:28], off
	v_lshlrev_b64 v[29:30], 3, v[13:14]
	v_add_nc_u32_e32 v13, 2, v22
	s_delay_alu instid0(VALU_DEP_1) | instskip(SKIP_1) | instid1(VALU_DEP_4)
	v_lshlrev_b64 v[31:32], 3, v[13:14]
	v_add_nc_u32_e32 v13, -10, v12
	v_add_co_u32 v29, vcc_lo, s8, v29
	v_add_co_ci_u32_e32 v30, vcc_lo, s9, v30, vcc_lo
	s_delay_alu instid0(VALU_DEP_3)
	v_lshlrev_b64 v[33:34], 3, v[13:14]
	v_add_co_u32 v31, vcc_lo, s10, v31
	v_add_co_ci_u32_e32 v32, vcc_lo, s11, v32, vcc_lo
	global_load_b64 v[29:30], v[29:30], off
	v_add_co_u32 v33, vcc_lo, s8, v33
	v_add_co_ci_u32_e32 v34, vcc_lo, s9, v34, vcc_lo
	global_load_b64 v[31:32], v[31:32], off
	global_load_b64 v[33:34], v[33:34], off
	v_subrev_nc_u32_e32 v13, 22, v12
	s_delay_alu instid0(VALU_DEP_1) | instskip(SKIP_1) | instid1(VALU_DEP_1)
	v_lshlrev_b64 v[35:36], 3, v[13:14]
	v_add_nc_u32_e32 v13, 3, v22
	v_lshlrev_b64 v[37:38], 3, v[13:14]
	v_add_nc_u32_e32 v13, -9, v12
	s_delay_alu instid0(VALU_DEP_4) | instskip(SKIP_1) | instid1(VALU_DEP_3)
	v_add_co_u32 v35, vcc_lo, s8, v35
	v_add_co_ci_u32_e32 v36, vcc_lo, s9, v36, vcc_lo
	v_lshlrev_b64 v[39:40], 3, v[13:14]
	v_add_co_u32 v37, vcc_lo, s10, v37
	v_add_co_ci_u32_e32 v38, vcc_lo, s11, v38, vcc_lo
	global_load_b64 v[35:36], v[35:36], off
	v_add_co_u32 v39, vcc_lo, s8, v39
	v_add_co_ci_u32_e32 v40, vcc_lo, s9, v40, vcc_lo
	global_load_b64 v[37:38], v[37:38], off
	global_load_b64 v[39:40], v[39:40], off
	v_subrev_nc_u32_e32 v13, 21, v12
	s_delay_alu instid0(VALU_DEP_1) | instskip(SKIP_1) | instid1(VALU_DEP_1)
	v_lshlrev_b64 v[41:42], 3, v[13:14]
	v_add_nc_u32_e32 v13, 4, v22
	v_lshlrev_b64 v[43:44], 3, v[13:14]
	v_add_nc_u32_e32 v13, -8, v12
	s_delay_alu instid0(VALU_DEP_4) | instskip(SKIP_1) | instid1(VALU_DEP_3)
	v_add_co_u32 v41, vcc_lo, s8, v41
	v_add_co_ci_u32_e32 v42, vcc_lo, s9, v42, vcc_lo
	v_lshlrev_b64 v[45:46], 3, v[13:14]
	v_add_co_u32 v43, vcc_lo, s10, v43
	v_add_co_ci_u32_e32 v44, vcc_lo, s11, v44, vcc_lo
	v_subrev_nc_u32_e32 v13, 20, v12
	s_delay_alu instid0(VALU_DEP_4)
	v_add_co_u32 v45, vcc_lo, s8, v45
	v_add_co_ci_u32_e32 v46, vcc_lo, s9, v46, vcc_lo
	global_load_b64 v[41:42], v[41:42], off
	global_load_b64 v[43:44], v[43:44], off
	global_load_b64 v[45:46], v[45:46], off
	v_lshlrev_b64 v[47:48], 3, v[13:14]
	v_add_nc_u32_e32 v13, 5, v22
	s_delay_alu instid0(VALU_DEP_1) | instskip(SKIP_1) | instid1(VALU_DEP_4)
	v_lshlrev_b64 v[49:50], 3, v[13:14]
	v_add_nc_u32_e32 v13, -7, v12
	v_add_co_u32 v47, vcc_lo, s8, v47
	v_add_co_ci_u32_e32 v48, vcc_lo, s9, v48, vcc_lo
	s_delay_alu instid0(VALU_DEP_3) | instskip(SKIP_3) | instid1(VALU_DEP_4)
	v_lshlrev_b64 v[51:52], 3, v[13:14]
	v_add_co_u32 v49, vcc_lo, s10, v49
	v_add_co_ci_u32_e32 v50, vcc_lo, s11, v50, vcc_lo
	v_subrev_nc_u32_e32 v13, 19, v12
	v_add_co_u32 v51, vcc_lo, s8, v51
	v_add_co_ci_u32_e32 v52, vcc_lo, s9, v52, vcc_lo
	global_load_b64 v[47:48], v[47:48], off
	global_load_b64 v[49:50], v[49:50], off
	global_load_b64 v[51:52], v[51:52], off
	v_lshlrev_b64 v[53:54], 3, v[13:14]
	v_add_nc_u32_e32 v13, 6, v22
	s_delay_alu instid0(VALU_DEP_1) | instskip(SKIP_1) | instid1(VALU_DEP_4)
	v_lshlrev_b64 v[55:56], 3, v[13:14]
	v_add_nc_u32_e32 v13, -6, v12
	v_add_co_u32 v53, vcc_lo, s8, v53
	v_add_co_ci_u32_e32 v54, vcc_lo, s9, v54, vcc_lo
	s_delay_alu instid0(VALU_DEP_3) | instskip(SKIP_3) | instid1(VALU_DEP_4)
	v_lshlrev_b64 v[57:58], 3, v[13:14]
	v_add_co_u32 v55, vcc_lo, s10, v55
	v_add_co_ci_u32_e32 v56, vcc_lo, s11, v56, vcc_lo
	v_subrev_nc_u32_e32 v13, 18, v12
	;; [unrolled: 17-line block ×3, first 2 shown]
	v_add_co_u32 v63, vcc_lo, s8, v63
	v_add_co_ci_u32_e32 v64, vcc_lo, s9, v64, vcc_lo
	global_load_b64 v[59:60], v[59:60], off
	global_load_b64 v[61:62], v[61:62], off
	;; [unrolled: 1-line block ×3, first 2 shown]
	v_lshlrev_b64 v[65:66], 3, v[13:14]
	v_add_nc_u32_e32 v13, 8, v22
	s_delay_alu instid0(VALU_DEP_1) | instskip(SKIP_1) | instid1(VALU_DEP_4)
	v_lshlrev_b64 v[67:68], 3, v[13:14]
	v_add_nc_u32_e32 v13, -4, v12
	v_add_co_u32 v65, vcc_lo, s8, v65
	v_add_co_ci_u32_e32 v66, vcc_lo, s9, v66, vcc_lo
	s_delay_alu instid0(VALU_DEP_3) | instskip(SKIP_3) | instid1(VALU_DEP_4)
	v_lshlrev_b64 v[69:70], 3, v[13:14]
	v_add_co_u32 v67, vcc_lo, s10, v67
	v_add_co_ci_u32_e32 v68, vcc_lo, s11, v68, vcc_lo
	v_add_nc_u32_e32 v13, -16, v12
	v_add_co_u32 v69, vcc_lo, s8, v69
	v_add_co_ci_u32_e32 v70, vcc_lo, s9, v70, vcc_lo
	global_load_b64 v[65:66], v[65:66], off
	global_load_b64 v[67:68], v[67:68], off
	;; [unrolled: 1-line block ×3, first 2 shown]
	v_lshlrev_b64 v[71:72], 3, v[13:14]
	v_add_nc_u32_e32 v13, 9, v22
	s_waitcnt vmcnt(23)
	v_fma_f64 v[7:8], v[18:19], v[23:24], v[8:9]
	v_fma_f64 v[9:10], v[15:16], v[23:24], v[10:11]
	s_delay_alu instid0(VALU_DEP_3) | instskip(SKIP_3) | instid1(VALU_DEP_3)
	v_lshlrev_b64 v[15:16], 3, v[13:14]
	v_add_nc_u32_e32 v13, -3, v12
	v_add_co_u32 v18, vcc_lo, s8, v71
	v_add_co_ci_u32_e32 v19, vcc_lo, s9, v72, vcc_lo
	v_lshlrev_b64 v[23:24], 3, v[13:14]
	v_add_co_u32 v15, vcc_lo, s10, v15
	v_add_co_ci_u32_e32 v16, vcc_lo, s11, v16, vcc_lo
	v_add_nc_u32_e32 v13, -15, v12
	s_delay_alu instid0(VALU_DEP_4)
	v_add_co_u32 v23, vcc_lo, s8, v23
	v_add_co_ci_u32_e32 v24, vcc_lo, s9, v24, vcc_lo
	global_load_b64 v[18:19], v[18:19], off
	global_load_b64 v[15:16], v[15:16], off
	;; [unrolled: 1-line block ×3, first 2 shown]
	v_lshlrev_b64 v[71:72], 3, v[13:14]
	v_add_nc_u32_e32 v13, 10, v22
	s_waitcnt vmcnt(25)
	v_fma_f64 v[7:8], v[20:21], v[25:26], v[7:8]
	s_waitcnt vmcnt(24)
	v_fma_f64 v[9:10], v[27:28], v[25:26], v[9:10]
	v_lshlrev_b64 v[20:21], 3, v[13:14]
	v_add_nc_u32_e32 v13, -2, v12
	v_add_co_u32 v25, vcc_lo, s8, v71
	v_add_co_ci_u32_e32 v26, vcc_lo, s9, v72, vcc_lo
	s_delay_alu instid0(VALU_DEP_3) | instskip(SKIP_3) | instid1(VALU_DEP_4)
	v_lshlrev_b64 v[27:28], 3, v[13:14]
	v_add_co_u32 v20, vcc_lo, s10, v20
	v_add_co_ci_u32_e32 v21, vcc_lo, s11, v21, vcc_lo
	v_add_nc_u32_e32 v13, -14, v12
	v_add_co_u32 v27, vcc_lo, s8, v27
	v_add_co_ci_u32_e32 v28, vcc_lo, s9, v28, vcc_lo
	global_load_b64 v[25:26], v[25:26], off
	global_load_b64 v[20:21], v[20:21], off
	;; [unrolled: 1-line block ×3, first 2 shown]
	v_lshlrev_b64 v[71:72], 3, v[13:14]
	v_add_nc_u32_e32 v13, 11, v22
	s_waitcnt vmcnt(25)
	v_fma_f64 v[7:8], v[29:30], v[31:32], v[7:8]
	s_waitcnt vmcnt(24)
	v_fma_f64 v[9:10], v[33:34], v[31:32], v[9:10]
	v_lshlrev_b64 v[29:30], 3, v[13:14]
	v_add_nc_u32_e32 v13, -1, v12
	v_add_co_u32 v31, vcc_lo, s8, v71
	v_add_co_ci_u32_e32 v32, vcc_lo, s9, v72, vcc_lo
	s_delay_alu instid0(VALU_DEP_3) | instskip(SKIP_3) | instid1(VALU_DEP_4)
	v_lshlrev_b64 v[33:34], 3, v[13:14]
	v_add_co_u32 v29, vcc_lo, s10, v29
	v_add_co_ci_u32_e32 v30, vcc_lo, s11, v30, vcc_lo
	v_mov_b32_e32 v13, v14
	v_add_co_u32 v33, vcc_lo, s8, v33
	v_add_co_ci_u32_e32 v34, vcc_lo, s9, v34, vcc_lo
	global_load_b64 v[31:32], v[31:32], off
	global_load_b64 v[29:30], v[29:30], off
	;; [unrolled: 1-line block ×3, first 2 shown]
	v_lshlrev_b64 v[71:72], 3, v[12:13]
	v_add_nc_u32_e32 v13, -13, v12
	v_add_nc_u32_e32 v12, 0xd0, v12
	s_delay_alu instid0(VALU_DEP_3) | instskip(NEXT) | instid1(VALU_DEP_4)
	v_add_co_u32 v71, vcc_lo, s8, v71
	v_add_co_ci_u32_e32 v72, vcc_lo, s9, v72, vcc_lo
	s_waitcnt vmcnt(25)
	v_fma_f64 v[7:8], v[35:36], v[37:38], v[7:8]
	s_waitcnt vmcnt(24)
	v_fma_f64 v[9:10], v[39:40], v[37:38], v[9:10]
	v_lshlrev_b64 v[35:36], 3, v[13:14]
	v_add_nc_u32_e32 v13, 12, v22
	s_delay_alu instid0(VALU_DEP_1) | instskip(NEXT) | instid1(VALU_DEP_3)
	v_lshlrev_b64 v[37:38], 3, v[13:14]
	v_add_co_u32 v35, vcc_lo, s8, v35
	s_delay_alu instid0(VALU_DEP_4) | instskip(NEXT) | instid1(VALU_DEP_3)
	v_add_co_ci_u32_e32 v36, vcc_lo, s9, v36, vcc_lo
	v_add_co_u32 v37, vcc_lo, s10, v37
	s_delay_alu instid0(VALU_DEP_4)
	v_add_co_ci_u32_e32 v38, vcc_lo, s11, v38, vcc_lo
	s_clause 0x1
	global_load_b64 v[39:40], v[71:72], off
	global_load_b64 v[35:36], v[35:36], off
	;; [unrolled: 1-line block ×3, first 2 shown]
	v_cmp_ge_i32_e32 vcc_lo, v6, v17
	s_or_b32 s2, vcc_lo, s2
	s_waitcnt vmcnt(25)
	v_fma_f64 v[7:8], v[41:42], v[43:44], v[7:8]
	s_waitcnt vmcnt(24)
	v_fma_f64 v[9:10], v[45:46], v[43:44], v[9:10]
	s_waitcnt vmcnt(22)
	s_delay_alu instid0(VALU_DEP_2) | instskip(SKIP_1) | instid1(VALU_DEP_2)
	v_fma_f64 v[7:8], v[47:48], v[49:50], v[7:8]
	s_waitcnt vmcnt(21)
	v_fma_f64 v[9:10], v[51:52], v[49:50], v[9:10]
	s_waitcnt vmcnt(19)
	s_delay_alu instid0(VALU_DEP_2) | instskip(SKIP_1) | instid1(VALU_DEP_2)
	;; [unrolled: 5-line block ×7, first 2 shown]
	v_fma_f64 v[7:8], v[31:32], v[29:30], v[7:8]
	s_waitcnt vmcnt(3)
	v_fma_f64 v[10:11], v[33:34], v[29:30], v[9:10]
	s_waitcnt vmcnt(0)
	s_delay_alu instid0(VALU_DEP_2) | instskip(NEXT) | instid1(VALU_DEP_2)
	v_fma_f64 v[8:9], v[35:36], v[37:38], v[7:8]
	v_fma_f64 v[10:11], v[39:40], v[37:38], v[10:11]
	s_and_not1_b32 exec_lo, exec_lo, s2
	s_cbranch_execnz .LBB132_15
; %bb.16:
	s_or_b32 exec_lo, exec_lo, s2
.LBB132_17:
	s_delay_alu instid0(SALU_CYCLE_1)
	s_or_b32 exec_lo, exec_lo, s3
.LBB132_18:
	v_mbcnt_lo_u32_b32 v14, -1, 0
	s_delay_alu instid0(VALU_DEP_1) | instskip(NEXT) | instid1(VALU_DEP_1)
	v_xor_b32_e32 v6, 4, v14
	v_cmp_gt_i32_e32 vcc_lo, 32, v6
	v_cndmask_b32_e32 v6, v14, v6, vcc_lo
	s_delay_alu instid0(VALU_DEP_1)
	v_lshlrev_b32_e32 v13, 2, v6
	ds_bpermute_b32 v6, v13, v8
	ds_bpermute_b32 v7, v13, v9
	;; [unrolled: 1-line block ×4, first 2 shown]
	s_waitcnt lgkmcnt(2)
	v_add_f64 v[6:7], v[8:9], v[6:7]
	s_waitcnt lgkmcnt(0)
	v_add_f64 v[8:9], v[10:11], v[12:13]
	v_xor_b32_e32 v10, 2, v14
	s_delay_alu instid0(VALU_DEP_1) | instskip(SKIP_1) | instid1(VALU_DEP_1)
	v_cmp_gt_i32_e32 vcc_lo, 32, v10
	v_cndmask_b32_e32 v10, v14, v10, vcc_lo
	v_lshlrev_b32_e32 v13, 2, v10
	ds_bpermute_b32 v10, v13, v6
	ds_bpermute_b32 v11, v13, v7
	;; [unrolled: 1-line block ×4, first 2 shown]
	s_waitcnt lgkmcnt(2)
	v_add_f64 v[6:7], v[6:7], v[10:11]
	s_waitcnt lgkmcnt(0)
	v_add_f64 v[10:11], v[8:9], v[12:13]
	v_xor_b32_e32 v8, 1, v14
	s_delay_alu instid0(VALU_DEP_1) | instskip(SKIP_2) | instid1(VALU_DEP_2)
	v_cmp_gt_i32_e32 vcc_lo, 32, v8
	v_cndmask_b32_e32 v8, v14, v8, vcc_lo
	v_cmp_eq_u32_e32 vcc_lo, 7, v0
	v_lshlrev_b32_e32 v13, 2, v8
	ds_bpermute_b32 v8, v13, v6
	ds_bpermute_b32 v9, v13, v7
	;; [unrolled: 1-line block ×4, first 2 shown]
	s_and_b32 exec_lo, exec_lo, vcc_lo
	s_cbranch_execz .LBB132_23
; %bb.19:
	s_waitcnt lgkmcnt(2)
	v_add_f64 v[8:9], v[6:7], v[8:9]
	s_waitcnt lgkmcnt(0)
	v_add_f64 v[6:7], v[10:11], v[12:13]
	s_load_b64 s[0:1], s[0:1], 0x38
	s_mov_b32 s2, exec_lo
	v_cmpx_eq_f64_e32 0, v[3:4]
	s_xor_b32 s2, exec_lo, s2
	s_cbranch_execz .LBB132_21
; %bb.20:
	s_delay_alu instid0(VALU_DEP_3) | instskip(NEXT) | instid1(VALU_DEP_3)
	v_mul_f64 v[8:9], v[1:2], v[8:9]
	v_mul_f64 v[10:11], v[1:2], v[6:7]
	v_lshlrev_b32_e32 v0, 1, v5
                                        ; implicit-def: $vgpr5
                                        ; implicit-def: $vgpr3_vgpr4
                                        ; implicit-def: $vgpr6_vgpr7
	s_delay_alu instid0(VALU_DEP_1) | instskip(NEXT) | instid1(VALU_DEP_1)
	v_ashrrev_i32_e32 v1, 31, v0
	v_lshlrev_b64 v[0:1], 3, v[0:1]
	s_waitcnt lgkmcnt(0)
	s_delay_alu instid0(VALU_DEP_1) | instskip(NEXT) | instid1(VALU_DEP_2)
	v_add_co_u32 v0, vcc_lo, s0, v0
	v_add_co_ci_u32_e32 v1, vcc_lo, s1, v1, vcc_lo
	global_store_b128 v[0:1], v[8:11], off
                                        ; implicit-def: $vgpr1_vgpr2
                                        ; implicit-def: $vgpr8_vgpr9
.LBB132_21:
	s_and_not1_saveexec_b32 s2, s2
	s_cbranch_execz .LBB132_23
; %bb.22:
	v_lshlrev_b32_e32 v10, 1, v5
	s_delay_alu instid0(VALU_DEP_4) | instskip(NEXT) | instid1(VALU_DEP_4)
	v_mul_f64 v[8:9], v[1:2], v[8:9]
	v_mul_f64 v[5:6], v[1:2], v[6:7]
	s_delay_alu instid0(VALU_DEP_3) | instskip(NEXT) | instid1(VALU_DEP_1)
	v_ashrrev_i32_e32 v11, 31, v10
	v_lshlrev_b64 v[10:11], 3, v[10:11]
	s_waitcnt lgkmcnt(0)
	s_delay_alu instid0(VALU_DEP_1) | instskip(NEXT) | instid1(VALU_DEP_2)
	v_add_co_u32 v14, vcc_lo, s0, v10
	v_add_co_ci_u32_e32 v15, vcc_lo, s1, v11, vcc_lo
	global_load_b128 v[10:13], v[14:15], off
	s_waitcnt vmcnt(0)
	v_fma_f64 v[0:1], v[3:4], v[10:11], v[8:9]
	v_fma_f64 v[2:3], v[3:4], v[12:13], v[5:6]
	global_store_b128 v[14:15], v[0:3], off
.LBB132_23:
	s_nop 0
	s_sendmsg sendmsg(MSG_DEALLOC_VGPRS)
	s_endpgm
	.section	.rodata,"a",@progbits
	.p2align	6, 0x0
	.amdhsa_kernel _ZN9rocsparseL19gebsrmvn_2xn_kernelILj128ELj13ELj8EdEEvi20rocsparse_direction_NS_24const_host_device_scalarIT2_EEPKiS6_PKS3_S8_S4_PS3_21rocsparse_index_base_b
		.amdhsa_group_segment_fixed_size 0
		.amdhsa_private_segment_fixed_size 0
		.amdhsa_kernarg_size 72
		.amdhsa_user_sgpr_count 15
		.amdhsa_user_sgpr_dispatch_ptr 0
		.amdhsa_user_sgpr_queue_ptr 0
		.amdhsa_user_sgpr_kernarg_segment_ptr 1
		.amdhsa_user_sgpr_dispatch_id 0
		.amdhsa_user_sgpr_private_segment_size 0
		.amdhsa_wavefront_size32 1
		.amdhsa_uses_dynamic_stack 0
		.amdhsa_enable_private_segment 0
		.amdhsa_system_sgpr_workgroup_id_x 1
		.amdhsa_system_sgpr_workgroup_id_y 0
		.amdhsa_system_sgpr_workgroup_id_z 0
		.amdhsa_system_sgpr_workgroup_info 0
		.amdhsa_system_vgpr_workitem_id 0
		.amdhsa_next_free_vgpr 73
		.amdhsa_next_free_sgpr 16
		.amdhsa_reserve_vcc 1
		.amdhsa_float_round_mode_32 0
		.amdhsa_float_round_mode_16_64 0
		.amdhsa_float_denorm_mode_32 3
		.amdhsa_float_denorm_mode_16_64 3
		.amdhsa_dx10_clamp 1
		.amdhsa_ieee_mode 1
		.amdhsa_fp16_overflow 0
		.amdhsa_workgroup_processor_mode 1
		.amdhsa_memory_ordered 1
		.amdhsa_forward_progress 0
		.amdhsa_shared_vgpr_count 0
		.amdhsa_exception_fp_ieee_invalid_op 0
		.amdhsa_exception_fp_denorm_src 0
		.amdhsa_exception_fp_ieee_div_zero 0
		.amdhsa_exception_fp_ieee_overflow 0
		.amdhsa_exception_fp_ieee_underflow 0
		.amdhsa_exception_fp_ieee_inexact 0
		.amdhsa_exception_int_div_zero 0
	.end_amdhsa_kernel
	.section	.text._ZN9rocsparseL19gebsrmvn_2xn_kernelILj128ELj13ELj8EdEEvi20rocsparse_direction_NS_24const_host_device_scalarIT2_EEPKiS6_PKS3_S8_S4_PS3_21rocsparse_index_base_b,"axG",@progbits,_ZN9rocsparseL19gebsrmvn_2xn_kernelILj128ELj13ELj8EdEEvi20rocsparse_direction_NS_24const_host_device_scalarIT2_EEPKiS6_PKS3_S8_S4_PS3_21rocsparse_index_base_b,comdat
.Lfunc_end132:
	.size	_ZN9rocsparseL19gebsrmvn_2xn_kernelILj128ELj13ELj8EdEEvi20rocsparse_direction_NS_24const_host_device_scalarIT2_EEPKiS6_PKS3_S8_S4_PS3_21rocsparse_index_base_b, .Lfunc_end132-_ZN9rocsparseL19gebsrmvn_2xn_kernelILj128ELj13ELj8EdEEvi20rocsparse_direction_NS_24const_host_device_scalarIT2_EEPKiS6_PKS3_S8_S4_PS3_21rocsparse_index_base_b
                                        ; -- End function
	.section	.AMDGPU.csdata,"",@progbits
; Kernel info:
; codeLenInByte = 3984
; NumSgprs: 18
; NumVgprs: 73
; ScratchSize: 0
; MemoryBound: 0
; FloatMode: 240
; IeeeMode: 1
; LDSByteSize: 0 bytes/workgroup (compile time only)
; SGPRBlocks: 2
; VGPRBlocks: 9
; NumSGPRsForWavesPerEU: 18
; NumVGPRsForWavesPerEU: 73
; Occupancy: 16
; WaveLimiterHint : 1
; COMPUTE_PGM_RSRC2:SCRATCH_EN: 0
; COMPUTE_PGM_RSRC2:USER_SGPR: 15
; COMPUTE_PGM_RSRC2:TRAP_HANDLER: 0
; COMPUTE_PGM_RSRC2:TGID_X_EN: 1
; COMPUTE_PGM_RSRC2:TGID_Y_EN: 0
; COMPUTE_PGM_RSRC2:TGID_Z_EN: 0
; COMPUTE_PGM_RSRC2:TIDIG_COMP_CNT: 0
	.section	.text._ZN9rocsparseL19gebsrmvn_2xn_kernelILj128ELj13ELj16EdEEvi20rocsparse_direction_NS_24const_host_device_scalarIT2_EEPKiS6_PKS3_S8_S4_PS3_21rocsparse_index_base_b,"axG",@progbits,_ZN9rocsparseL19gebsrmvn_2xn_kernelILj128ELj13ELj16EdEEvi20rocsparse_direction_NS_24const_host_device_scalarIT2_EEPKiS6_PKS3_S8_S4_PS3_21rocsparse_index_base_b,comdat
	.globl	_ZN9rocsparseL19gebsrmvn_2xn_kernelILj128ELj13ELj16EdEEvi20rocsparse_direction_NS_24const_host_device_scalarIT2_EEPKiS6_PKS3_S8_S4_PS3_21rocsparse_index_base_b ; -- Begin function _ZN9rocsparseL19gebsrmvn_2xn_kernelILj128ELj13ELj16EdEEvi20rocsparse_direction_NS_24const_host_device_scalarIT2_EEPKiS6_PKS3_S8_S4_PS3_21rocsparse_index_base_b
	.p2align	8
	.type	_ZN9rocsparseL19gebsrmvn_2xn_kernelILj128ELj13ELj16EdEEvi20rocsparse_direction_NS_24const_host_device_scalarIT2_EEPKiS6_PKS3_S8_S4_PS3_21rocsparse_index_base_b,@function
_ZN9rocsparseL19gebsrmvn_2xn_kernelILj128ELj13ELj16EdEEvi20rocsparse_direction_NS_24const_host_device_scalarIT2_EEPKiS6_PKS3_S8_S4_PS3_21rocsparse_index_base_b: ; @_ZN9rocsparseL19gebsrmvn_2xn_kernelILj128ELj13ELj16EdEEvi20rocsparse_direction_NS_24const_host_device_scalarIT2_EEPKiS6_PKS3_S8_S4_PS3_21rocsparse_index_base_b
; %bb.0:
	s_clause 0x2
	s_load_b64 s[12:13], s[0:1], 0x40
	s_load_b64 s[4:5], s[0:1], 0x8
	;; [unrolled: 1-line block ×3, first 2 shown]
	s_waitcnt lgkmcnt(0)
	s_bitcmp1_b32 s13, 0
	v_dual_mov_b32 v1, s4 :: v_dual_mov_b32 v2, s5
	s_cselect_b32 s6, -1, 0
	s_delay_alu instid0(SALU_CYCLE_1)
	s_and_b32 vcc_lo, exec_lo, s6
	s_xor_b32 s6, s6, -1
	s_cbranch_vccnz .LBB133_2
; %bb.1:
	v_dual_mov_b32 v1, s4 :: v_dual_mov_b32 v2, s5
	flat_load_b64 v[1:2], v[1:2]
.LBB133_2:
	v_dual_mov_b32 v4, s3 :: v_dual_mov_b32 v3, s2
	s_and_not1_b32 vcc_lo, exec_lo, s6
	s_cbranch_vccnz .LBB133_4
; %bb.3:
	v_dual_mov_b32 v4, s3 :: v_dual_mov_b32 v3, s2
	flat_load_b64 v[3:4], v[3:4]
.LBB133_4:
	s_waitcnt vmcnt(0) lgkmcnt(0)
	v_cmp_neq_f64_e32 vcc_lo, 0, v[1:2]
	v_cmp_neq_f64_e64 s2, 1.0, v[3:4]
	s_delay_alu instid0(VALU_DEP_1) | instskip(NEXT) | instid1(SALU_CYCLE_1)
	s_or_b32 s2, vcc_lo, s2
	s_and_saveexec_b32 s3, s2
	s_cbranch_execz .LBB133_23
; %bb.5:
	s_load_b64 s[2:3], s[0:1], 0x0
	v_lshrrev_b32_e32 v5, 4, v0
	s_delay_alu instid0(VALU_DEP_1) | instskip(SKIP_1) | instid1(VALU_DEP_1)
	v_lshl_or_b32 v5, s15, 3, v5
	s_waitcnt lgkmcnt(0)
	v_cmp_gt_i32_e32 vcc_lo, s2, v5
	s_and_b32 exec_lo, exec_lo, vcc_lo
	s_cbranch_execz .LBB133_23
; %bb.6:
	s_load_b256 s[4:11], s[0:1], 0x10
	v_ashrrev_i32_e32 v6, 31, v5
	v_and_b32_e32 v0, 15, v0
	s_cmp_lg_u32 s3, 0
	s_delay_alu instid0(VALU_DEP_2) | instskip(SKIP_1) | instid1(VALU_DEP_1)
	v_lshlrev_b64 v[6:7], 2, v[5:6]
	s_waitcnt lgkmcnt(0)
	v_add_co_u32 v6, vcc_lo, s4, v6
	s_delay_alu instid0(VALU_DEP_2) | instskip(SKIP_4) | instid1(VALU_DEP_2)
	v_add_co_ci_u32_e32 v7, vcc_lo, s5, v7, vcc_lo
	global_load_b64 v[6:7], v[6:7], off
	s_waitcnt vmcnt(0)
	v_subrev_nc_u32_e32 v6, s12, v6
	v_subrev_nc_u32_e32 v17, s12, v7
	v_add_nc_u32_e32 v6, v6, v0
	s_delay_alu instid0(VALU_DEP_1)
	v_cmp_lt_i32_e64 s2, v6, v17
	s_cbranch_scc0 .LBB133_12
; %bb.7:
	v_mov_b32_e32 v8, 0
	v_mov_b32_e32 v9, 0
	s_delay_alu instid0(VALU_DEP_1)
	v_dual_mov_b32 v11, v9 :: v_dual_mov_b32 v10, v8
	s_and_saveexec_b32 s3, s2
	s_cbranch_execz .LBB133_11
; %bb.8:
	v_dual_mov_b32 v8, 0 :: v_dual_mov_b32 v15, v6
	v_dual_mov_b32 v9, 0 :: v_dual_mov_b32 v14, 0
	v_mad_u64_u32 v[12:13], null, v6, 26, 24
	s_mov_b32 s4, 0
	s_delay_alu instid0(VALU_DEP_2)
	v_dual_mov_b32 v11, v9 :: v_dual_mov_b32 v10, v8
.LBB133_9:                              ; =>This Inner Loop Header: Depth=1
	v_ashrrev_i32_e32 v16, 31, v15
	s_delay_alu instid0(VALU_DEP_3) | instskip(SKIP_1) | instid1(VALU_DEP_3)
	v_subrev_nc_u32_e32 v13, 24, v12
	v_mov_b32_e32 v55, v14
	v_lshlrev_b64 v[18:19], 2, v[15:16]
	v_add_nc_u32_e32 v15, 16, v15
	s_delay_alu instid0(VALU_DEP_2) | instskip(NEXT) | instid1(VALU_DEP_3)
	v_add_co_u32 v18, vcc_lo, s6, v18
	v_add_co_ci_u32_e32 v19, vcc_lo, s7, v19, vcc_lo
	global_load_b32 v7, v[18:19], off
	v_lshlrev_b64 v[18:19], 3, v[13:14]
	v_subrev_nc_u32_e32 v13, 22, v12
	s_delay_alu instid0(VALU_DEP_2) | instskip(NEXT) | instid1(VALU_DEP_3)
	v_add_co_u32 v18, vcc_lo, s8, v18
	v_add_co_ci_u32_e32 v19, vcc_lo, s9, v19, vcc_lo
	global_load_b128 v[18:21], v[18:19], off
	s_waitcnt vmcnt(1)
	v_subrev_nc_u32_e32 v7, s12, v7
	s_delay_alu instid0(VALU_DEP_1) | instskip(NEXT) | instid1(VALU_DEP_1)
	v_mul_lo_u32 v54, v7, 13
	v_lshlrev_b64 v[22:23], 3, v[54:55]
	s_delay_alu instid0(VALU_DEP_1) | instskip(NEXT) | instid1(VALU_DEP_2)
	v_add_co_u32 v22, vcc_lo, s10, v22
	v_add_co_ci_u32_e32 v23, vcc_lo, s11, v23, vcc_lo
	global_load_b64 v[55:56], v[22:23], off
	v_lshlrev_b64 v[22:23], 3, v[13:14]
	v_add_nc_u32_e32 v13, 1, v54
	s_delay_alu instid0(VALU_DEP_1) | instskip(NEXT) | instid1(VALU_DEP_3)
	v_lshlrev_b64 v[26:27], 3, v[13:14]
	v_add_co_u32 v22, vcc_lo, s8, v22
	s_delay_alu instid0(VALU_DEP_4) | instskip(SKIP_1) | instid1(VALU_DEP_4)
	v_add_co_ci_u32_e32 v23, vcc_lo, s9, v23, vcc_lo
	v_subrev_nc_u32_e32 v13, 20, v12
	v_add_co_u32 v26, vcc_lo, s10, v26
	v_add_co_ci_u32_e32 v27, vcc_lo, s11, v27, vcc_lo
	global_load_b128 v[22:25], v[22:23], off
	global_load_b64 v[57:58], v[26:27], off
	v_lshlrev_b64 v[26:27], 3, v[13:14]
	v_add_nc_u32_e32 v13, 2, v54
	s_delay_alu instid0(VALU_DEP_1) | instskip(NEXT) | instid1(VALU_DEP_3)
	v_lshlrev_b64 v[28:29], 3, v[13:14]
	v_add_co_u32 v26, vcc_lo, s8, v26
	s_delay_alu instid0(VALU_DEP_4) | instskip(SKIP_1) | instid1(VALU_DEP_4)
	v_add_co_ci_u32_e32 v27, vcc_lo, s9, v27, vcc_lo
	v_subrev_nc_u32_e32 v13, 18, v12
	v_add_co_u32 v30, vcc_lo, s10, v28
	v_add_co_ci_u32_e32 v31, vcc_lo, s11, v29, vcc_lo
	global_load_b128 v[26:29], v[26:27], off
	global_load_b64 v[59:60], v[30:31], off
	v_lshlrev_b64 v[30:31], 3, v[13:14]
	v_add_nc_u32_e32 v13, 3, v54
	s_delay_alu instid0(VALU_DEP_1) | instskip(NEXT) | instid1(VALU_DEP_3)
	v_lshlrev_b64 v[32:33], 3, v[13:14]
	v_add_co_u32 v30, vcc_lo, s8, v30
	s_delay_alu instid0(VALU_DEP_4) | instskip(SKIP_1) | instid1(VALU_DEP_4)
	v_add_co_ci_u32_e32 v31, vcc_lo, s9, v31, vcc_lo
	v_add_nc_u32_e32 v13, -16, v12
	v_add_co_u32 v34, vcc_lo, s10, v32
	v_add_co_ci_u32_e32 v35, vcc_lo, s11, v33, vcc_lo
	global_load_b128 v[30:33], v[30:31], off
	global_load_b64 v[61:62], v[34:35], off
	v_lshlrev_b64 v[34:35], 3, v[13:14]
	v_add_nc_u32_e32 v13, 4, v54
	s_delay_alu instid0(VALU_DEP_1) | instskip(NEXT) | instid1(VALU_DEP_3)
	v_lshlrev_b64 v[36:37], 3, v[13:14]
	v_add_co_u32 v34, vcc_lo, s8, v34
	s_delay_alu instid0(VALU_DEP_4) | instskip(SKIP_1) | instid1(VALU_DEP_4)
	v_add_co_ci_u32_e32 v35, vcc_lo, s9, v35, vcc_lo
	v_add_nc_u32_e32 v13, -14, v12
	;; [unrolled: 12-line block ×6, first 2 shown]
	v_add_co_u32 v71, vcc_lo, s10, v52
	v_add_co_ci_u32_e32 v72, vcc_lo, s11, v53, vcc_lo
	global_load_b128 v[50:53], v[50:51], off
	global_load_b64 v[71:72], v[71:72], off
	s_waitcnt vmcnt(16)
	v_fma_f64 v[18:19], v[18:19], v[55:56], v[8:9]
	v_fma_f64 v[20:21], v[20:21], v[55:56], v[10:11]
	v_lshlrev_b64 v[7:8], 3, v[13:14]
	v_add_nc_u32_e32 v13, 9, v54
	s_delay_alu instid0(VALU_DEP_1) | instskip(NEXT) | instid1(VALU_DEP_3)
	v_lshlrev_b64 v[9:10], 3, v[13:14]
	v_add_co_u32 v7, vcc_lo, s8, v7
	s_delay_alu instid0(VALU_DEP_4) | instskip(SKIP_1) | instid1(VALU_DEP_4)
	v_add_co_ci_u32_e32 v8, vcc_lo, s9, v8, vcc_lo
	v_add_nc_u32_e32 v13, -4, v12
	v_add_co_u32 v55, vcc_lo, s10, v9
	v_add_co_ci_u32_e32 v56, vcc_lo, s11, v10, vcc_lo
	global_load_b128 v[7:10], v[7:8], off
	global_load_b64 v[55:56], v[55:56], off
	s_waitcnt vmcnt(16)
	v_fma_f64 v[22:23], v[22:23], v[57:58], v[18:19]
	v_fma_f64 v[24:25], v[24:25], v[57:58], v[20:21]
	v_lshlrev_b64 v[18:19], 3, v[13:14]
	v_add_nc_u32_e32 v13, 10, v54
	s_delay_alu instid0(VALU_DEP_1) | instskip(NEXT) | instid1(VALU_DEP_3)
	v_lshlrev_b64 v[20:21], 3, v[13:14]
	v_add_co_u32 v18, vcc_lo, s8, v18
	s_delay_alu instid0(VALU_DEP_4) | instskip(SKIP_1) | instid1(VALU_DEP_4)
	v_add_co_ci_u32_e32 v19, vcc_lo, s9, v19, vcc_lo
	v_add_nc_u32_e32 v13, -2, v12
	v_add_co_u32 v57, vcc_lo, s10, v20
	v_add_co_ci_u32_e32 v58, vcc_lo, s11, v21, vcc_lo
	global_load_b128 v[18:21], v[18:19], off
	global_load_b64 v[57:58], v[57:58], off
	s_waitcnt vmcnt(16)
	v_fma_f64 v[26:27], v[26:27], v[59:60], v[22:23]
	v_fma_f64 v[28:29], v[28:29], v[59:60], v[24:25]
	v_lshlrev_b64 v[22:23], 3, v[13:14]
	v_add_nc_u32_e32 v13, 11, v54
	s_delay_alu instid0(VALU_DEP_1) | instskip(NEXT) | instid1(VALU_DEP_3)
	v_lshlrev_b64 v[24:25], 3, v[13:14]
	v_add_co_u32 v22, vcc_lo, s8, v22
	s_delay_alu instid0(VALU_DEP_4) | instskip(SKIP_1) | instid1(VALU_DEP_4)
	v_add_co_ci_u32_e32 v23, vcc_lo, s9, v23, vcc_lo
	v_mov_b32_e32 v13, v14
	v_add_co_u32 v59, vcc_lo, s10, v24
	v_add_co_ci_u32_e32 v60, vcc_lo, s11, v25, vcc_lo
	global_load_b128 v[22:25], v[22:23], off
	global_load_b64 v[59:60], v[59:60], off
	s_waitcnt vmcnt(16)
	v_fma_f64 v[30:31], v[30:31], v[61:62], v[26:27]
	v_fma_f64 v[32:33], v[32:33], v[61:62], v[28:29]
	v_lshlrev_b64 v[26:27], 3, v[12:13]
	v_add_nc_u32_e32 v12, 0x1a0, v12
	v_add_nc_u32_e32 v13, 12, v54
	s_delay_alu instid0(VALU_DEP_3) | instskip(NEXT) | instid1(VALU_DEP_2)
	v_add_co_u32 v26, vcc_lo, s8, v26
	v_lshlrev_b64 v[28:29], 3, v[13:14]
	v_add_co_ci_u32_e32 v27, vcc_lo, s9, v27, vcc_lo
	s_delay_alu instid0(VALU_DEP_2) | instskip(NEXT) | instid1(VALU_DEP_3)
	v_add_co_u32 v61, vcc_lo, s10, v28
	v_add_co_ci_u32_e32 v62, vcc_lo, s11, v29, vcc_lo
	global_load_b128 v[26:29], v[26:27], off
	global_load_b64 v[61:62], v[61:62], off
	v_cmp_ge_i32_e32 vcc_lo, v15, v17
	s_or_b32 s4, vcc_lo, s4
	s_waitcnt vmcnt(16)
	v_fma_f64 v[30:31], v[34:35], v[63:64], v[30:31]
	v_fma_f64 v[32:33], v[36:37], v[63:64], v[32:33]
	s_waitcnt vmcnt(14)
	s_delay_alu instid0(VALU_DEP_2) | instskip(NEXT) | instid1(VALU_DEP_2)
	v_fma_f64 v[30:31], v[38:39], v[65:66], v[30:31]
	v_fma_f64 v[32:33], v[40:41], v[65:66], v[32:33]
	s_waitcnt vmcnt(12)
	s_delay_alu instid0(VALU_DEP_2) | instskip(NEXT) | instid1(VALU_DEP_2)
	;; [unrolled: 4-line block ×8, first 2 shown]
	v_fma_f64 v[8:9], v[26:27], v[61:62], v[7:8]
	v_fma_f64 v[10:11], v[28:29], v[61:62], v[10:11]
	s_and_not1_b32 exec_lo, exec_lo, s4
	s_cbranch_execnz .LBB133_9
; %bb.10:
	s_or_b32 exec_lo, exec_lo, s4
.LBB133_11:
	s_delay_alu instid0(SALU_CYCLE_1)
	s_or_b32 exec_lo, exec_lo, s3
	s_cbranch_execz .LBB133_13
	s_branch .LBB133_18
.LBB133_12:
                                        ; implicit-def: $vgpr8_vgpr9
                                        ; implicit-def: $vgpr10_vgpr11
.LBB133_13:
	v_mov_b32_e32 v8, 0
	v_mov_b32_e32 v9, 0
	s_delay_alu instid0(VALU_DEP_1)
	v_dual_mov_b32 v11, v9 :: v_dual_mov_b32 v10, v8
	s_and_saveexec_b32 s3, s2
	s_cbranch_execz .LBB133_17
; %bb.14:
	v_mov_b32_e32 v8, 0
	v_dual_mov_b32 v9, 0 :: v_dual_mov_b32 v14, 0
	v_mad_u64_u32 v[12:13], null, v6, 26, 25
	s_mov_b32 s2, 0
	s_delay_alu instid0(VALU_DEP_2)
	v_dual_mov_b32 v11, v9 :: v_dual_mov_b32 v10, v8
.LBB133_15:                             ; =>This Inner Loop Header: Depth=1
	v_ashrrev_i32_e32 v7, 31, v6
	s_delay_alu instid0(VALU_DEP_3) | instskip(SKIP_1) | instid1(VALU_DEP_3)
	v_subrev_nc_u32_e32 v13, 25, v12
	v_mov_b32_e32 v23, v14
	v_lshlrev_b64 v[15:16], 2, v[6:7]
	v_add_nc_u32_e32 v6, 16, v6
	s_delay_alu instid0(VALU_DEP_4) | instskip(NEXT) | instid1(VALU_DEP_3)
	v_lshlrev_b64 v[18:19], 3, v[13:14]
	v_add_co_u32 v15, vcc_lo, s6, v15
	s_delay_alu instid0(VALU_DEP_4) | instskip(NEXT) | instid1(VALU_DEP_3)
	v_add_co_ci_u32_e32 v16, vcc_lo, s7, v16, vcc_lo
	v_add_co_u32 v18, vcc_lo, s8, v18
	s_delay_alu instid0(VALU_DEP_4) | instskip(SKIP_2) | instid1(VALU_DEP_1)
	v_add_co_ci_u32_e32 v19, vcc_lo, s9, v19, vcc_lo
	global_load_b32 v7, v[15:16], off
	v_dual_mov_b32 v16, v14 :: v_dual_add_nc_u32 v15, -12, v12
	v_lshlrev_b64 v[15:16], 3, v[15:16]
	s_delay_alu instid0(VALU_DEP_1) | instskip(NEXT) | instid1(VALU_DEP_2)
	v_add_co_u32 v15, vcc_lo, s8, v15
	v_add_co_ci_u32_e32 v16, vcc_lo, s9, v16, vcc_lo
	s_clause 0x1
	global_load_b128 v[18:21], v[18:19], off
	global_load_b64 v[15:16], v[15:16], off
	s_waitcnt vmcnt(2)
	v_subrev_nc_u32_e32 v7, s12, v7
	s_delay_alu instid0(VALU_DEP_1) | instskip(NEXT) | instid1(VALU_DEP_1)
	v_mul_lo_u32 v22, v7, 13
	v_lshlrev_b64 v[23:24], 3, v[22:23]
	v_add_nc_u32_e32 v13, 1, v22
	s_delay_alu instid0(VALU_DEP_1) | instskip(NEXT) | instid1(VALU_DEP_3)
	v_lshlrev_b64 v[25:26], 3, v[13:14]
	v_add_co_u32 v23, vcc_lo, s10, v23
	s_delay_alu instid0(VALU_DEP_4) | instskip(SKIP_1) | instid1(VALU_DEP_4)
	v_add_co_ci_u32_e32 v24, vcc_lo, s11, v24, vcc_lo
	v_add_nc_u32_e32 v13, -11, v12
	v_add_co_u32 v25, vcc_lo, s10, v25
	global_load_b64 v[23:24], v[23:24], off
	v_add_co_ci_u32_e32 v26, vcc_lo, s11, v26, vcc_lo
	v_lshlrev_b64 v[27:28], 3, v[13:14]
	v_subrev_nc_u32_e32 v13, 23, v12
	s_delay_alu instid0(VALU_DEP_2) | instskip(NEXT) | instid1(VALU_DEP_3)
	v_add_co_u32 v27, vcc_lo, s8, v27
	v_add_co_ci_u32_e32 v28, vcc_lo, s9, v28, vcc_lo
	global_load_b64 v[25:26], v[25:26], off
	global_load_b64 v[27:28], v[27:28], off
	v_lshlrev_b64 v[29:30], 3, v[13:14]
	v_add_nc_u32_e32 v13, 2, v22
	s_delay_alu instid0(VALU_DEP_1) | instskip(SKIP_1) | instid1(VALU_DEP_4)
	v_lshlrev_b64 v[31:32], 3, v[13:14]
	v_add_nc_u32_e32 v13, -10, v12
	v_add_co_u32 v29, vcc_lo, s8, v29
	v_add_co_ci_u32_e32 v30, vcc_lo, s9, v30, vcc_lo
	s_delay_alu instid0(VALU_DEP_3)
	v_lshlrev_b64 v[33:34], 3, v[13:14]
	v_add_co_u32 v31, vcc_lo, s10, v31
	v_add_co_ci_u32_e32 v32, vcc_lo, s11, v32, vcc_lo
	global_load_b64 v[29:30], v[29:30], off
	v_add_co_u32 v33, vcc_lo, s8, v33
	v_add_co_ci_u32_e32 v34, vcc_lo, s9, v34, vcc_lo
	global_load_b64 v[31:32], v[31:32], off
	global_load_b64 v[33:34], v[33:34], off
	v_subrev_nc_u32_e32 v13, 22, v12
	s_delay_alu instid0(VALU_DEP_1) | instskip(SKIP_1) | instid1(VALU_DEP_1)
	v_lshlrev_b64 v[35:36], 3, v[13:14]
	v_add_nc_u32_e32 v13, 3, v22
	v_lshlrev_b64 v[37:38], 3, v[13:14]
	v_add_nc_u32_e32 v13, -9, v12
	s_delay_alu instid0(VALU_DEP_4) | instskip(SKIP_1) | instid1(VALU_DEP_3)
	v_add_co_u32 v35, vcc_lo, s8, v35
	v_add_co_ci_u32_e32 v36, vcc_lo, s9, v36, vcc_lo
	v_lshlrev_b64 v[39:40], 3, v[13:14]
	v_add_co_u32 v37, vcc_lo, s10, v37
	v_add_co_ci_u32_e32 v38, vcc_lo, s11, v38, vcc_lo
	global_load_b64 v[35:36], v[35:36], off
	v_add_co_u32 v39, vcc_lo, s8, v39
	v_add_co_ci_u32_e32 v40, vcc_lo, s9, v40, vcc_lo
	global_load_b64 v[37:38], v[37:38], off
	global_load_b64 v[39:40], v[39:40], off
	v_subrev_nc_u32_e32 v13, 21, v12
	s_delay_alu instid0(VALU_DEP_1) | instskip(SKIP_1) | instid1(VALU_DEP_1)
	v_lshlrev_b64 v[41:42], 3, v[13:14]
	v_add_nc_u32_e32 v13, 4, v22
	v_lshlrev_b64 v[43:44], 3, v[13:14]
	v_add_nc_u32_e32 v13, -8, v12
	s_delay_alu instid0(VALU_DEP_4) | instskip(SKIP_1) | instid1(VALU_DEP_3)
	v_add_co_u32 v41, vcc_lo, s8, v41
	v_add_co_ci_u32_e32 v42, vcc_lo, s9, v42, vcc_lo
	v_lshlrev_b64 v[45:46], 3, v[13:14]
	v_add_co_u32 v43, vcc_lo, s10, v43
	v_add_co_ci_u32_e32 v44, vcc_lo, s11, v44, vcc_lo
	v_subrev_nc_u32_e32 v13, 20, v12
	s_delay_alu instid0(VALU_DEP_4)
	v_add_co_u32 v45, vcc_lo, s8, v45
	v_add_co_ci_u32_e32 v46, vcc_lo, s9, v46, vcc_lo
	global_load_b64 v[41:42], v[41:42], off
	global_load_b64 v[43:44], v[43:44], off
	global_load_b64 v[45:46], v[45:46], off
	v_lshlrev_b64 v[47:48], 3, v[13:14]
	v_add_nc_u32_e32 v13, 5, v22
	s_delay_alu instid0(VALU_DEP_1) | instskip(SKIP_1) | instid1(VALU_DEP_4)
	v_lshlrev_b64 v[49:50], 3, v[13:14]
	v_add_nc_u32_e32 v13, -7, v12
	v_add_co_u32 v47, vcc_lo, s8, v47
	v_add_co_ci_u32_e32 v48, vcc_lo, s9, v48, vcc_lo
	s_delay_alu instid0(VALU_DEP_3) | instskip(SKIP_3) | instid1(VALU_DEP_4)
	v_lshlrev_b64 v[51:52], 3, v[13:14]
	v_add_co_u32 v49, vcc_lo, s10, v49
	v_add_co_ci_u32_e32 v50, vcc_lo, s11, v50, vcc_lo
	v_subrev_nc_u32_e32 v13, 19, v12
	v_add_co_u32 v51, vcc_lo, s8, v51
	v_add_co_ci_u32_e32 v52, vcc_lo, s9, v52, vcc_lo
	global_load_b64 v[47:48], v[47:48], off
	global_load_b64 v[49:50], v[49:50], off
	global_load_b64 v[51:52], v[51:52], off
	v_lshlrev_b64 v[53:54], 3, v[13:14]
	v_add_nc_u32_e32 v13, 6, v22
	s_delay_alu instid0(VALU_DEP_1) | instskip(SKIP_1) | instid1(VALU_DEP_4)
	v_lshlrev_b64 v[55:56], 3, v[13:14]
	v_add_nc_u32_e32 v13, -6, v12
	v_add_co_u32 v53, vcc_lo, s8, v53
	v_add_co_ci_u32_e32 v54, vcc_lo, s9, v54, vcc_lo
	s_delay_alu instid0(VALU_DEP_3) | instskip(SKIP_3) | instid1(VALU_DEP_4)
	v_lshlrev_b64 v[57:58], 3, v[13:14]
	v_add_co_u32 v55, vcc_lo, s10, v55
	v_add_co_ci_u32_e32 v56, vcc_lo, s11, v56, vcc_lo
	v_subrev_nc_u32_e32 v13, 18, v12
	;; [unrolled: 17-line block ×3, first 2 shown]
	v_add_co_u32 v63, vcc_lo, s8, v63
	v_add_co_ci_u32_e32 v64, vcc_lo, s9, v64, vcc_lo
	global_load_b64 v[59:60], v[59:60], off
	global_load_b64 v[61:62], v[61:62], off
	;; [unrolled: 1-line block ×3, first 2 shown]
	v_lshlrev_b64 v[65:66], 3, v[13:14]
	v_add_nc_u32_e32 v13, 8, v22
	s_delay_alu instid0(VALU_DEP_1) | instskip(SKIP_1) | instid1(VALU_DEP_4)
	v_lshlrev_b64 v[67:68], 3, v[13:14]
	v_add_nc_u32_e32 v13, -4, v12
	v_add_co_u32 v65, vcc_lo, s8, v65
	v_add_co_ci_u32_e32 v66, vcc_lo, s9, v66, vcc_lo
	s_delay_alu instid0(VALU_DEP_3) | instskip(SKIP_3) | instid1(VALU_DEP_4)
	v_lshlrev_b64 v[69:70], 3, v[13:14]
	v_add_co_u32 v67, vcc_lo, s10, v67
	v_add_co_ci_u32_e32 v68, vcc_lo, s11, v68, vcc_lo
	v_add_nc_u32_e32 v13, -16, v12
	v_add_co_u32 v69, vcc_lo, s8, v69
	v_add_co_ci_u32_e32 v70, vcc_lo, s9, v70, vcc_lo
	global_load_b64 v[65:66], v[65:66], off
	global_load_b64 v[67:68], v[67:68], off
	;; [unrolled: 1-line block ×3, first 2 shown]
	v_lshlrev_b64 v[71:72], 3, v[13:14]
	v_add_nc_u32_e32 v13, 9, v22
	s_waitcnt vmcnt(23)
	v_fma_f64 v[7:8], v[18:19], v[23:24], v[8:9]
	v_fma_f64 v[9:10], v[15:16], v[23:24], v[10:11]
	s_delay_alu instid0(VALU_DEP_3) | instskip(SKIP_3) | instid1(VALU_DEP_3)
	v_lshlrev_b64 v[15:16], 3, v[13:14]
	v_add_nc_u32_e32 v13, -3, v12
	v_add_co_u32 v18, vcc_lo, s8, v71
	v_add_co_ci_u32_e32 v19, vcc_lo, s9, v72, vcc_lo
	v_lshlrev_b64 v[23:24], 3, v[13:14]
	v_add_co_u32 v15, vcc_lo, s10, v15
	v_add_co_ci_u32_e32 v16, vcc_lo, s11, v16, vcc_lo
	v_add_nc_u32_e32 v13, -15, v12
	s_delay_alu instid0(VALU_DEP_4)
	v_add_co_u32 v23, vcc_lo, s8, v23
	v_add_co_ci_u32_e32 v24, vcc_lo, s9, v24, vcc_lo
	global_load_b64 v[18:19], v[18:19], off
	global_load_b64 v[15:16], v[15:16], off
	;; [unrolled: 1-line block ×3, first 2 shown]
	v_lshlrev_b64 v[71:72], 3, v[13:14]
	v_add_nc_u32_e32 v13, 10, v22
	s_waitcnt vmcnt(25)
	v_fma_f64 v[7:8], v[20:21], v[25:26], v[7:8]
	s_waitcnt vmcnt(24)
	v_fma_f64 v[9:10], v[27:28], v[25:26], v[9:10]
	v_lshlrev_b64 v[20:21], 3, v[13:14]
	v_add_nc_u32_e32 v13, -2, v12
	v_add_co_u32 v25, vcc_lo, s8, v71
	v_add_co_ci_u32_e32 v26, vcc_lo, s9, v72, vcc_lo
	s_delay_alu instid0(VALU_DEP_3) | instskip(SKIP_3) | instid1(VALU_DEP_4)
	v_lshlrev_b64 v[27:28], 3, v[13:14]
	v_add_co_u32 v20, vcc_lo, s10, v20
	v_add_co_ci_u32_e32 v21, vcc_lo, s11, v21, vcc_lo
	v_add_nc_u32_e32 v13, -14, v12
	v_add_co_u32 v27, vcc_lo, s8, v27
	v_add_co_ci_u32_e32 v28, vcc_lo, s9, v28, vcc_lo
	global_load_b64 v[25:26], v[25:26], off
	global_load_b64 v[20:21], v[20:21], off
	;; [unrolled: 1-line block ×3, first 2 shown]
	v_lshlrev_b64 v[71:72], 3, v[13:14]
	v_add_nc_u32_e32 v13, 11, v22
	s_waitcnt vmcnt(25)
	v_fma_f64 v[7:8], v[29:30], v[31:32], v[7:8]
	s_waitcnt vmcnt(24)
	v_fma_f64 v[9:10], v[33:34], v[31:32], v[9:10]
	v_lshlrev_b64 v[29:30], 3, v[13:14]
	v_add_nc_u32_e32 v13, -1, v12
	v_add_co_u32 v31, vcc_lo, s8, v71
	v_add_co_ci_u32_e32 v32, vcc_lo, s9, v72, vcc_lo
	s_delay_alu instid0(VALU_DEP_3) | instskip(SKIP_3) | instid1(VALU_DEP_4)
	v_lshlrev_b64 v[33:34], 3, v[13:14]
	v_add_co_u32 v29, vcc_lo, s10, v29
	v_add_co_ci_u32_e32 v30, vcc_lo, s11, v30, vcc_lo
	v_mov_b32_e32 v13, v14
	v_add_co_u32 v33, vcc_lo, s8, v33
	v_add_co_ci_u32_e32 v34, vcc_lo, s9, v34, vcc_lo
	global_load_b64 v[31:32], v[31:32], off
	global_load_b64 v[29:30], v[29:30], off
	;; [unrolled: 1-line block ×3, first 2 shown]
	v_lshlrev_b64 v[71:72], 3, v[12:13]
	v_add_nc_u32_e32 v13, -13, v12
	v_add_nc_u32_e32 v12, 0x1a0, v12
	s_delay_alu instid0(VALU_DEP_3) | instskip(NEXT) | instid1(VALU_DEP_4)
	v_add_co_u32 v71, vcc_lo, s8, v71
	v_add_co_ci_u32_e32 v72, vcc_lo, s9, v72, vcc_lo
	s_waitcnt vmcnt(25)
	v_fma_f64 v[7:8], v[35:36], v[37:38], v[7:8]
	s_waitcnt vmcnt(24)
	v_fma_f64 v[9:10], v[39:40], v[37:38], v[9:10]
	v_lshlrev_b64 v[35:36], 3, v[13:14]
	v_add_nc_u32_e32 v13, 12, v22
	s_delay_alu instid0(VALU_DEP_1) | instskip(NEXT) | instid1(VALU_DEP_3)
	v_lshlrev_b64 v[37:38], 3, v[13:14]
	v_add_co_u32 v35, vcc_lo, s8, v35
	s_delay_alu instid0(VALU_DEP_4) | instskip(NEXT) | instid1(VALU_DEP_3)
	v_add_co_ci_u32_e32 v36, vcc_lo, s9, v36, vcc_lo
	v_add_co_u32 v37, vcc_lo, s10, v37
	s_delay_alu instid0(VALU_DEP_4)
	v_add_co_ci_u32_e32 v38, vcc_lo, s11, v38, vcc_lo
	s_clause 0x1
	global_load_b64 v[39:40], v[71:72], off
	global_load_b64 v[35:36], v[35:36], off
	;; [unrolled: 1-line block ×3, first 2 shown]
	v_cmp_ge_i32_e32 vcc_lo, v6, v17
	s_or_b32 s2, vcc_lo, s2
	s_waitcnt vmcnt(25)
	v_fma_f64 v[7:8], v[41:42], v[43:44], v[7:8]
	s_waitcnt vmcnt(24)
	v_fma_f64 v[9:10], v[45:46], v[43:44], v[9:10]
	s_waitcnt vmcnt(22)
	s_delay_alu instid0(VALU_DEP_2) | instskip(SKIP_1) | instid1(VALU_DEP_2)
	v_fma_f64 v[7:8], v[47:48], v[49:50], v[7:8]
	s_waitcnt vmcnt(21)
	v_fma_f64 v[9:10], v[51:52], v[49:50], v[9:10]
	s_waitcnt vmcnt(19)
	s_delay_alu instid0(VALU_DEP_2) | instskip(SKIP_1) | instid1(VALU_DEP_2)
	;; [unrolled: 5-line block ×7, first 2 shown]
	v_fma_f64 v[7:8], v[31:32], v[29:30], v[7:8]
	s_waitcnt vmcnt(3)
	v_fma_f64 v[10:11], v[33:34], v[29:30], v[9:10]
	s_waitcnt vmcnt(0)
	s_delay_alu instid0(VALU_DEP_2) | instskip(NEXT) | instid1(VALU_DEP_2)
	v_fma_f64 v[8:9], v[35:36], v[37:38], v[7:8]
	v_fma_f64 v[10:11], v[39:40], v[37:38], v[10:11]
	s_and_not1_b32 exec_lo, exec_lo, s2
	s_cbranch_execnz .LBB133_15
; %bb.16:
	s_or_b32 exec_lo, exec_lo, s2
.LBB133_17:
	s_delay_alu instid0(SALU_CYCLE_1)
	s_or_b32 exec_lo, exec_lo, s3
.LBB133_18:
	v_mbcnt_lo_u32_b32 v14, -1, 0
	s_delay_alu instid0(VALU_DEP_1) | instskip(NEXT) | instid1(VALU_DEP_1)
	v_xor_b32_e32 v6, 8, v14
	v_cmp_gt_i32_e32 vcc_lo, 32, v6
	v_cndmask_b32_e32 v6, v14, v6, vcc_lo
	s_delay_alu instid0(VALU_DEP_1)
	v_lshlrev_b32_e32 v13, 2, v6
	ds_bpermute_b32 v6, v13, v8
	ds_bpermute_b32 v7, v13, v9
	;; [unrolled: 1-line block ×4, first 2 shown]
	s_waitcnt lgkmcnt(2)
	v_add_f64 v[6:7], v[8:9], v[6:7]
	s_waitcnt lgkmcnt(0)
	v_add_f64 v[8:9], v[10:11], v[12:13]
	v_xor_b32_e32 v10, 4, v14
	s_delay_alu instid0(VALU_DEP_1) | instskip(SKIP_1) | instid1(VALU_DEP_1)
	v_cmp_gt_i32_e32 vcc_lo, 32, v10
	v_cndmask_b32_e32 v10, v14, v10, vcc_lo
	v_lshlrev_b32_e32 v13, 2, v10
	ds_bpermute_b32 v10, v13, v6
	ds_bpermute_b32 v11, v13, v7
	;; [unrolled: 1-line block ×4, first 2 shown]
	s_waitcnt lgkmcnt(2)
	v_add_f64 v[6:7], v[6:7], v[10:11]
	v_xor_b32_e32 v10, 2, v14
	s_waitcnt lgkmcnt(0)
	v_add_f64 v[8:9], v[8:9], v[12:13]
	s_delay_alu instid0(VALU_DEP_2) | instskip(SKIP_1) | instid1(VALU_DEP_1)
	v_cmp_gt_i32_e32 vcc_lo, 32, v10
	v_cndmask_b32_e32 v10, v14, v10, vcc_lo
	v_lshlrev_b32_e32 v13, 2, v10
	ds_bpermute_b32 v10, v13, v6
	ds_bpermute_b32 v11, v13, v7
	;; [unrolled: 1-line block ×4, first 2 shown]
	s_waitcnt lgkmcnt(2)
	v_add_f64 v[6:7], v[6:7], v[10:11]
	s_waitcnt lgkmcnt(0)
	v_add_f64 v[10:11], v[8:9], v[12:13]
	v_xor_b32_e32 v8, 1, v14
	s_delay_alu instid0(VALU_DEP_1) | instskip(SKIP_2) | instid1(VALU_DEP_2)
	v_cmp_gt_i32_e32 vcc_lo, 32, v8
	v_cndmask_b32_e32 v8, v14, v8, vcc_lo
	v_cmp_eq_u32_e32 vcc_lo, 15, v0
	v_lshlrev_b32_e32 v13, 2, v8
	ds_bpermute_b32 v8, v13, v6
	ds_bpermute_b32 v9, v13, v7
	;; [unrolled: 1-line block ×4, first 2 shown]
	s_and_b32 exec_lo, exec_lo, vcc_lo
	s_cbranch_execz .LBB133_23
; %bb.19:
	s_waitcnt lgkmcnt(2)
	v_add_f64 v[8:9], v[6:7], v[8:9]
	s_waitcnt lgkmcnt(0)
	v_add_f64 v[6:7], v[10:11], v[12:13]
	s_load_b64 s[0:1], s[0:1], 0x38
	s_mov_b32 s2, exec_lo
	v_cmpx_eq_f64_e32 0, v[3:4]
	s_xor_b32 s2, exec_lo, s2
	s_cbranch_execz .LBB133_21
; %bb.20:
	s_delay_alu instid0(VALU_DEP_3) | instskip(NEXT) | instid1(VALU_DEP_3)
	v_mul_f64 v[8:9], v[1:2], v[8:9]
	v_mul_f64 v[10:11], v[1:2], v[6:7]
	v_lshlrev_b32_e32 v0, 1, v5
                                        ; implicit-def: $vgpr5
                                        ; implicit-def: $vgpr3_vgpr4
                                        ; implicit-def: $vgpr6_vgpr7
	s_delay_alu instid0(VALU_DEP_1) | instskip(NEXT) | instid1(VALU_DEP_1)
	v_ashrrev_i32_e32 v1, 31, v0
	v_lshlrev_b64 v[0:1], 3, v[0:1]
	s_waitcnt lgkmcnt(0)
	s_delay_alu instid0(VALU_DEP_1) | instskip(NEXT) | instid1(VALU_DEP_2)
	v_add_co_u32 v0, vcc_lo, s0, v0
	v_add_co_ci_u32_e32 v1, vcc_lo, s1, v1, vcc_lo
	global_store_b128 v[0:1], v[8:11], off
                                        ; implicit-def: $vgpr1_vgpr2
                                        ; implicit-def: $vgpr8_vgpr9
.LBB133_21:
	s_and_not1_saveexec_b32 s2, s2
	s_cbranch_execz .LBB133_23
; %bb.22:
	v_lshlrev_b32_e32 v10, 1, v5
	s_delay_alu instid0(VALU_DEP_4) | instskip(NEXT) | instid1(VALU_DEP_4)
	v_mul_f64 v[8:9], v[1:2], v[8:9]
	v_mul_f64 v[5:6], v[1:2], v[6:7]
	s_delay_alu instid0(VALU_DEP_3) | instskip(NEXT) | instid1(VALU_DEP_1)
	v_ashrrev_i32_e32 v11, 31, v10
	v_lshlrev_b64 v[10:11], 3, v[10:11]
	s_waitcnt lgkmcnt(0)
	s_delay_alu instid0(VALU_DEP_1) | instskip(NEXT) | instid1(VALU_DEP_2)
	v_add_co_u32 v14, vcc_lo, s0, v10
	v_add_co_ci_u32_e32 v15, vcc_lo, s1, v11, vcc_lo
	global_load_b128 v[10:13], v[14:15], off
	s_waitcnt vmcnt(0)
	v_fma_f64 v[0:1], v[3:4], v[10:11], v[8:9]
	v_fma_f64 v[2:3], v[3:4], v[12:13], v[5:6]
	global_store_b128 v[14:15], v[0:3], off
.LBB133_23:
	s_nop 0
	s_sendmsg sendmsg(MSG_DEALLOC_VGPRS)
	s_endpgm
	.section	.rodata,"a",@progbits
	.p2align	6, 0x0
	.amdhsa_kernel _ZN9rocsparseL19gebsrmvn_2xn_kernelILj128ELj13ELj16EdEEvi20rocsparse_direction_NS_24const_host_device_scalarIT2_EEPKiS6_PKS3_S8_S4_PS3_21rocsparse_index_base_b
		.amdhsa_group_segment_fixed_size 0
		.amdhsa_private_segment_fixed_size 0
		.amdhsa_kernarg_size 72
		.amdhsa_user_sgpr_count 15
		.amdhsa_user_sgpr_dispatch_ptr 0
		.amdhsa_user_sgpr_queue_ptr 0
		.amdhsa_user_sgpr_kernarg_segment_ptr 1
		.amdhsa_user_sgpr_dispatch_id 0
		.amdhsa_user_sgpr_private_segment_size 0
		.amdhsa_wavefront_size32 1
		.amdhsa_uses_dynamic_stack 0
		.amdhsa_enable_private_segment 0
		.amdhsa_system_sgpr_workgroup_id_x 1
		.amdhsa_system_sgpr_workgroup_id_y 0
		.amdhsa_system_sgpr_workgroup_id_z 0
		.amdhsa_system_sgpr_workgroup_info 0
		.amdhsa_system_vgpr_workitem_id 0
		.amdhsa_next_free_vgpr 73
		.amdhsa_next_free_sgpr 16
		.amdhsa_reserve_vcc 1
		.amdhsa_float_round_mode_32 0
		.amdhsa_float_round_mode_16_64 0
		.amdhsa_float_denorm_mode_32 3
		.amdhsa_float_denorm_mode_16_64 3
		.amdhsa_dx10_clamp 1
		.amdhsa_ieee_mode 1
		.amdhsa_fp16_overflow 0
		.amdhsa_workgroup_processor_mode 1
		.amdhsa_memory_ordered 1
		.amdhsa_forward_progress 0
		.amdhsa_shared_vgpr_count 0
		.amdhsa_exception_fp_ieee_invalid_op 0
		.amdhsa_exception_fp_denorm_src 0
		.amdhsa_exception_fp_ieee_div_zero 0
		.amdhsa_exception_fp_ieee_overflow 0
		.amdhsa_exception_fp_ieee_underflow 0
		.amdhsa_exception_fp_ieee_inexact 0
		.amdhsa_exception_int_div_zero 0
	.end_amdhsa_kernel
	.section	.text._ZN9rocsparseL19gebsrmvn_2xn_kernelILj128ELj13ELj16EdEEvi20rocsparse_direction_NS_24const_host_device_scalarIT2_EEPKiS6_PKS3_S8_S4_PS3_21rocsparse_index_base_b,"axG",@progbits,_ZN9rocsparseL19gebsrmvn_2xn_kernelILj128ELj13ELj16EdEEvi20rocsparse_direction_NS_24const_host_device_scalarIT2_EEPKiS6_PKS3_S8_S4_PS3_21rocsparse_index_base_b,comdat
.Lfunc_end133:
	.size	_ZN9rocsparseL19gebsrmvn_2xn_kernelILj128ELj13ELj16EdEEvi20rocsparse_direction_NS_24const_host_device_scalarIT2_EEPKiS6_PKS3_S8_S4_PS3_21rocsparse_index_base_b, .Lfunc_end133-_ZN9rocsparseL19gebsrmvn_2xn_kernelILj128ELj13ELj16EdEEvi20rocsparse_direction_NS_24const_host_device_scalarIT2_EEPKiS6_PKS3_S8_S4_PS3_21rocsparse_index_base_b
                                        ; -- End function
	.section	.AMDGPU.csdata,"",@progbits
; Kernel info:
; codeLenInByte = 4060
; NumSgprs: 18
; NumVgprs: 73
; ScratchSize: 0
; MemoryBound: 0
; FloatMode: 240
; IeeeMode: 1
; LDSByteSize: 0 bytes/workgroup (compile time only)
; SGPRBlocks: 2
; VGPRBlocks: 9
; NumSGPRsForWavesPerEU: 18
; NumVGPRsForWavesPerEU: 73
; Occupancy: 16
; WaveLimiterHint : 1
; COMPUTE_PGM_RSRC2:SCRATCH_EN: 0
; COMPUTE_PGM_RSRC2:USER_SGPR: 15
; COMPUTE_PGM_RSRC2:TRAP_HANDLER: 0
; COMPUTE_PGM_RSRC2:TGID_X_EN: 1
; COMPUTE_PGM_RSRC2:TGID_Y_EN: 0
; COMPUTE_PGM_RSRC2:TGID_Z_EN: 0
; COMPUTE_PGM_RSRC2:TIDIG_COMP_CNT: 0
	.section	.text._ZN9rocsparseL19gebsrmvn_2xn_kernelILj128ELj13ELj32EdEEvi20rocsparse_direction_NS_24const_host_device_scalarIT2_EEPKiS6_PKS3_S8_S4_PS3_21rocsparse_index_base_b,"axG",@progbits,_ZN9rocsparseL19gebsrmvn_2xn_kernelILj128ELj13ELj32EdEEvi20rocsparse_direction_NS_24const_host_device_scalarIT2_EEPKiS6_PKS3_S8_S4_PS3_21rocsparse_index_base_b,comdat
	.globl	_ZN9rocsparseL19gebsrmvn_2xn_kernelILj128ELj13ELj32EdEEvi20rocsparse_direction_NS_24const_host_device_scalarIT2_EEPKiS6_PKS3_S8_S4_PS3_21rocsparse_index_base_b ; -- Begin function _ZN9rocsparseL19gebsrmvn_2xn_kernelILj128ELj13ELj32EdEEvi20rocsparse_direction_NS_24const_host_device_scalarIT2_EEPKiS6_PKS3_S8_S4_PS3_21rocsparse_index_base_b
	.p2align	8
	.type	_ZN9rocsparseL19gebsrmvn_2xn_kernelILj128ELj13ELj32EdEEvi20rocsparse_direction_NS_24const_host_device_scalarIT2_EEPKiS6_PKS3_S8_S4_PS3_21rocsparse_index_base_b,@function
_ZN9rocsparseL19gebsrmvn_2xn_kernelILj128ELj13ELj32EdEEvi20rocsparse_direction_NS_24const_host_device_scalarIT2_EEPKiS6_PKS3_S8_S4_PS3_21rocsparse_index_base_b: ; @_ZN9rocsparseL19gebsrmvn_2xn_kernelILj128ELj13ELj32EdEEvi20rocsparse_direction_NS_24const_host_device_scalarIT2_EEPKiS6_PKS3_S8_S4_PS3_21rocsparse_index_base_b
; %bb.0:
	s_clause 0x2
	s_load_b64 s[12:13], s[0:1], 0x40
	s_load_b64 s[4:5], s[0:1], 0x8
	;; [unrolled: 1-line block ×3, first 2 shown]
	s_waitcnt lgkmcnt(0)
	s_bitcmp1_b32 s13, 0
	v_dual_mov_b32 v1, s4 :: v_dual_mov_b32 v2, s5
	s_cselect_b32 s6, -1, 0
	s_delay_alu instid0(SALU_CYCLE_1)
	s_and_b32 vcc_lo, exec_lo, s6
	s_xor_b32 s6, s6, -1
	s_cbranch_vccnz .LBB134_2
; %bb.1:
	v_dual_mov_b32 v1, s4 :: v_dual_mov_b32 v2, s5
	flat_load_b64 v[1:2], v[1:2]
.LBB134_2:
	v_dual_mov_b32 v4, s3 :: v_dual_mov_b32 v3, s2
	s_and_not1_b32 vcc_lo, exec_lo, s6
	s_cbranch_vccnz .LBB134_4
; %bb.3:
	v_dual_mov_b32 v4, s3 :: v_dual_mov_b32 v3, s2
	flat_load_b64 v[3:4], v[3:4]
.LBB134_4:
	s_waitcnt vmcnt(0) lgkmcnt(0)
	v_cmp_neq_f64_e32 vcc_lo, 0, v[1:2]
	v_cmp_neq_f64_e64 s2, 1.0, v[3:4]
	s_delay_alu instid0(VALU_DEP_1) | instskip(NEXT) | instid1(SALU_CYCLE_1)
	s_or_b32 s2, vcc_lo, s2
	s_and_saveexec_b32 s3, s2
	s_cbranch_execz .LBB134_23
; %bb.5:
	s_load_b64 s[2:3], s[0:1], 0x0
	v_lshrrev_b32_e32 v5, 5, v0
	s_delay_alu instid0(VALU_DEP_1) | instskip(SKIP_1) | instid1(VALU_DEP_1)
	v_lshl_or_b32 v5, s15, 2, v5
	s_waitcnt lgkmcnt(0)
	v_cmp_gt_i32_e32 vcc_lo, s2, v5
	s_and_b32 exec_lo, exec_lo, vcc_lo
	s_cbranch_execz .LBB134_23
; %bb.6:
	s_load_b256 s[4:11], s[0:1], 0x10
	v_ashrrev_i32_e32 v6, 31, v5
	v_and_b32_e32 v0, 31, v0
	s_cmp_lg_u32 s3, 0
	s_delay_alu instid0(VALU_DEP_2) | instskip(SKIP_1) | instid1(VALU_DEP_1)
	v_lshlrev_b64 v[6:7], 2, v[5:6]
	s_waitcnt lgkmcnt(0)
	v_add_co_u32 v6, vcc_lo, s4, v6
	s_delay_alu instid0(VALU_DEP_2) | instskip(SKIP_4) | instid1(VALU_DEP_2)
	v_add_co_ci_u32_e32 v7, vcc_lo, s5, v7, vcc_lo
	global_load_b64 v[6:7], v[6:7], off
	s_waitcnt vmcnt(0)
	v_subrev_nc_u32_e32 v6, s12, v6
	v_subrev_nc_u32_e32 v17, s12, v7
	v_add_nc_u32_e32 v6, v6, v0
	s_delay_alu instid0(VALU_DEP_1)
	v_cmp_lt_i32_e64 s2, v6, v17
	s_cbranch_scc0 .LBB134_12
; %bb.7:
	v_mov_b32_e32 v8, 0
	v_mov_b32_e32 v9, 0
	s_delay_alu instid0(VALU_DEP_1)
	v_dual_mov_b32 v11, v9 :: v_dual_mov_b32 v10, v8
	s_and_saveexec_b32 s3, s2
	s_cbranch_execz .LBB134_11
; %bb.8:
	v_dual_mov_b32 v8, 0 :: v_dual_mov_b32 v15, v6
	v_dual_mov_b32 v9, 0 :: v_dual_mov_b32 v14, 0
	v_mad_u64_u32 v[12:13], null, v6, 26, 24
	s_mov_b32 s4, 0
	s_delay_alu instid0(VALU_DEP_2)
	v_dual_mov_b32 v11, v9 :: v_dual_mov_b32 v10, v8
.LBB134_9:                              ; =>This Inner Loop Header: Depth=1
	v_ashrrev_i32_e32 v16, 31, v15
	s_delay_alu instid0(VALU_DEP_3) | instskip(SKIP_1) | instid1(VALU_DEP_3)
	v_subrev_nc_u32_e32 v13, 24, v12
	v_mov_b32_e32 v55, v14
	v_lshlrev_b64 v[18:19], 2, v[15:16]
	v_add_nc_u32_e32 v15, 32, v15
	s_delay_alu instid0(VALU_DEP_2) | instskip(NEXT) | instid1(VALU_DEP_3)
	v_add_co_u32 v18, vcc_lo, s6, v18
	v_add_co_ci_u32_e32 v19, vcc_lo, s7, v19, vcc_lo
	global_load_b32 v7, v[18:19], off
	v_lshlrev_b64 v[18:19], 3, v[13:14]
	v_subrev_nc_u32_e32 v13, 22, v12
	s_delay_alu instid0(VALU_DEP_2) | instskip(NEXT) | instid1(VALU_DEP_3)
	v_add_co_u32 v18, vcc_lo, s8, v18
	v_add_co_ci_u32_e32 v19, vcc_lo, s9, v19, vcc_lo
	global_load_b128 v[18:21], v[18:19], off
	s_waitcnt vmcnt(1)
	v_subrev_nc_u32_e32 v7, s12, v7
	s_delay_alu instid0(VALU_DEP_1) | instskip(NEXT) | instid1(VALU_DEP_1)
	v_mul_lo_u32 v54, v7, 13
	v_lshlrev_b64 v[22:23], 3, v[54:55]
	s_delay_alu instid0(VALU_DEP_1) | instskip(NEXT) | instid1(VALU_DEP_2)
	v_add_co_u32 v22, vcc_lo, s10, v22
	v_add_co_ci_u32_e32 v23, vcc_lo, s11, v23, vcc_lo
	global_load_b64 v[55:56], v[22:23], off
	v_lshlrev_b64 v[22:23], 3, v[13:14]
	v_add_nc_u32_e32 v13, 1, v54
	s_delay_alu instid0(VALU_DEP_1) | instskip(NEXT) | instid1(VALU_DEP_3)
	v_lshlrev_b64 v[26:27], 3, v[13:14]
	v_add_co_u32 v22, vcc_lo, s8, v22
	s_delay_alu instid0(VALU_DEP_4) | instskip(SKIP_1) | instid1(VALU_DEP_4)
	v_add_co_ci_u32_e32 v23, vcc_lo, s9, v23, vcc_lo
	v_subrev_nc_u32_e32 v13, 20, v12
	v_add_co_u32 v26, vcc_lo, s10, v26
	v_add_co_ci_u32_e32 v27, vcc_lo, s11, v27, vcc_lo
	global_load_b128 v[22:25], v[22:23], off
	global_load_b64 v[57:58], v[26:27], off
	v_lshlrev_b64 v[26:27], 3, v[13:14]
	v_add_nc_u32_e32 v13, 2, v54
	s_delay_alu instid0(VALU_DEP_1) | instskip(NEXT) | instid1(VALU_DEP_3)
	v_lshlrev_b64 v[28:29], 3, v[13:14]
	v_add_co_u32 v26, vcc_lo, s8, v26
	s_delay_alu instid0(VALU_DEP_4) | instskip(SKIP_1) | instid1(VALU_DEP_4)
	v_add_co_ci_u32_e32 v27, vcc_lo, s9, v27, vcc_lo
	v_subrev_nc_u32_e32 v13, 18, v12
	v_add_co_u32 v30, vcc_lo, s10, v28
	v_add_co_ci_u32_e32 v31, vcc_lo, s11, v29, vcc_lo
	global_load_b128 v[26:29], v[26:27], off
	global_load_b64 v[59:60], v[30:31], off
	v_lshlrev_b64 v[30:31], 3, v[13:14]
	v_add_nc_u32_e32 v13, 3, v54
	s_delay_alu instid0(VALU_DEP_1) | instskip(NEXT) | instid1(VALU_DEP_3)
	v_lshlrev_b64 v[32:33], 3, v[13:14]
	v_add_co_u32 v30, vcc_lo, s8, v30
	s_delay_alu instid0(VALU_DEP_4) | instskip(SKIP_1) | instid1(VALU_DEP_4)
	v_add_co_ci_u32_e32 v31, vcc_lo, s9, v31, vcc_lo
	v_add_nc_u32_e32 v13, -16, v12
	v_add_co_u32 v34, vcc_lo, s10, v32
	v_add_co_ci_u32_e32 v35, vcc_lo, s11, v33, vcc_lo
	global_load_b128 v[30:33], v[30:31], off
	global_load_b64 v[61:62], v[34:35], off
	v_lshlrev_b64 v[34:35], 3, v[13:14]
	v_add_nc_u32_e32 v13, 4, v54
	s_delay_alu instid0(VALU_DEP_1) | instskip(NEXT) | instid1(VALU_DEP_3)
	v_lshlrev_b64 v[36:37], 3, v[13:14]
	v_add_co_u32 v34, vcc_lo, s8, v34
	s_delay_alu instid0(VALU_DEP_4) | instskip(SKIP_1) | instid1(VALU_DEP_4)
	v_add_co_ci_u32_e32 v35, vcc_lo, s9, v35, vcc_lo
	v_add_nc_u32_e32 v13, -14, v12
	;; [unrolled: 12-line block ×6, first 2 shown]
	v_add_co_u32 v71, vcc_lo, s10, v52
	v_add_co_ci_u32_e32 v72, vcc_lo, s11, v53, vcc_lo
	global_load_b128 v[50:53], v[50:51], off
	global_load_b64 v[71:72], v[71:72], off
	s_waitcnt vmcnt(16)
	v_fma_f64 v[18:19], v[18:19], v[55:56], v[8:9]
	v_fma_f64 v[20:21], v[20:21], v[55:56], v[10:11]
	v_lshlrev_b64 v[7:8], 3, v[13:14]
	v_add_nc_u32_e32 v13, 9, v54
	s_delay_alu instid0(VALU_DEP_1) | instskip(NEXT) | instid1(VALU_DEP_3)
	v_lshlrev_b64 v[9:10], 3, v[13:14]
	v_add_co_u32 v7, vcc_lo, s8, v7
	s_delay_alu instid0(VALU_DEP_4) | instskip(SKIP_1) | instid1(VALU_DEP_4)
	v_add_co_ci_u32_e32 v8, vcc_lo, s9, v8, vcc_lo
	v_add_nc_u32_e32 v13, -4, v12
	v_add_co_u32 v55, vcc_lo, s10, v9
	v_add_co_ci_u32_e32 v56, vcc_lo, s11, v10, vcc_lo
	global_load_b128 v[7:10], v[7:8], off
	global_load_b64 v[55:56], v[55:56], off
	s_waitcnt vmcnt(16)
	v_fma_f64 v[22:23], v[22:23], v[57:58], v[18:19]
	v_fma_f64 v[24:25], v[24:25], v[57:58], v[20:21]
	v_lshlrev_b64 v[18:19], 3, v[13:14]
	v_add_nc_u32_e32 v13, 10, v54
	s_delay_alu instid0(VALU_DEP_1) | instskip(NEXT) | instid1(VALU_DEP_3)
	v_lshlrev_b64 v[20:21], 3, v[13:14]
	v_add_co_u32 v18, vcc_lo, s8, v18
	s_delay_alu instid0(VALU_DEP_4) | instskip(SKIP_1) | instid1(VALU_DEP_4)
	v_add_co_ci_u32_e32 v19, vcc_lo, s9, v19, vcc_lo
	v_add_nc_u32_e32 v13, -2, v12
	v_add_co_u32 v57, vcc_lo, s10, v20
	v_add_co_ci_u32_e32 v58, vcc_lo, s11, v21, vcc_lo
	global_load_b128 v[18:21], v[18:19], off
	global_load_b64 v[57:58], v[57:58], off
	s_waitcnt vmcnt(16)
	v_fma_f64 v[26:27], v[26:27], v[59:60], v[22:23]
	v_fma_f64 v[28:29], v[28:29], v[59:60], v[24:25]
	v_lshlrev_b64 v[22:23], 3, v[13:14]
	v_add_nc_u32_e32 v13, 11, v54
	s_delay_alu instid0(VALU_DEP_1) | instskip(NEXT) | instid1(VALU_DEP_3)
	v_lshlrev_b64 v[24:25], 3, v[13:14]
	v_add_co_u32 v22, vcc_lo, s8, v22
	s_delay_alu instid0(VALU_DEP_4) | instskip(SKIP_1) | instid1(VALU_DEP_4)
	v_add_co_ci_u32_e32 v23, vcc_lo, s9, v23, vcc_lo
	v_mov_b32_e32 v13, v14
	v_add_co_u32 v59, vcc_lo, s10, v24
	v_add_co_ci_u32_e32 v60, vcc_lo, s11, v25, vcc_lo
	global_load_b128 v[22:25], v[22:23], off
	global_load_b64 v[59:60], v[59:60], off
	s_waitcnt vmcnt(16)
	v_fma_f64 v[30:31], v[30:31], v[61:62], v[26:27]
	v_fma_f64 v[32:33], v[32:33], v[61:62], v[28:29]
	v_lshlrev_b64 v[26:27], 3, v[12:13]
	v_add_nc_u32_e32 v12, 0x340, v12
	v_add_nc_u32_e32 v13, 12, v54
	s_delay_alu instid0(VALU_DEP_3) | instskip(NEXT) | instid1(VALU_DEP_2)
	v_add_co_u32 v26, vcc_lo, s8, v26
	v_lshlrev_b64 v[28:29], 3, v[13:14]
	v_add_co_ci_u32_e32 v27, vcc_lo, s9, v27, vcc_lo
	s_delay_alu instid0(VALU_DEP_2) | instskip(NEXT) | instid1(VALU_DEP_3)
	v_add_co_u32 v61, vcc_lo, s10, v28
	v_add_co_ci_u32_e32 v62, vcc_lo, s11, v29, vcc_lo
	global_load_b128 v[26:29], v[26:27], off
	global_load_b64 v[61:62], v[61:62], off
	v_cmp_ge_i32_e32 vcc_lo, v15, v17
	s_or_b32 s4, vcc_lo, s4
	s_waitcnt vmcnt(16)
	v_fma_f64 v[30:31], v[34:35], v[63:64], v[30:31]
	v_fma_f64 v[32:33], v[36:37], v[63:64], v[32:33]
	s_waitcnt vmcnt(14)
	s_delay_alu instid0(VALU_DEP_2) | instskip(NEXT) | instid1(VALU_DEP_2)
	v_fma_f64 v[30:31], v[38:39], v[65:66], v[30:31]
	v_fma_f64 v[32:33], v[40:41], v[65:66], v[32:33]
	s_waitcnt vmcnt(12)
	s_delay_alu instid0(VALU_DEP_2) | instskip(NEXT) | instid1(VALU_DEP_2)
	;; [unrolled: 4-line block ×8, first 2 shown]
	v_fma_f64 v[8:9], v[26:27], v[61:62], v[7:8]
	v_fma_f64 v[10:11], v[28:29], v[61:62], v[10:11]
	s_and_not1_b32 exec_lo, exec_lo, s4
	s_cbranch_execnz .LBB134_9
; %bb.10:
	s_or_b32 exec_lo, exec_lo, s4
.LBB134_11:
	s_delay_alu instid0(SALU_CYCLE_1)
	s_or_b32 exec_lo, exec_lo, s3
	s_cbranch_execz .LBB134_13
	s_branch .LBB134_18
.LBB134_12:
                                        ; implicit-def: $vgpr8_vgpr9
                                        ; implicit-def: $vgpr10_vgpr11
.LBB134_13:
	v_mov_b32_e32 v8, 0
	v_mov_b32_e32 v9, 0
	s_delay_alu instid0(VALU_DEP_1)
	v_dual_mov_b32 v11, v9 :: v_dual_mov_b32 v10, v8
	s_and_saveexec_b32 s3, s2
	s_cbranch_execz .LBB134_17
; %bb.14:
	v_mov_b32_e32 v8, 0
	v_dual_mov_b32 v9, 0 :: v_dual_mov_b32 v14, 0
	v_mad_u64_u32 v[12:13], null, v6, 26, 25
	s_mov_b32 s2, 0
	s_delay_alu instid0(VALU_DEP_2)
	v_dual_mov_b32 v11, v9 :: v_dual_mov_b32 v10, v8
.LBB134_15:                             ; =>This Inner Loop Header: Depth=1
	v_ashrrev_i32_e32 v7, 31, v6
	s_delay_alu instid0(VALU_DEP_3) | instskip(SKIP_1) | instid1(VALU_DEP_3)
	v_subrev_nc_u32_e32 v13, 25, v12
	v_mov_b32_e32 v23, v14
	v_lshlrev_b64 v[15:16], 2, v[6:7]
	v_add_nc_u32_e32 v6, 32, v6
	s_delay_alu instid0(VALU_DEP_4) | instskip(NEXT) | instid1(VALU_DEP_3)
	v_lshlrev_b64 v[18:19], 3, v[13:14]
	v_add_co_u32 v15, vcc_lo, s6, v15
	s_delay_alu instid0(VALU_DEP_4) | instskip(NEXT) | instid1(VALU_DEP_3)
	v_add_co_ci_u32_e32 v16, vcc_lo, s7, v16, vcc_lo
	v_add_co_u32 v18, vcc_lo, s8, v18
	s_delay_alu instid0(VALU_DEP_4) | instskip(SKIP_2) | instid1(VALU_DEP_1)
	v_add_co_ci_u32_e32 v19, vcc_lo, s9, v19, vcc_lo
	global_load_b32 v7, v[15:16], off
	v_dual_mov_b32 v16, v14 :: v_dual_add_nc_u32 v15, -12, v12
	v_lshlrev_b64 v[15:16], 3, v[15:16]
	s_delay_alu instid0(VALU_DEP_1) | instskip(NEXT) | instid1(VALU_DEP_2)
	v_add_co_u32 v15, vcc_lo, s8, v15
	v_add_co_ci_u32_e32 v16, vcc_lo, s9, v16, vcc_lo
	s_clause 0x1
	global_load_b128 v[18:21], v[18:19], off
	global_load_b64 v[15:16], v[15:16], off
	s_waitcnt vmcnt(2)
	v_subrev_nc_u32_e32 v7, s12, v7
	s_delay_alu instid0(VALU_DEP_1) | instskip(NEXT) | instid1(VALU_DEP_1)
	v_mul_lo_u32 v22, v7, 13
	v_lshlrev_b64 v[23:24], 3, v[22:23]
	v_add_nc_u32_e32 v13, 1, v22
	s_delay_alu instid0(VALU_DEP_1) | instskip(NEXT) | instid1(VALU_DEP_3)
	v_lshlrev_b64 v[25:26], 3, v[13:14]
	v_add_co_u32 v23, vcc_lo, s10, v23
	s_delay_alu instid0(VALU_DEP_4) | instskip(SKIP_1) | instid1(VALU_DEP_4)
	v_add_co_ci_u32_e32 v24, vcc_lo, s11, v24, vcc_lo
	v_add_nc_u32_e32 v13, -11, v12
	v_add_co_u32 v25, vcc_lo, s10, v25
	global_load_b64 v[23:24], v[23:24], off
	v_add_co_ci_u32_e32 v26, vcc_lo, s11, v26, vcc_lo
	v_lshlrev_b64 v[27:28], 3, v[13:14]
	v_subrev_nc_u32_e32 v13, 23, v12
	s_delay_alu instid0(VALU_DEP_2) | instskip(NEXT) | instid1(VALU_DEP_3)
	v_add_co_u32 v27, vcc_lo, s8, v27
	v_add_co_ci_u32_e32 v28, vcc_lo, s9, v28, vcc_lo
	global_load_b64 v[25:26], v[25:26], off
	global_load_b64 v[27:28], v[27:28], off
	v_lshlrev_b64 v[29:30], 3, v[13:14]
	v_add_nc_u32_e32 v13, 2, v22
	s_delay_alu instid0(VALU_DEP_1) | instskip(SKIP_1) | instid1(VALU_DEP_4)
	v_lshlrev_b64 v[31:32], 3, v[13:14]
	v_add_nc_u32_e32 v13, -10, v12
	v_add_co_u32 v29, vcc_lo, s8, v29
	v_add_co_ci_u32_e32 v30, vcc_lo, s9, v30, vcc_lo
	s_delay_alu instid0(VALU_DEP_3)
	v_lshlrev_b64 v[33:34], 3, v[13:14]
	v_add_co_u32 v31, vcc_lo, s10, v31
	v_add_co_ci_u32_e32 v32, vcc_lo, s11, v32, vcc_lo
	global_load_b64 v[29:30], v[29:30], off
	v_add_co_u32 v33, vcc_lo, s8, v33
	v_add_co_ci_u32_e32 v34, vcc_lo, s9, v34, vcc_lo
	global_load_b64 v[31:32], v[31:32], off
	global_load_b64 v[33:34], v[33:34], off
	v_subrev_nc_u32_e32 v13, 22, v12
	s_delay_alu instid0(VALU_DEP_1) | instskip(SKIP_1) | instid1(VALU_DEP_1)
	v_lshlrev_b64 v[35:36], 3, v[13:14]
	v_add_nc_u32_e32 v13, 3, v22
	v_lshlrev_b64 v[37:38], 3, v[13:14]
	v_add_nc_u32_e32 v13, -9, v12
	s_delay_alu instid0(VALU_DEP_4) | instskip(SKIP_1) | instid1(VALU_DEP_3)
	v_add_co_u32 v35, vcc_lo, s8, v35
	v_add_co_ci_u32_e32 v36, vcc_lo, s9, v36, vcc_lo
	v_lshlrev_b64 v[39:40], 3, v[13:14]
	v_add_co_u32 v37, vcc_lo, s10, v37
	v_add_co_ci_u32_e32 v38, vcc_lo, s11, v38, vcc_lo
	global_load_b64 v[35:36], v[35:36], off
	v_add_co_u32 v39, vcc_lo, s8, v39
	v_add_co_ci_u32_e32 v40, vcc_lo, s9, v40, vcc_lo
	global_load_b64 v[37:38], v[37:38], off
	global_load_b64 v[39:40], v[39:40], off
	v_subrev_nc_u32_e32 v13, 21, v12
	s_delay_alu instid0(VALU_DEP_1) | instskip(SKIP_1) | instid1(VALU_DEP_1)
	v_lshlrev_b64 v[41:42], 3, v[13:14]
	v_add_nc_u32_e32 v13, 4, v22
	v_lshlrev_b64 v[43:44], 3, v[13:14]
	v_add_nc_u32_e32 v13, -8, v12
	s_delay_alu instid0(VALU_DEP_4) | instskip(SKIP_1) | instid1(VALU_DEP_3)
	v_add_co_u32 v41, vcc_lo, s8, v41
	v_add_co_ci_u32_e32 v42, vcc_lo, s9, v42, vcc_lo
	v_lshlrev_b64 v[45:46], 3, v[13:14]
	v_add_co_u32 v43, vcc_lo, s10, v43
	v_add_co_ci_u32_e32 v44, vcc_lo, s11, v44, vcc_lo
	v_subrev_nc_u32_e32 v13, 20, v12
	s_delay_alu instid0(VALU_DEP_4)
	v_add_co_u32 v45, vcc_lo, s8, v45
	v_add_co_ci_u32_e32 v46, vcc_lo, s9, v46, vcc_lo
	global_load_b64 v[41:42], v[41:42], off
	global_load_b64 v[43:44], v[43:44], off
	global_load_b64 v[45:46], v[45:46], off
	v_lshlrev_b64 v[47:48], 3, v[13:14]
	v_add_nc_u32_e32 v13, 5, v22
	s_delay_alu instid0(VALU_DEP_1) | instskip(SKIP_1) | instid1(VALU_DEP_4)
	v_lshlrev_b64 v[49:50], 3, v[13:14]
	v_add_nc_u32_e32 v13, -7, v12
	v_add_co_u32 v47, vcc_lo, s8, v47
	v_add_co_ci_u32_e32 v48, vcc_lo, s9, v48, vcc_lo
	s_delay_alu instid0(VALU_DEP_3) | instskip(SKIP_3) | instid1(VALU_DEP_4)
	v_lshlrev_b64 v[51:52], 3, v[13:14]
	v_add_co_u32 v49, vcc_lo, s10, v49
	v_add_co_ci_u32_e32 v50, vcc_lo, s11, v50, vcc_lo
	v_subrev_nc_u32_e32 v13, 19, v12
	v_add_co_u32 v51, vcc_lo, s8, v51
	v_add_co_ci_u32_e32 v52, vcc_lo, s9, v52, vcc_lo
	global_load_b64 v[47:48], v[47:48], off
	global_load_b64 v[49:50], v[49:50], off
	global_load_b64 v[51:52], v[51:52], off
	v_lshlrev_b64 v[53:54], 3, v[13:14]
	v_add_nc_u32_e32 v13, 6, v22
	s_delay_alu instid0(VALU_DEP_1) | instskip(SKIP_1) | instid1(VALU_DEP_4)
	v_lshlrev_b64 v[55:56], 3, v[13:14]
	v_add_nc_u32_e32 v13, -6, v12
	v_add_co_u32 v53, vcc_lo, s8, v53
	v_add_co_ci_u32_e32 v54, vcc_lo, s9, v54, vcc_lo
	s_delay_alu instid0(VALU_DEP_3) | instskip(SKIP_3) | instid1(VALU_DEP_4)
	v_lshlrev_b64 v[57:58], 3, v[13:14]
	v_add_co_u32 v55, vcc_lo, s10, v55
	v_add_co_ci_u32_e32 v56, vcc_lo, s11, v56, vcc_lo
	v_subrev_nc_u32_e32 v13, 18, v12
	;; [unrolled: 17-line block ×3, first 2 shown]
	v_add_co_u32 v63, vcc_lo, s8, v63
	v_add_co_ci_u32_e32 v64, vcc_lo, s9, v64, vcc_lo
	global_load_b64 v[59:60], v[59:60], off
	global_load_b64 v[61:62], v[61:62], off
	;; [unrolled: 1-line block ×3, first 2 shown]
	v_lshlrev_b64 v[65:66], 3, v[13:14]
	v_add_nc_u32_e32 v13, 8, v22
	s_delay_alu instid0(VALU_DEP_1) | instskip(SKIP_1) | instid1(VALU_DEP_4)
	v_lshlrev_b64 v[67:68], 3, v[13:14]
	v_add_nc_u32_e32 v13, -4, v12
	v_add_co_u32 v65, vcc_lo, s8, v65
	v_add_co_ci_u32_e32 v66, vcc_lo, s9, v66, vcc_lo
	s_delay_alu instid0(VALU_DEP_3) | instskip(SKIP_3) | instid1(VALU_DEP_4)
	v_lshlrev_b64 v[69:70], 3, v[13:14]
	v_add_co_u32 v67, vcc_lo, s10, v67
	v_add_co_ci_u32_e32 v68, vcc_lo, s11, v68, vcc_lo
	v_add_nc_u32_e32 v13, -16, v12
	v_add_co_u32 v69, vcc_lo, s8, v69
	v_add_co_ci_u32_e32 v70, vcc_lo, s9, v70, vcc_lo
	global_load_b64 v[65:66], v[65:66], off
	global_load_b64 v[67:68], v[67:68], off
	;; [unrolled: 1-line block ×3, first 2 shown]
	v_lshlrev_b64 v[71:72], 3, v[13:14]
	v_add_nc_u32_e32 v13, 9, v22
	s_waitcnt vmcnt(23)
	v_fma_f64 v[7:8], v[18:19], v[23:24], v[8:9]
	v_fma_f64 v[9:10], v[15:16], v[23:24], v[10:11]
	s_delay_alu instid0(VALU_DEP_3) | instskip(SKIP_3) | instid1(VALU_DEP_3)
	v_lshlrev_b64 v[15:16], 3, v[13:14]
	v_add_nc_u32_e32 v13, -3, v12
	v_add_co_u32 v18, vcc_lo, s8, v71
	v_add_co_ci_u32_e32 v19, vcc_lo, s9, v72, vcc_lo
	v_lshlrev_b64 v[23:24], 3, v[13:14]
	v_add_co_u32 v15, vcc_lo, s10, v15
	v_add_co_ci_u32_e32 v16, vcc_lo, s11, v16, vcc_lo
	v_add_nc_u32_e32 v13, -15, v12
	s_delay_alu instid0(VALU_DEP_4)
	v_add_co_u32 v23, vcc_lo, s8, v23
	v_add_co_ci_u32_e32 v24, vcc_lo, s9, v24, vcc_lo
	global_load_b64 v[18:19], v[18:19], off
	global_load_b64 v[15:16], v[15:16], off
	;; [unrolled: 1-line block ×3, first 2 shown]
	v_lshlrev_b64 v[71:72], 3, v[13:14]
	v_add_nc_u32_e32 v13, 10, v22
	s_waitcnt vmcnt(25)
	v_fma_f64 v[7:8], v[20:21], v[25:26], v[7:8]
	s_waitcnt vmcnt(24)
	v_fma_f64 v[9:10], v[27:28], v[25:26], v[9:10]
	v_lshlrev_b64 v[20:21], 3, v[13:14]
	v_add_nc_u32_e32 v13, -2, v12
	v_add_co_u32 v25, vcc_lo, s8, v71
	v_add_co_ci_u32_e32 v26, vcc_lo, s9, v72, vcc_lo
	s_delay_alu instid0(VALU_DEP_3) | instskip(SKIP_3) | instid1(VALU_DEP_4)
	v_lshlrev_b64 v[27:28], 3, v[13:14]
	v_add_co_u32 v20, vcc_lo, s10, v20
	v_add_co_ci_u32_e32 v21, vcc_lo, s11, v21, vcc_lo
	v_add_nc_u32_e32 v13, -14, v12
	v_add_co_u32 v27, vcc_lo, s8, v27
	v_add_co_ci_u32_e32 v28, vcc_lo, s9, v28, vcc_lo
	global_load_b64 v[25:26], v[25:26], off
	global_load_b64 v[20:21], v[20:21], off
	;; [unrolled: 1-line block ×3, first 2 shown]
	v_lshlrev_b64 v[71:72], 3, v[13:14]
	v_add_nc_u32_e32 v13, 11, v22
	s_waitcnt vmcnt(25)
	v_fma_f64 v[7:8], v[29:30], v[31:32], v[7:8]
	s_waitcnt vmcnt(24)
	v_fma_f64 v[9:10], v[33:34], v[31:32], v[9:10]
	v_lshlrev_b64 v[29:30], 3, v[13:14]
	v_add_nc_u32_e32 v13, -1, v12
	v_add_co_u32 v31, vcc_lo, s8, v71
	v_add_co_ci_u32_e32 v32, vcc_lo, s9, v72, vcc_lo
	s_delay_alu instid0(VALU_DEP_3) | instskip(SKIP_3) | instid1(VALU_DEP_4)
	v_lshlrev_b64 v[33:34], 3, v[13:14]
	v_add_co_u32 v29, vcc_lo, s10, v29
	v_add_co_ci_u32_e32 v30, vcc_lo, s11, v30, vcc_lo
	v_mov_b32_e32 v13, v14
	v_add_co_u32 v33, vcc_lo, s8, v33
	v_add_co_ci_u32_e32 v34, vcc_lo, s9, v34, vcc_lo
	global_load_b64 v[31:32], v[31:32], off
	global_load_b64 v[29:30], v[29:30], off
	;; [unrolled: 1-line block ×3, first 2 shown]
	v_lshlrev_b64 v[71:72], 3, v[12:13]
	v_add_nc_u32_e32 v13, -13, v12
	v_add_nc_u32_e32 v12, 0x340, v12
	s_delay_alu instid0(VALU_DEP_3) | instskip(NEXT) | instid1(VALU_DEP_4)
	v_add_co_u32 v71, vcc_lo, s8, v71
	v_add_co_ci_u32_e32 v72, vcc_lo, s9, v72, vcc_lo
	s_waitcnt vmcnt(25)
	v_fma_f64 v[7:8], v[35:36], v[37:38], v[7:8]
	s_waitcnt vmcnt(24)
	v_fma_f64 v[9:10], v[39:40], v[37:38], v[9:10]
	v_lshlrev_b64 v[35:36], 3, v[13:14]
	v_add_nc_u32_e32 v13, 12, v22
	s_delay_alu instid0(VALU_DEP_1) | instskip(NEXT) | instid1(VALU_DEP_3)
	v_lshlrev_b64 v[37:38], 3, v[13:14]
	v_add_co_u32 v35, vcc_lo, s8, v35
	s_delay_alu instid0(VALU_DEP_4) | instskip(NEXT) | instid1(VALU_DEP_3)
	v_add_co_ci_u32_e32 v36, vcc_lo, s9, v36, vcc_lo
	v_add_co_u32 v37, vcc_lo, s10, v37
	s_delay_alu instid0(VALU_DEP_4)
	v_add_co_ci_u32_e32 v38, vcc_lo, s11, v38, vcc_lo
	s_clause 0x1
	global_load_b64 v[39:40], v[71:72], off
	global_load_b64 v[35:36], v[35:36], off
	;; [unrolled: 1-line block ×3, first 2 shown]
	v_cmp_ge_i32_e32 vcc_lo, v6, v17
	s_or_b32 s2, vcc_lo, s2
	s_waitcnt vmcnt(25)
	v_fma_f64 v[7:8], v[41:42], v[43:44], v[7:8]
	s_waitcnt vmcnt(24)
	v_fma_f64 v[9:10], v[45:46], v[43:44], v[9:10]
	s_waitcnt vmcnt(22)
	s_delay_alu instid0(VALU_DEP_2) | instskip(SKIP_1) | instid1(VALU_DEP_2)
	v_fma_f64 v[7:8], v[47:48], v[49:50], v[7:8]
	s_waitcnt vmcnt(21)
	v_fma_f64 v[9:10], v[51:52], v[49:50], v[9:10]
	s_waitcnt vmcnt(19)
	s_delay_alu instid0(VALU_DEP_2) | instskip(SKIP_1) | instid1(VALU_DEP_2)
	;; [unrolled: 5-line block ×7, first 2 shown]
	v_fma_f64 v[7:8], v[31:32], v[29:30], v[7:8]
	s_waitcnt vmcnt(3)
	v_fma_f64 v[10:11], v[33:34], v[29:30], v[9:10]
	s_waitcnt vmcnt(0)
	s_delay_alu instid0(VALU_DEP_2) | instskip(NEXT) | instid1(VALU_DEP_2)
	v_fma_f64 v[8:9], v[35:36], v[37:38], v[7:8]
	v_fma_f64 v[10:11], v[39:40], v[37:38], v[10:11]
	s_and_not1_b32 exec_lo, exec_lo, s2
	s_cbranch_execnz .LBB134_15
; %bb.16:
	s_or_b32 exec_lo, exec_lo, s2
.LBB134_17:
	s_delay_alu instid0(SALU_CYCLE_1)
	s_or_b32 exec_lo, exec_lo, s3
.LBB134_18:
	v_mbcnt_lo_u32_b32 v14, -1, 0
	s_delay_alu instid0(VALU_DEP_1) | instskip(NEXT) | instid1(VALU_DEP_1)
	v_xor_b32_e32 v6, 16, v14
	v_cmp_gt_i32_e32 vcc_lo, 32, v6
	v_cndmask_b32_e32 v6, v14, v6, vcc_lo
	s_delay_alu instid0(VALU_DEP_1)
	v_lshlrev_b32_e32 v13, 2, v6
	ds_bpermute_b32 v6, v13, v8
	ds_bpermute_b32 v7, v13, v9
	;; [unrolled: 1-line block ×4, first 2 shown]
	s_waitcnt lgkmcnt(2)
	v_add_f64 v[6:7], v[8:9], v[6:7]
	s_waitcnt lgkmcnt(0)
	v_add_f64 v[8:9], v[10:11], v[12:13]
	v_xor_b32_e32 v10, 8, v14
	s_delay_alu instid0(VALU_DEP_1) | instskip(SKIP_1) | instid1(VALU_DEP_1)
	v_cmp_gt_i32_e32 vcc_lo, 32, v10
	v_cndmask_b32_e32 v10, v14, v10, vcc_lo
	v_lshlrev_b32_e32 v13, 2, v10
	ds_bpermute_b32 v10, v13, v6
	ds_bpermute_b32 v11, v13, v7
	ds_bpermute_b32 v12, v13, v8
	ds_bpermute_b32 v13, v13, v9
	s_waitcnt lgkmcnt(2)
	v_add_f64 v[6:7], v[6:7], v[10:11]
	v_xor_b32_e32 v10, 4, v14
	s_waitcnt lgkmcnt(0)
	v_add_f64 v[8:9], v[8:9], v[12:13]
	s_delay_alu instid0(VALU_DEP_2) | instskip(SKIP_1) | instid1(VALU_DEP_1)
	v_cmp_gt_i32_e32 vcc_lo, 32, v10
	v_cndmask_b32_e32 v10, v14, v10, vcc_lo
	v_lshlrev_b32_e32 v13, 2, v10
	ds_bpermute_b32 v10, v13, v6
	ds_bpermute_b32 v11, v13, v7
	;; [unrolled: 1-line block ×4, first 2 shown]
	s_waitcnt lgkmcnt(2)
	v_add_f64 v[6:7], v[6:7], v[10:11]
	v_xor_b32_e32 v10, 2, v14
	s_waitcnt lgkmcnt(0)
	v_add_f64 v[8:9], v[8:9], v[12:13]
	s_delay_alu instid0(VALU_DEP_2) | instskip(SKIP_1) | instid1(VALU_DEP_1)
	v_cmp_gt_i32_e32 vcc_lo, 32, v10
	v_cndmask_b32_e32 v10, v14, v10, vcc_lo
	v_lshlrev_b32_e32 v13, 2, v10
	ds_bpermute_b32 v10, v13, v6
	ds_bpermute_b32 v11, v13, v7
	ds_bpermute_b32 v12, v13, v8
	ds_bpermute_b32 v13, v13, v9
	s_waitcnt lgkmcnt(2)
	v_add_f64 v[6:7], v[6:7], v[10:11]
	s_waitcnt lgkmcnt(0)
	v_add_f64 v[10:11], v[8:9], v[12:13]
	v_xor_b32_e32 v8, 1, v14
	s_delay_alu instid0(VALU_DEP_1) | instskip(SKIP_2) | instid1(VALU_DEP_2)
	v_cmp_gt_i32_e32 vcc_lo, 32, v8
	v_cndmask_b32_e32 v8, v14, v8, vcc_lo
	v_cmp_eq_u32_e32 vcc_lo, 31, v0
	v_lshlrev_b32_e32 v13, 2, v8
	ds_bpermute_b32 v8, v13, v6
	ds_bpermute_b32 v9, v13, v7
	;; [unrolled: 1-line block ×4, first 2 shown]
	s_and_b32 exec_lo, exec_lo, vcc_lo
	s_cbranch_execz .LBB134_23
; %bb.19:
	s_waitcnt lgkmcnt(2)
	v_add_f64 v[8:9], v[6:7], v[8:9]
	s_waitcnt lgkmcnt(0)
	v_add_f64 v[6:7], v[10:11], v[12:13]
	s_load_b64 s[0:1], s[0:1], 0x38
	s_mov_b32 s2, exec_lo
	v_cmpx_eq_f64_e32 0, v[3:4]
	s_xor_b32 s2, exec_lo, s2
	s_cbranch_execz .LBB134_21
; %bb.20:
	s_delay_alu instid0(VALU_DEP_3) | instskip(NEXT) | instid1(VALU_DEP_3)
	v_mul_f64 v[8:9], v[1:2], v[8:9]
	v_mul_f64 v[10:11], v[1:2], v[6:7]
	v_lshlrev_b32_e32 v0, 1, v5
                                        ; implicit-def: $vgpr5
                                        ; implicit-def: $vgpr3_vgpr4
                                        ; implicit-def: $vgpr6_vgpr7
	s_delay_alu instid0(VALU_DEP_1) | instskip(NEXT) | instid1(VALU_DEP_1)
	v_ashrrev_i32_e32 v1, 31, v0
	v_lshlrev_b64 v[0:1], 3, v[0:1]
	s_waitcnt lgkmcnt(0)
	s_delay_alu instid0(VALU_DEP_1) | instskip(NEXT) | instid1(VALU_DEP_2)
	v_add_co_u32 v0, vcc_lo, s0, v0
	v_add_co_ci_u32_e32 v1, vcc_lo, s1, v1, vcc_lo
	global_store_b128 v[0:1], v[8:11], off
                                        ; implicit-def: $vgpr1_vgpr2
                                        ; implicit-def: $vgpr8_vgpr9
.LBB134_21:
	s_and_not1_saveexec_b32 s2, s2
	s_cbranch_execz .LBB134_23
; %bb.22:
	v_lshlrev_b32_e32 v10, 1, v5
	s_delay_alu instid0(VALU_DEP_4) | instskip(NEXT) | instid1(VALU_DEP_4)
	v_mul_f64 v[8:9], v[1:2], v[8:9]
	v_mul_f64 v[5:6], v[1:2], v[6:7]
	s_delay_alu instid0(VALU_DEP_3) | instskip(NEXT) | instid1(VALU_DEP_1)
	v_ashrrev_i32_e32 v11, 31, v10
	v_lshlrev_b64 v[10:11], 3, v[10:11]
	s_waitcnt lgkmcnt(0)
	s_delay_alu instid0(VALU_DEP_1) | instskip(NEXT) | instid1(VALU_DEP_2)
	v_add_co_u32 v14, vcc_lo, s0, v10
	v_add_co_ci_u32_e32 v15, vcc_lo, s1, v11, vcc_lo
	global_load_b128 v[10:13], v[14:15], off
	s_waitcnt vmcnt(0)
	v_fma_f64 v[0:1], v[3:4], v[10:11], v[8:9]
	v_fma_f64 v[2:3], v[3:4], v[12:13], v[5:6]
	global_store_b128 v[14:15], v[0:3], off
.LBB134_23:
	s_nop 0
	s_sendmsg sendmsg(MSG_DEALLOC_VGPRS)
	s_endpgm
	.section	.rodata,"a",@progbits
	.p2align	6, 0x0
	.amdhsa_kernel _ZN9rocsparseL19gebsrmvn_2xn_kernelILj128ELj13ELj32EdEEvi20rocsparse_direction_NS_24const_host_device_scalarIT2_EEPKiS6_PKS3_S8_S4_PS3_21rocsparse_index_base_b
		.amdhsa_group_segment_fixed_size 0
		.amdhsa_private_segment_fixed_size 0
		.amdhsa_kernarg_size 72
		.amdhsa_user_sgpr_count 15
		.amdhsa_user_sgpr_dispatch_ptr 0
		.amdhsa_user_sgpr_queue_ptr 0
		.amdhsa_user_sgpr_kernarg_segment_ptr 1
		.amdhsa_user_sgpr_dispatch_id 0
		.amdhsa_user_sgpr_private_segment_size 0
		.amdhsa_wavefront_size32 1
		.amdhsa_uses_dynamic_stack 0
		.amdhsa_enable_private_segment 0
		.amdhsa_system_sgpr_workgroup_id_x 1
		.amdhsa_system_sgpr_workgroup_id_y 0
		.amdhsa_system_sgpr_workgroup_id_z 0
		.amdhsa_system_sgpr_workgroup_info 0
		.amdhsa_system_vgpr_workitem_id 0
		.amdhsa_next_free_vgpr 73
		.amdhsa_next_free_sgpr 16
		.amdhsa_reserve_vcc 1
		.amdhsa_float_round_mode_32 0
		.amdhsa_float_round_mode_16_64 0
		.amdhsa_float_denorm_mode_32 3
		.amdhsa_float_denorm_mode_16_64 3
		.amdhsa_dx10_clamp 1
		.amdhsa_ieee_mode 1
		.amdhsa_fp16_overflow 0
		.amdhsa_workgroup_processor_mode 1
		.amdhsa_memory_ordered 1
		.amdhsa_forward_progress 0
		.amdhsa_shared_vgpr_count 0
		.amdhsa_exception_fp_ieee_invalid_op 0
		.amdhsa_exception_fp_denorm_src 0
		.amdhsa_exception_fp_ieee_div_zero 0
		.amdhsa_exception_fp_ieee_overflow 0
		.amdhsa_exception_fp_ieee_underflow 0
		.amdhsa_exception_fp_ieee_inexact 0
		.amdhsa_exception_int_div_zero 0
	.end_amdhsa_kernel
	.section	.text._ZN9rocsparseL19gebsrmvn_2xn_kernelILj128ELj13ELj32EdEEvi20rocsparse_direction_NS_24const_host_device_scalarIT2_EEPKiS6_PKS3_S8_S4_PS3_21rocsparse_index_base_b,"axG",@progbits,_ZN9rocsparseL19gebsrmvn_2xn_kernelILj128ELj13ELj32EdEEvi20rocsparse_direction_NS_24const_host_device_scalarIT2_EEPKiS6_PKS3_S8_S4_PS3_21rocsparse_index_base_b,comdat
.Lfunc_end134:
	.size	_ZN9rocsparseL19gebsrmvn_2xn_kernelILj128ELj13ELj32EdEEvi20rocsparse_direction_NS_24const_host_device_scalarIT2_EEPKiS6_PKS3_S8_S4_PS3_21rocsparse_index_base_b, .Lfunc_end134-_ZN9rocsparseL19gebsrmvn_2xn_kernelILj128ELj13ELj32EdEEvi20rocsparse_direction_NS_24const_host_device_scalarIT2_EEPKiS6_PKS3_S8_S4_PS3_21rocsparse_index_base_b
                                        ; -- End function
	.section	.AMDGPU.csdata,"",@progbits
; Kernel info:
; codeLenInByte = 4136
; NumSgprs: 18
; NumVgprs: 73
; ScratchSize: 0
; MemoryBound: 0
; FloatMode: 240
; IeeeMode: 1
; LDSByteSize: 0 bytes/workgroup (compile time only)
; SGPRBlocks: 2
; VGPRBlocks: 9
; NumSGPRsForWavesPerEU: 18
; NumVGPRsForWavesPerEU: 73
; Occupancy: 16
; WaveLimiterHint : 1
; COMPUTE_PGM_RSRC2:SCRATCH_EN: 0
; COMPUTE_PGM_RSRC2:USER_SGPR: 15
; COMPUTE_PGM_RSRC2:TRAP_HANDLER: 0
; COMPUTE_PGM_RSRC2:TGID_X_EN: 1
; COMPUTE_PGM_RSRC2:TGID_Y_EN: 0
; COMPUTE_PGM_RSRC2:TGID_Z_EN: 0
; COMPUTE_PGM_RSRC2:TIDIG_COMP_CNT: 0
	.section	.text._ZN9rocsparseL19gebsrmvn_2xn_kernelILj128ELj13ELj64EdEEvi20rocsparse_direction_NS_24const_host_device_scalarIT2_EEPKiS6_PKS3_S8_S4_PS3_21rocsparse_index_base_b,"axG",@progbits,_ZN9rocsparseL19gebsrmvn_2xn_kernelILj128ELj13ELj64EdEEvi20rocsparse_direction_NS_24const_host_device_scalarIT2_EEPKiS6_PKS3_S8_S4_PS3_21rocsparse_index_base_b,comdat
	.globl	_ZN9rocsparseL19gebsrmvn_2xn_kernelILj128ELj13ELj64EdEEvi20rocsparse_direction_NS_24const_host_device_scalarIT2_EEPKiS6_PKS3_S8_S4_PS3_21rocsparse_index_base_b ; -- Begin function _ZN9rocsparseL19gebsrmvn_2xn_kernelILj128ELj13ELj64EdEEvi20rocsparse_direction_NS_24const_host_device_scalarIT2_EEPKiS6_PKS3_S8_S4_PS3_21rocsparse_index_base_b
	.p2align	8
	.type	_ZN9rocsparseL19gebsrmvn_2xn_kernelILj128ELj13ELj64EdEEvi20rocsparse_direction_NS_24const_host_device_scalarIT2_EEPKiS6_PKS3_S8_S4_PS3_21rocsparse_index_base_b,@function
_ZN9rocsparseL19gebsrmvn_2xn_kernelILj128ELj13ELj64EdEEvi20rocsparse_direction_NS_24const_host_device_scalarIT2_EEPKiS6_PKS3_S8_S4_PS3_21rocsparse_index_base_b: ; @_ZN9rocsparseL19gebsrmvn_2xn_kernelILj128ELj13ELj64EdEEvi20rocsparse_direction_NS_24const_host_device_scalarIT2_EEPKiS6_PKS3_S8_S4_PS3_21rocsparse_index_base_b
; %bb.0:
	s_clause 0x2
	s_load_b64 s[12:13], s[0:1], 0x40
	s_load_b64 s[4:5], s[0:1], 0x8
	;; [unrolled: 1-line block ×3, first 2 shown]
	s_waitcnt lgkmcnt(0)
	s_bitcmp1_b32 s13, 0
	v_dual_mov_b32 v1, s4 :: v_dual_mov_b32 v2, s5
	s_cselect_b32 s6, -1, 0
	s_delay_alu instid0(SALU_CYCLE_1)
	s_and_b32 vcc_lo, exec_lo, s6
	s_xor_b32 s6, s6, -1
	s_cbranch_vccnz .LBB135_2
; %bb.1:
	v_dual_mov_b32 v1, s4 :: v_dual_mov_b32 v2, s5
	flat_load_b64 v[1:2], v[1:2]
.LBB135_2:
	v_dual_mov_b32 v4, s3 :: v_dual_mov_b32 v3, s2
	s_and_not1_b32 vcc_lo, exec_lo, s6
	s_cbranch_vccnz .LBB135_4
; %bb.3:
	v_dual_mov_b32 v4, s3 :: v_dual_mov_b32 v3, s2
	flat_load_b64 v[3:4], v[3:4]
.LBB135_4:
	s_waitcnt vmcnt(0) lgkmcnt(0)
	v_cmp_neq_f64_e32 vcc_lo, 0, v[1:2]
	v_cmp_neq_f64_e64 s2, 1.0, v[3:4]
	s_delay_alu instid0(VALU_DEP_1) | instskip(NEXT) | instid1(SALU_CYCLE_1)
	s_or_b32 s2, vcc_lo, s2
	s_and_saveexec_b32 s3, s2
	s_cbranch_execz .LBB135_23
; %bb.5:
	s_load_b64 s[2:3], s[0:1], 0x0
	v_lshrrev_b32_e32 v5, 6, v0
	s_delay_alu instid0(VALU_DEP_1) | instskip(SKIP_1) | instid1(VALU_DEP_1)
	v_lshl_or_b32 v5, s15, 1, v5
	s_waitcnt lgkmcnt(0)
	v_cmp_gt_i32_e32 vcc_lo, s2, v5
	s_and_b32 exec_lo, exec_lo, vcc_lo
	s_cbranch_execz .LBB135_23
; %bb.6:
	s_load_b256 s[4:11], s[0:1], 0x10
	v_ashrrev_i32_e32 v6, 31, v5
	v_and_b32_e32 v0, 63, v0
	s_cmp_lg_u32 s3, 0
	s_delay_alu instid0(VALU_DEP_2) | instskip(SKIP_1) | instid1(VALU_DEP_1)
	v_lshlrev_b64 v[6:7], 2, v[5:6]
	s_waitcnt lgkmcnt(0)
	v_add_co_u32 v6, vcc_lo, s4, v6
	s_delay_alu instid0(VALU_DEP_2) | instskip(SKIP_4) | instid1(VALU_DEP_2)
	v_add_co_ci_u32_e32 v7, vcc_lo, s5, v7, vcc_lo
	global_load_b64 v[6:7], v[6:7], off
	s_waitcnt vmcnt(0)
	v_subrev_nc_u32_e32 v6, s12, v6
	v_subrev_nc_u32_e32 v17, s12, v7
	v_add_nc_u32_e32 v6, v6, v0
	s_delay_alu instid0(VALU_DEP_1)
	v_cmp_lt_i32_e64 s2, v6, v17
	s_cbranch_scc0 .LBB135_12
; %bb.7:
	v_mov_b32_e32 v8, 0
	v_mov_b32_e32 v9, 0
	s_delay_alu instid0(VALU_DEP_1)
	v_dual_mov_b32 v11, v9 :: v_dual_mov_b32 v10, v8
	s_and_saveexec_b32 s3, s2
	s_cbranch_execz .LBB135_11
; %bb.8:
	v_dual_mov_b32 v8, 0 :: v_dual_mov_b32 v15, v6
	v_dual_mov_b32 v9, 0 :: v_dual_mov_b32 v14, 0
	v_mad_u64_u32 v[12:13], null, v6, 26, 24
	s_mov_b32 s4, 0
	s_delay_alu instid0(VALU_DEP_2)
	v_dual_mov_b32 v11, v9 :: v_dual_mov_b32 v10, v8
.LBB135_9:                              ; =>This Inner Loop Header: Depth=1
	v_ashrrev_i32_e32 v16, 31, v15
	s_delay_alu instid0(VALU_DEP_3) | instskip(SKIP_1) | instid1(VALU_DEP_3)
	v_subrev_nc_u32_e32 v13, 24, v12
	v_mov_b32_e32 v55, v14
	v_lshlrev_b64 v[18:19], 2, v[15:16]
	v_add_nc_u32_e32 v15, 64, v15
	s_delay_alu instid0(VALU_DEP_2) | instskip(NEXT) | instid1(VALU_DEP_3)
	v_add_co_u32 v18, vcc_lo, s6, v18
	v_add_co_ci_u32_e32 v19, vcc_lo, s7, v19, vcc_lo
	global_load_b32 v7, v[18:19], off
	v_lshlrev_b64 v[18:19], 3, v[13:14]
	v_subrev_nc_u32_e32 v13, 22, v12
	s_delay_alu instid0(VALU_DEP_2) | instskip(NEXT) | instid1(VALU_DEP_3)
	v_add_co_u32 v18, vcc_lo, s8, v18
	v_add_co_ci_u32_e32 v19, vcc_lo, s9, v19, vcc_lo
	global_load_b128 v[18:21], v[18:19], off
	s_waitcnt vmcnt(1)
	v_subrev_nc_u32_e32 v7, s12, v7
	s_delay_alu instid0(VALU_DEP_1) | instskip(NEXT) | instid1(VALU_DEP_1)
	v_mul_lo_u32 v54, v7, 13
	v_lshlrev_b64 v[22:23], 3, v[54:55]
	s_delay_alu instid0(VALU_DEP_1) | instskip(NEXT) | instid1(VALU_DEP_2)
	v_add_co_u32 v22, vcc_lo, s10, v22
	v_add_co_ci_u32_e32 v23, vcc_lo, s11, v23, vcc_lo
	global_load_b64 v[55:56], v[22:23], off
	v_lshlrev_b64 v[22:23], 3, v[13:14]
	v_add_nc_u32_e32 v13, 1, v54
	s_delay_alu instid0(VALU_DEP_1) | instskip(NEXT) | instid1(VALU_DEP_3)
	v_lshlrev_b64 v[26:27], 3, v[13:14]
	v_add_co_u32 v22, vcc_lo, s8, v22
	s_delay_alu instid0(VALU_DEP_4) | instskip(SKIP_1) | instid1(VALU_DEP_4)
	v_add_co_ci_u32_e32 v23, vcc_lo, s9, v23, vcc_lo
	v_subrev_nc_u32_e32 v13, 20, v12
	v_add_co_u32 v26, vcc_lo, s10, v26
	v_add_co_ci_u32_e32 v27, vcc_lo, s11, v27, vcc_lo
	global_load_b128 v[22:25], v[22:23], off
	global_load_b64 v[57:58], v[26:27], off
	v_lshlrev_b64 v[26:27], 3, v[13:14]
	v_add_nc_u32_e32 v13, 2, v54
	s_delay_alu instid0(VALU_DEP_1) | instskip(NEXT) | instid1(VALU_DEP_3)
	v_lshlrev_b64 v[28:29], 3, v[13:14]
	v_add_co_u32 v26, vcc_lo, s8, v26
	s_delay_alu instid0(VALU_DEP_4) | instskip(SKIP_1) | instid1(VALU_DEP_4)
	v_add_co_ci_u32_e32 v27, vcc_lo, s9, v27, vcc_lo
	v_subrev_nc_u32_e32 v13, 18, v12
	v_add_co_u32 v30, vcc_lo, s10, v28
	v_add_co_ci_u32_e32 v31, vcc_lo, s11, v29, vcc_lo
	global_load_b128 v[26:29], v[26:27], off
	global_load_b64 v[59:60], v[30:31], off
	v_lshlrev_b64 v[30:31], 3, v[13:14]
	v_add_nc_u32_e32 v13, 3, v54
	s_delay_alu instid0(VALU_DEP_1) | instskip(NEXT) | instid1(VALU_DEP_3)
	v_lshlrev_b64 v[32:33], 3, v[13:14]
	v_add_co_u32 v30, vcc_lo, s8, v30
	s_delay_alu instid0(VALU_DEP_4) | instskip(SKIP_1) | instid1(VALU_DEP_4)
	v_add_co_ci_u32_e32 v31, vcc_lo, s9, v31, vcc_lo
	v_add_nc_u32_e32 v13, -16, v12
	v_add_co_u32 v34, vcc_lo, s10, v32
	v_add_co_ci_u32_e32 v35, vcc_lo, s11, v33, vcc_lo
	global_load_b128 v[30:33], v[30:31], off
	global_load_b64 v[61:62], v[34:35], off
	v_lshlrev_b64 v[34:35], 3, v[13:14]
	v_add_nc_u32_e32 v13, 4, v54
	s_delay_alu instid0(VALU_DEP_1) | instskip(NEXT) | instid1(VALU_DEP_3)
	v_lshlrev_b64 v[36:37], 3, v[13:14]
	v_add_co_u32 v34, vcc_lo, s8, v34
	s_delay_alu instid0(VALU_DEP_4) | instskip(SKIP_1) | instid1(VALU_DEP_4)
	v_add_co_ci_u32_e32 v35, vcc_lo, s9, v35, vcc_lo
	v_add_nc_u32_e32 v13, -14, v12
	;; [unrolled: 12-line block ×6, first 2 shown]
	v_add_co_u32 v71, vcc_lo, s10, v52
	v_add_co_ci_u32_e32 v72, vcc_lo, s11, v53, vcc_lo
	global_load_b128 v[50:53], v[50:51], off
	global_load_b64 v[71:72], v[71:72], off
	s_waitcnt vmcnt(16)
	v_fma_f64 v[18:19], v[18:19], v[55:56], v[8:9]
	v_fma_f64 v[20:21], v[20:21], v[55:56], v[10:11]
	v_lshlrev_b64 v[7:8], 3, v[13:14]
	v_add_nc_u32_e32 v13, 9, v54
	s_delay_alu instid0(VALU_DEP_1) | instskip(NEXT) | instid1(VALU_DEP_3)
	v_lshlrev_b64 v[9:10], 3, v[13:14]
	v_add_co_u32 v7, vcc_lo, s8, v7
	s_delay_alu instid0(VALU_DEP_4) | instskip(SKIP_1) | instid1(VALU_DEP_4)
	v_add_co_ci_u32_e32 v8, vcc_lo, s9, v8, vcc_lo
	v_add_nc_u32_e32 v13, -4, v12
	v_add_co_u32 v55, vcc_lo, s10, v9
	v_add_co_ci_u32_e32 v56, vcc_lo, s11, v10, vcc_lo
	global_load_b128 v[7:10], v[7:8], off
	global_load_b64 v[55:56], v[55:56], off
	s_waitcnt vmcnt(16)
	v_fma_f64 v[22:23], v[22:23], v[57:58], v[18:19]
	v_fma_f64 v[24:25], v[24:25], v[57:58], v[20:21]
	v_lshlrev_b64 v[18:19], 3, v[13:14]
	v_add_nc_u32_e32 v13, 10, v54
	s_delay_alu instid0(VALU_DEP_1) | instskip(NEXT) | instid1(VALU_DEP_3)
	v_lshlrev_b64 v[20:21], 3, v[13:14]
	v_add_co_u32 v18, vcc_lo, s8, v18
	s_delay_alu instid0(VALU_DEP_4) | instskip(SKIP_1) | instid1(VALU_DEP_4)
	v_add_co_ci_u32_e32 v19, vcc_lo, s9, v19, vcc_lo
	v_add_nc_u32_e32 v13, -2, v12
	v_add_co_u32 v57, vcc_lo, s10, v20
	v_add_co_ci_u32_e32 v58, vcc_lo, s11, v21, vcc_lo
	global_load_b128 v[18:21], v[18:19], off
	global_load_b64 v[57:58], v[57:58], off
	s_waitcnt vmcnt(16)
	v_fma_f64 v[26:27], v[26:27], v[59:60], v[22:23]
	v_fma_f64 v[28:29], v[28:29], v[59:60], v[24:25]
	v_lshlrev_b64 v[22:23], 3, v[13:14]
	v_add_nc_u32_e32 v13, 11, v54
	s_delay_alu instid0(VALU_DEP_1) | instskip(NEXT) | instid1(VALU_DEP_3)
	v_lshlrev_b64 v[24:25], 3, v[13:14]
	v_add_co_u32 v22, vcc_lo, s8, v22
	s_delay_alu instid0(VALU_DEP_4) | instskip(SKIP_1) | instid1(VALU_DEP_4)
	v_add_co_ci_u32_e32 v23, vcc_lo, s9, v23, vcc_lo
	v_mov_b32_e32 v13, v14
	v_add_co_u32 v59, vcc_lo, s10, v24
	v_add_co_ci_u32_e32 v60, vcc_lo, s11, v25, vcc_lo
	global_load_b128 v[22:25], v[22:23], off
	global_load_b64 v[59:60], v[59:60], off
	s_waitcnt vmcnt(16)
	v_fma_f64 v[30:31], v[30:31], v[61:62], v[26:27]
	v_fma_f64 v[32:33], v[32:33], v[61:62], v[28:29]
	v_lshlrev_b64 v[26:27], 3, v[12:13]
	v_add_nc_u32_e32 v12, 0x680, v12
	v_add_nc_u32_e32 v13, 12, v54
	s_delay_alu instid0(VALU_DEP_3) | instskip(NEXT) | instid1(VALU_DEP_2)
	v_add_co_u32 v26, vcc_lo, s8, v26
	v_lshlrev_b64 v[28:29], 3, v[13:14]
	v_add_co_ci_u32_e32 v27, vcc_lo, s9, v27, vcc_lo
	s_delay_alu instid0(VALU_DEP_2) | instskip(NEXT) | instid1(VALU_DEP_3)
	v_add_co_u32 v61, vcc_lo, s10, v28
	v_add_co_ci_u32_e32 v62, vcc_lo, s11, v29, vcc_lo
	global_load_b128 v[26:29], v[26:27], off
	global_load_b64 v[61:62], v[61:62], off
	v_cmp_ge_i32_e32 vcc_lo, v15, v17
	s_or_b32 s4, vcc_lo, s4
	s_waitcnt vmcnt(16)
	v_fma_f64 v[30:31], v[34:35], v[63:64], v[30:31]
	v_fma_f64 v[32:33], v[36:37], v[63:64], v[32:33]
	s_waitcnt vmcnt(14)
	s_delay_alu instid0(VALU_DEP_2) | instskip(NEXT) | instid1(VALU_DEP_2)
	v_fma_f64 v[30:31], v[38:39], v[65:66], v[30:31]
	v_fma_f64 v[32:33], v[40:41], v[65:66], v[32:33]
	s_waitcnt vmcnt(12)
	s_delay_alu instid0(VALU_DEP_2) | instskip(NEXT) | instid1(VALU_DEP_2)
	;; [unrolled: 4-line block ×8, first 2 shown]
	v_fma_f64 v[8:9], v[26:27], v[61:62], v[7:8]
	v_fma_f64 v[10:11], v[28:29], v[61:62], v[10:11]
	s_and_not1_b32 exec_lo, exec_lo, s4
	s_cbranch_execnz .LBB135_9
; %bb.10:
	s_or_b32 exec_lo, exec_lo, s4
.LBB135_11:
	s_delay_alu instid0(SALU_CYCLE_1)
	s_or_b32 exec_lo, exec_lo, s3
	s_cbranch_execz .LBB135_13
	s_branch .LBB135_18
.LBB135_12:
                                        ; implicit-def: $vgpr8_vgpr9
                                        ; implicit-def: $vgpr10_vgpr11
.LBB135_13:
	v_mov_b32_e32 v8, 0
	v_mov_b32_e32 v9, 0
	s_delay_alu instid0(VALU_DEP_1)
	v_dual_mov_b32 v11, v9 :: v_dual_mov_b32 v10, v8
	s_and_saveexec_b32 s3, s2
	s_cbranch_execz .LBB135_17
; %bb.14:
	v_mov_b32_e32 v8, 0
	v_dual_mov_b32 v9, 0 :: v_dual_mov_b32 v14, 0
	v_mad_u64_u32 v[12:13], null, v6, 26, 25
	s_mov_b32 s2, 0
	s_delay_alu instid0(VALU_DEP_2)
	v_dual_mov_b32 v11, v9 :: v_dual_mov_b32 v10, v8
.LBB135_15:                             ; =>This Inner Loop Header: Depth=1
	v_ashrrev_i32_e32 v7, 31, v6
	s_delay_alu instid0(VALU_DEP_3) | instskip(SKIP_1) | instid1(VALU_DEP_3)
	v_subrev_nc_u32_e32 v13, 25, v12
	v_mov_b32_e32 v23, v14
	v_lshlrev_b64 v[15:16], 2, v[6:7]
	v_add_nc_u32_e32 v6, 64, v6
	s_delay_alu instid0(VALU_DEP_4) | instskip(NEXT) | instid1(VALU_DEP_3)
	v_lshlrev_b64 v[18:19], 3, v[13:14]
	v_add_co_u32 v15, vcc_lo, s6, v15
	s_delay_alu instid0(VALU_DEP_4) | instskip(NEXT) | instid1(VALU_DEP_3)
	v_add_co_ci_u32_e32 v16, vcc_lo, s7, v16, vcc_lo
	v_add_co_u32 v18, vcc_lo, s8, v18
	s_delay_alu instid0(VALU_DEP_4) | instskip(SKIP_2) | instid1(VALU_DEP_1)
	v_add_co_ci_u32_e32 v19, vcc_lo, s9, v19, vcc_lo
	global_load_b32 v7, v[15:16], off
	v_dual_mov_b32 v16, v14 :: v_dual_add_nc_u32 v15, -12, v12
	v_lshlrev_b64 v[15:16], 3, v[15:16]
	s_delay_alu instid0(VALU_DEP_1) | instskip(NEXT) | instid1(VALU_DEP_2)
	v_add_co_u32 v15, vcc_lo, s8, v15
	v_add_co_ci_u32_e32 v16, vcc_lo, s9, v16, vcc_lo
	s_clause 0x1
	global_load_b128 v[18:21], v[18:19], off
	global_load_b64 v[15:16], v[15:16], off
	s_waitcnt vmcnt(2)
	v_subrev_nc_u32_e32 v7, s12, v7
	s_delay_alu instid0(VALU_DEP_1) | instskip(NEXT) | instid1(VALU_DEP_1)
	v_mul_lo_u32 v22, v7, 13
	v_lshlrev_b64 v[23:24], 3, v[22:23]
	v_add_nc_u32_e32 v13, 1, v22
	s_delay_alu instid0(VALU_DEP_1) | instskip(NEXT) | instid1(VALU_DEP_3)
	v_lshlrev_b64 v[25:26], 3, v[13:14]
	v_add_co_u32 v23, vcc_lo, s10, v23
	s_delay_alu instid0(VALU_DEP_4) | instskip(SKIP_1) | instid1(VALU_DEP_4)
	v_add_co_ci_u32_e32 v24, vcc_lo, s11, v24, vcc_lo
	v_add_nc_u32_e32 v13, -11, v12
	v_add_co_u32 v25, vcc_lo, s10, v25
	global_load_b64 v[23:24], v[23:24], off
	v_add_co_ci_u32_e32 v26, vcc_lo, s11, v26, vcc_lo
	v_lshlrev_b64 v[27:28], 3, v[13:14]
	v_subrev_nc_u32_e32 v13, 23, v12
	s_delay_alu instid0(VALU_DEP_2) | instskip(NEXT) | instid1(VALU_DEP_3)
	v_add_co_u32 v27, vcc_lo, s8, v27
	v_add_co_ci_u32_e32 v28, vcc_lo, s9, v28, vcc_lo
	global_load_b64 v[25:26], v[25:26], off
	global_load_b64 v[27:28], v[27:28], off
	v_lshlrev_b64 v[29:30], 3, v[13:14]
	v_add_nc_u32_e32 v13, 2, v22
	s_delay_alu instid0(VALU_DEP_1) | instskip(SKIP_1) | instid1(VALU_DEP_4)
	v_lshlrev_b64 v[31:32], 3, v[13:14]
	v_add_nc_u32_e32 v13, -10, v12
	v_add_co_u32 v29, vcc_lo, s8, v29
	v_add_co_ci_u32_e32 v30, vcc_lo, s9, v30, vcc_lo
	s_delay_alu instid0(VALU_DEP_3)
	v_lshlrev_b64 v[33:34], 3, v[13:14]
	v_add_co_u32 v31, vcc_lo, s10, v31
	v_add_co_ci_u32_e32 v32, vcc_lo, s11, v32, vcc_lo
	global_load_b64 v[29:30], v[29:30], off
	v_add_co_u32 v33, vcc_lo, s8, v33
	v_add_co_ci_u32_e32 v34, vcc_lo, s9, v34, vcc_lo
	global_load_b64 v[31:32], v[31:32], off
	global_load_b64 v[33:34], v[33:34], off
	v_subrev_nc_u32_e32 v13, 22, v12
	s_delay_alu instid0(VALU_DEP_1) | instskip(SKIP_1) | instid1(VALU_DEP_1)
	v_lshlrev_b64 v[35:36], 3, v[13:14]
	v_add_nc_u32_e32 v13, 3, v22
	v_lshlrev_b64 v[37:38], 3, v[13:14]
	v_add_nc_u32_e32 v13, -9, v12
	s_delay_alu instid0(VALU_DEP_4) | instskip(SKIP_1) | instid1(VALU_DEP_3)
	v_add_co_u32 v35, vcc_lo, s8, v35
	v_add_co_ci_u32_e32 v36, vcc_lo, s9, v36, vcc_lo
	v_lshlrev_b64 v[39:40], 3, v[13:14]
	v_add_co_u32 v37, vcc_lo, s10, v37
	v_add_co_ci_u32_e32 v38, vcc_lo, s11, v38, vcc_lo
	global_load_b64 v[35:36], v[35:36], off
	v_add_co_u32 v39, vcc_lo, s8, v39
	v_add_co_ci_u32_e32 v40, vcc_lo, s9, v40, vcc_lo
	global_load_b64 v[37:38], v[37:38], off
	global_load_b64 v[39:40], v[39:40], off
	v_subrev_nc_u32_e32 v13, 21, v12
	s_delay_alu instid0(VALU_DEP_1) | instskip(SKIP_1) | instid1(VALU_DEP_1)
	v_lshlrev_b64 v[41:42], 3, v[13:14]
	v_add_nc_u32_e32 v13, 4, v22
	v_lshlrev_b64 v[43:44], 3, v[13:14]
	v_add_nc_u32_e32 v13, -8, v12
	s_delay_alu instid0(VALU_DEP_4) | instskip(SKIP_1) | instid1(VALU_DEP_3)
	v_add_co_u32 v41, vcc_lo, s8, v41
	v_add_co_ci_u32_e32 v42, vcc_lo, s9, v42, vcc_lo
	v_lshlrev_b64 v[45:46], 3, v[13:14]
	v_add_co_u32 v43, vcc_lo, s10, v43
	v_add_co_ci_u32_e32 v44, vcc_lo, s11, v44, vcc_lo
	v_subrev_nc_u32_e32 v13, 20, v12
	s_delay_alu instid0(VALU_DEP_4)
	v_add_co_u32 v45, vcc_lo, s8, v45
	v_add_co_ci_u32_e32 v46, vcc_lo, s9, v46, vcc_lo
	global_load_b64 v[41:42], v[41:42], off
	global_load_b64 v[43:44], v[43:44], off
	global_load_b64 v[45:46], v[45:46], off
	v_lshlrev_b64 v[47:48], 3, v[13:14]
	v_add_nc_u32_e32 v13, 5, v22
	s_delay_alu instid0(VALU_DEP_1) | instskip(SKIP_1) | instid1(VALU_DEP_4)
	v_lshlrev_b64 v[49:50], 3, v[13:14]
	v_add_nc_u32_e32 v13, -7, v12
	v_add_co_u32 v47, vcc_lo, s8, v47
	v_add_co_ci_u32_e32 v48, vcc_lo, s9, v48, vcc_lo
	s_delay_alu instid0(VALU_DEP_3) | instskip(SKIP_3) | instid1(VALU_DEP_4)
	v_lshlrev_b64 v[51:52], 3, v[13:14]
	v_add_co_u32 v49, vcc_lo, s10, v49
	v_add_co_ci_u32_e32 v50, vcc_lo, s11, v50, vcc_lo
	v_subrev_nc_u32_e32 v13, 19, v12
	v_add_co_u32 v51, vcc_lo, s8, v51
	v_add_co_ci_u32_e32 v52, vcc_lo, s9, v52, vcc_lo
	global_load_b64 v[47:48], v[47:48], off
	global_load_b64 v[49:50], v[49:50], off
	global_load_b64 v[51:52], v[51:52], off
	v_lshlrev_b64 v[53:54], 3, v[13:14]
	v_add_nc_u32_e32 v13, 6, v22
	s_delay_alu instid0(VALU_DEP_1) | instskip(SKIP_1) | instid1(VALU_DEP_4)
	v_lshlrev_b64 v[55:56], 3, v[13:14]
	v_add_nc_u32_e32 v13, -6, v12
	v_add_co_u32 v53, vcc_lo, s8, v53
	v_add_co_ci_u32_e32 v54, vcc_lo, s9, v54, vcc_lo
	s_delay_alu instid0(VALU_DEP_3) | instskip(SKIP_3) | instid1(VALU_DEP_4)
	v_lshlrev_b64 v[57:58], 3, v[13:14]
	v_add_co_u32 v55, vcc_lo, s10, v55
	v_add_co_ci_u32_e32 v56, vcc_lo, s11, v56, vcc_lo
	v_subrev_nc_u32_e32 v13, 18, v12
	;; [unrolled: 17-line block ×3, first 2 shown]
	v_add_co_u32 v63, vcc_lo, s8, v63
	v_add_co_ci_u32_e32 v64, vcc_lo, s9, v64, vcc_lo
	global_load_b64 v[59:60], v[59:60], off
	global_load_b64 v[61:62], v[61:62], off
	;; [unrolled: 1-line block ×3, first 2 shown]
	v_lshlrev_b64 v[65:66], 3, v[13:14]
	v_add_nc_u32_e32 v13, 8, v22
	s_delay_alu instid0(VALU_DEP_1) | instskip(SKIP_1) | instid1(VALU_DEP_4)
	v_lshlrev_b64 v[67:68], 3, v[13:14]
	v_add_nc_u32_e32 v13, -4, v12
	v_add_co_u32 v65, vcc_lo, s8, v65
	v_add_co_ci_u32_e32 v66, vcc_lo, s9, v66, vcc_lo
	s_delay_alu instid0(VALU_DEP_3) | instskip(SKIP_3) | instid1(VALU_DEP_4)
	v_lshlrev_b64 v[69:70], 3, v[13:14]
	v_add_co_u32 v67, vcc_lo, s10, v67
	v_add_co_ci_u32_e32 v68, vcc_lo, s11, v68, vcc_lo
	v_add_nc_u32_e32 v13, -16, v12
	v_add_co_u32 v69, vcc_lo, s8, v69
	v_add_co_ci_u32_e32 v70, vcc_lo, s9, v70, vcc_lo
	global_load_b64 v[65:66], v[65:66], off
	global_load_b64 v[67:68], v[67:68], off
	;; [unrolled: 1-line block ×3, first 2 shown]
	v_lshlrev_b64 v[71:72], 3, v[13:14]
	v_add_nc_u32_e32 v13, 9, v22
	s_waitcnt vmcnt(23)
	v_fma_f64 v[7:8], v[18:19], v[23:24], v[8:9]
	v_fma_f64 v[9:10], v[15:16], v[23:24], v[10:11]
	s_delay_alu instid0(VALU_DEP_3) | instskip(SKIP_3) | instid1(VALU_DEP_3)
	v_lshlrev_b64 v[15:16], 3, v[13:14]
	v_add_nc_u32_e32 v13, -3, v12
	v_add_co_u32 v18, vcc_lo, s8, v71
	v_add_co_ci_u32_e32 v19, vcc_lo, s9, v72, vcc_lo
	v_lshlrev_b64 v[23:24], 3, v[13:14]
	v_add_co_u32 v15, vcc_lo, s10, v15
	v_add_co_ci_u32_e32 v16, vcc_lo, s11, v16, vcc_lo
	v_add_nc_u32_e32 v13, -15, v12
	s_delay_alu instid0(VALU_DEP_4)
	v_add_co_u32 v23, vcc_lo, s8, v23
	v_add_co_ci_u32_e32 v24, vcc_lo, s9, v24, vcc_lo
	global_load_b64 v[18:19], v[18:19], off
	global_load_b64 v[15:16], v[15:16], off
	;; [unrolled: 1-line block ×3, first 2 shown]
	v_lshlrev_b64 v[71:72], 3, v[13:14]
	v_add_nc_u32_e32 v13, 10, v22
	s_waitcnt vmcnt(25)
	v_fma_f64 v[7:8], v[20:21], v[25:26], v[7:8]
	s_waitcnt vmcnt(24)
	v_fma_f64 v[9:10], v[27:28], v[25:26], v[9:10]
	v_lshlrev_b64 v[20:21], 3, v[13:14]
	v_add_nc_u32_e32 v13, -2, v12
	v_add_co_u32 v25, vcc_lo, s8, v71
	v_add_co_ci_u32_e32 v26, vcc_lo, s9, v72, vcc_lo
	s_delay_alu instid0(VALU_DEP_3) | instskip(SKIP_3) | instid1(VALU_DEP_4)
	v_lshlrev_b64 v[27:28], 3, v[13:14]
	v_add_co_u32 v20, vcc_lo, s10, v20
	v_add_co_ci_u32_e32 v21, vcc_lo, s11, v21, vcc_lo
	v_add_nc_u32_e32 v13, -14, v12
	v_add_co_u32 v27, vcc_lo, s8, v27
	v_add_co_ci_u32_e32 v28, vcc_lo, s9, v28, vcc_lo
	global_load_b64 v[25:26], v[25:26], off
	global_load_b64 v[20:21], v[20:21], off
	;; [unrolled: 1-line block ×3, first 2 shown]
	v_lshlrev_b64 v[71:72], 3, v[13:14]
	v_add_nc_u32_e32 v13, 11, v22
	s_waitcnt vmcnt(25)
	v_fma_f64 v[7:8], v[29:30], v[31:32], v[7:8]
	s_waitcnt vmcnt(24)
	v_fma_f64 v[9:10], v[33:34], v[31:32], v[9:10]
	v_lshlrev_b64 v[29:30], 3, v[13:14]
	v_add_nc_u32_e32 v13, -1, v12
	v_add_co_u32 v31, vcc_lo, s8, v71
	v_add_co_ci_u32_e32 v32, vcc_lo, s9, v72, vcc_lo
	s_delay_alu instid0(VALU_DEP_3) | instskip(SKIP_3) | instid1(VALU_DEP_4)
	v_lshlrev_b64 v[33:34], 3, v[13:14]
	v_add_co_u32 v29, vcc_lo, s10, v29
	v_add_co_ci_u32_e32 v30, vcc_lo, s11, v30, vcc_lo
	v_mov_b32_e32 v13, v14
	v_add_co_u32 v33, vcc_lo, s8, v33
	v_add_co_ci_u32_e32 v34, vcc_lo, s9, v34, vcc_lo
	global_load_b64 v[31:32], v[31:32], off
	global_load_b64 v[29:30], v[29:30], off
	;; [unrolled: 1-line block ×3, first 2 shown]
	v_lshlrev_b64 v[71:72], 3, v[12:13]
	v_add_nc_u32_e32 v13, -13, v12
	v_add_nc_u32_e32 v12, 0x680, v12
	s_delay_alu instid0(VALU_DEP_3) | instskip(NEXT) | instid1(VALU_DEP_4)
	v_add_co_u32 v71, vcc_lo, s8, v71
	v_add_co_ci_u32_e32 v72, vcc_lo, s9, v72, vcc_lo
	s_waitcnt vmcnt(25)
	v_fma_f64 v[7:8], v[35:36], v[37:38], v[7:8]
	s_waitcnt vmcnt(24)
	v_fma_f64 v[9:10], v[39:40], v[37:38], v[9:10]
	v_lshlrev_b64 v[35:36], 3, v[13:14]
	v_add_nc_u32_e32 v13, 12, v22
	s_delay_alu instid0(VALU_DEP_1) | instskip(NEXT) | instid1(VALU_DEP_3)
	v_lshlrev_b64 v[37:38], 3, v[13:14]
	v_add_co_u32 v35, vcc_lo, s8, v35
	s_delay_alu instid0(VALU_DEP_4) | instskip(NEXT) | instid1(VALU_DEP_3)
	v_add_co_ci_u32_e32 v36, vcc_lo, s9, v36, vcc_lo
	v_add_co_u32 v37, vcc_lo, s10, v37
	s_delay_alu instid0(VALU_DEP_4)
	v_add_co_ci_u32_e32 v38, vcc_lo, s11, v38, vcc_lo
	s_clause 0x1
	global_load_b64 v[39:40], v[71:72], off
	global_load_b64 v[35:36], v[35:36], off
	;; [unrolled: 1-line block ×3, first 2 shown]
	v_cmp_ge_i32_e32 vcc_lo, v6, v17
	s_or_b32 s2, vcc_lo, s2
	s_waitcnt vmcnt(25)
	v_fma_f64 v[7:8], v[41:42], v[43:44], v[7:8]
	s_waitcnt vmcnt(24)
	v_fma_f64 v[9:10], v[45:46], v[43:44], v[9:10]
	s_waitcnt vmcnt(22)
	s_delay_alu instid0(VALU_DEP_2) | instskip(SKIP_1) | instid1(VALU_DEP_2)
	v_fma_f64 v[7:8], v[47:48], v[49:50], v[7:8]
	s_waitcnt vmcnt(21)
	v_fma_f64 v[9:10], v[51:52], v[49:50], v[9:10]
	s_waitcnt vmcnt(19)
	s_delay_alu instid0(VALU_DEP_2) | instskip(SKIP_1) | instid1(VALU_DEP_2)
	;; [unrolled: 5-line block ×7, first 2 shown]
	v_fma_f64 v[7:8], v[31:32], v[29:30], v[7:8]
	s_waitcnt vmcnt(3)
	v_fma_f64 v[10:11], v[33:34], v[29:30], v[9:10]
	s_waitcnt vmcnt(0)
	s_delay_alu instid0(VALU_DEP_2) | instskip(NEXT) | instid1(VALU_DEP_2)
	v_fma_f64 v[8:9], v[35:36], v[37:38], v[7:8]
	v_fma_f64 v[10:11], v[39:40], v[37:38], v[10:11]
	s_and_not1_b32 exec_lo, exec_lo, s2
	s_cbranch_execnz .LBB135_15
; %bb.16:
	s_or_b32 exec_lo, exec_lo, s2
.LBB135_17:
	s_delay_alu instid0(SALU_CYCLE_1)
	s_or_b32 exec_lo, exec_lo, s3
.LBB135_18:
	v_mbcnt_lo_u32_b32 v14, -1, 0
	s_delay_alu instid0(VALU_DEP_1) | instskip(NEXT) | instid1(VALU_DEP_1)
	v_or_b32_e32 v6, 32, v14
	v_cmp_gt_i32_e32 vcc_lo, 32, v6
	v_cndmask_b32_e32 v6, v14, v6, vcc_lo
	s_delay_alu instid0(VALU_DEP_1)
	v_lshlrev_b32_e32 v13, 2, v6
	ds_bpermute_b32 v6, v13, v8
	ds_bpermute_b32 v7, v13, v9
	;; [unrolled: 1-line block ×4, first 2 shown]
	s_waitcnt lgkmcnt(2)
	v_add_f64 v[6:7], v[8:9], v[6:7]
	s_waitcnt lgkmcnt(0)
	v_add_f64 v[8:9], v[10:11], v[12:13]
	v_xor_b32_e32 v10, 16, v14
	s_delay_alu instid0(VALU_DEP_1) | instskip(SKIP_1) | instid1(VALU_DEP_1)
	v_cmp_gt_i32_e32 vcc_lo, 32, v10
	v_cndmask_b32_e32 v10, v14, v10, vcc_lo
	v_lshlrev_b32_e32 v13, 2, v10
	ds_bpermute_b32 v10, v13, v6
	ds_bpermute_b32 v11, v13, v7
	ds_bpermute_b32 v12, v13, v8
	ds_bpermute_b32 v13, v13, v9
	s_waitcnt lgkmcnt(2)
	v_add_f64 v[6:7], v[6:7], v[10:11]
	v_xor_b32_e32 v10, 8, v14
	s_waitcnt lgkmcnt(0)
	v_add_f64 v[8:9], v[8:9], v[12:13]
	s_delay_alu instid0(VALU_DEP_2) | instskip(SKIP_1) | instid1(VALU_DEP_1)
	v_cmp_gt_i32_e32 vcc_lo, 32, v10
	v_cndmask_b32_e32 v10, v14, v10, vcc_lo
	v_lshlrev_b32_e32 v13, 2, v10
	ds_bpermute_b32 v10, v13, v6
	ds_bpermute_b32 v11, v13, v7
	ds_bpermute_b32 v12, v13, v8
	ds_bpermute_b32 v13, v13, v9
	s_waitcnt lgkmcnt(2)
	v_add_f64 v[6:7], v[6:7], v[10:11]
	v_xor_b32_e32 v10, 4, v14
	s_waitcnt lgkmcnt(0)
	v_add_f64 v[8:9], v[8:9], v[12:13]
	s_delay_alu instid0(VALU_DEP_2) | instskip(SKIP_1) | instid1(VALU_DEP_1)
	;; [unrolled: 13-line block ×3, first 2 shown]
	v_cmp_gt_i32_e32 vcc_lo, 32, v10
	v_cndmask_b32_e32 v10, v14, v10, vcc_lo
	v_lshlrev_b32_e32 v13, 2, v10
	ds_bpermute_b32 v10, v13, v6
	ds_bpermute_b32 v11, v13, v7
	;; [unrolled: 1-line block ×4, first 2 shown]
	s_waitcnt lgkmcnt(2)
	v_add_f64 v[6:7], v[6:7], v[10:11]
	s_waitcnt lgkmcnt(0)
	v_add_f64 v[10:11], v[8:9], v[12:13]
	v_xor_b32_e32 v8, 1, v14
	s_delay_alu instid0(VALU_DEP_1) | instskip(SKIP_2) | instid1(VALU_DEP_2)
	v_cmp_gt_i32_e32 vcc_lo, 32, v8
	v_cndmask_b32_e32 v8, v14, v8, vcc_lo
	v_cmp_eq_u32_e32 vcc_lo, 63, v0
	v_lshlrev_b32_e32 v13, 2, v8
	ds_bpermute_b32 v8, v13, v6
	ds_bpermute_b32 v9, v13, v7
	;; [unrolled: 1-line block ×4, first 2 shown]
	s_and_b32 exec_lo, exec_lo, vcc_lo
	s_cbranch_execz .LBB135_23
; %bb.19:
	s_waitcnt lgkmcnt(2)
	v_add_f64 v[8:9], v[6:7], v[8:9]
	s_waitcnt lgkmcnt(0)
	v_add_f64 v[6:7], v[10:11], v[12:13]
	s_load_b64 s[0:1], s[0:1], 0x38
	s_mov_b32 s2, exec_lo
	v_cmpx_eq_f64_e32 0, v[3:4]
	s_xor_b32 s2, exec_lo, s2
	s_cbranch_execz .LBB135_21
; %bb.20:
	s_delay_alu instid0(VALU_DEP_3) | instskip(NEXT) | instid1(VALU_DEP_3)
	v_mul_f64 v[8:9], v[1:2], v[8:9]
	v_mul_f64 v[10:11], v[1:2], v[6:7]
	v_lshlrev_b32_e32 v0, 1, v5
                                        ; implicit-def: $vgpr5
                                        ; implicit-def: $vgpr3_vgpr4
                                        ; implicit-def: $vgpr6_vgpr7
	s_delay_alu instid0(VALU_DEP_1) | instskip(NEXT) | instid1(VALU_DEP_1)
	v_ashrrev_i32_e32 v1, 31, v0
	v_lshlrev_b64 v[0:1], 3, v[0:1]
	s_waitcnt lgkmcnt(0)
	s_delay_alu instid0(VALU_DEP_1) | instskip(NEXT) | instid1(VALU_DEP_2)
	v_add_co_u32 v0, vcc_lo, s0, v0
	v_add_co_ci_u32_e32 v1, vcc_lo, s1, v1, vcc_lo
	global_store_b128 v[0:1], v[8:11], off
                                        ; implicit-def: $vgpr1_vgpr2
                                        ; implicit-def: $vgpr8_vgpr9
.LBB135_21:
	s_and_not1_saveexec_b32 s2, s2
	s_cbranch_execz .LBB135_23
; %bb.22:
	v_lshlrev_b32_e32 v10, 1, v5
	s_delay_alu instid0(VALU_DEP_4) | instskip(NEXT) | instid1(VALU_DEP_4)
	v_mul_f64 v[8:9], v[1:2], v[8:9]
	v_mul_f64 v[5:6], v[1:2], v[6:7]
	s_delay_alu instid0(VALU_DEP_3) | instskip(NEXT) | instid1(VALU_DEP_1)
	v_ashrrev_i32_e32 v11, 31, v10
	v_lshlrev_b64 v[10:11], 3, v[10:11]
	s_waitcnt lgkmcnt(0)
	s_delay_alu instid0(VALU_DEP_1) | instskip(NEXT) | instid1(VALU_DEP_2)
	v_add_co_u32 v14, vcc_lo, s0, v10
	v_add_co_ci_u32_e32 v15, vcc_lo, s1, v11, vcc_lo
	global_load_b128 v[10:13], v[14:15], off
	s_waitcnt vmcnt(0)
	v_fma_f64 v[0:1], v[3:4], v[10:11], v[8:9]
	v_fma_f64 v[2:3], v[3:4], v[12:13], v[5:6]
	global_store_b128 v[14:15], v[0:3], off
.LBB135_23:
	s_nop 0
	s_sendmsg sendmsg(MSG_DEALLOC_VGPRS)
	s_endpgm
	.section	.rodata,"a",@progbits
	.p2align	6, 0x0
	.amdhsa_kernel _ZN9rocsparseL19gebsrmvn_2xn_kernelILj128ELj13ELj64EdEEvi20rocsparse_direction_NS_24const_host_device_scalarIT2_EEPKiS6_PKS3_S8_S4_PS3_21rocsparse_index_base_b
		.amdhsa_group_segment_fixed_size 0
		.amdhsa_private_segment_fixed_size 0
		.amdhsa_kernarg_size 72
		.amdhsa_user_sgpr_count 15
		.amdhsa_user_sgpr_dispatch_ptr 0
		.amdhsa_user_sgpr_queue_ptr 0
		.amdhsa_user_sgpr_kernarg_segment_ptr 1
		.amdhsa_user_sgpr_dispatch_id 0
		.amdhsa_user_sgpr_private_segment_size 0
		.amdhsa_wavefront_size32 1
		.amdhsa_uses_dynamic_stack 0
		.amdhsa_enable_private_segment 0
		.amdhsa_system_sgpr_workgroup_id_x 1
		.amdhsa_system_sgpr_workgroup_id_y 0
		.amdhsa_system_sgpr_workgroup_id_z 0
		.amdhsa_system_sgpr_workgroup_info 0
		.amdhsa_system_vgpr_workitem_id 0
		.amdhsa_next_free_vgpr 73
		.amdhsa_next_free_sgpr 16
		.amdhsa_reserve_vcc 1
		.amdhsa_float_round_mode_32 0
		.amdhsa_float_round_mode_16_64 0
		.amdhsa_float_denorm_mode_32 3
		.amdhsa_float_denorm_mode_16_64 3
		.amdhsa_dx10_clamp 1
		.amdhsa_ieee_mode 1
		.amdhsa_fp16_overflow 0
		.amdhsa_workgroup_processor_mode 1
		.amdhsa_memory_ordered 1
		.amdhsa_forward_progress 0
		.amdhsa_shared_vgpr_count 0
		.amdhsa_exception_fp_ieee_invalid_op 0
		.amdhsa_exception_fp_denorm_src 0
		.amdhsa_exception_fp_ieee_div_zero 0
		.amdhsa_exception_fp_ieee_overflow 0
		.amdhsa_exception_fp_ieee_underflow 0
		.amdhsa_exception_fp_ieee_inexact 0
		.amdhsa_exception_int_div_zero 0
	.end_amdhsa_kernel
	.section	.text._ZN9rocsparseL19gebsrmvn_2xn_kernelILj128ELj13ELj64EdEEvi20rocsparse_direction_NS_24const_host_device_scalarIT2_EEPKiS6_PKS3_S8_S4_PS3_21rocsparse_index_base_b,"axG",@progbits,_ZN9rocsparseL19gebsrmvn_2xn_kernelILj128ELj13ELj64EdEEvi20rocsparse_direction_NS_24const_host_device_scalarIT2_EEPKiS6_PKS3_S8_S4_PS3_21rocsparse_index_base_b,comdat
.Lfunc_end135:
	.size	_ZN9rocsparseL19gebsrmvn_2xn_kernelILj128ELj13ELj64EdEEvi20rocsparse_direction_NS_24const_host_device_scalarIT2_EEPKiS6_PKS3_S8_S4_PS3_21rocsparse_index_base_b, .Lfunc_end135-_ZN9rocsparseL19gebsrmvn_2xn_kernelILj128ELj13ELj64EdEEvi20rocsparse_direction_NS_24const_host_device_scalarIT2_EEPKiS6_PKS3_S8_S4_PS3_21rocsparse_index_base_b
                                        ; -- End function
	.section	.AMDGPU.csdata,"",@progbits
; Kernel info:
; codeLenInByte = 4212
; NumSgprs: 18
; NumVgprs: 73
; ScratchSize: 0
; MemoryBound: 0
; FloatMode: 240
; IeeeMode: 1
; LDSByteSize: 0 bytes/workgroup (compile time only)
; SGPRBlocks: 2
; VGPRBlocks: 9
; NumSGPRsForWavesPerEU: 18
; NumVGPRsForWavesPerEU: 73
; Occupancy: 16
; WaveLimiterHint : 1
; COMPUTE_PGM_RSRC2:SCRATCH_EN: 0
; COMPUTE_PGM_RSRC2:USER_SGPR: 15
; COMPUTE_PGM_RSRC2:TRAP_HANDLER: 0
; COMPUTE_PGM_RSRC2:TGID_X_EN: 1
; COMPUTE_PGM_RSRC2:TGID_Y_EN: 0
; COMPUTE_PGM_RSRC2:TGID_Z_EN: 0
; COMPUTE_PGM_RSRC2:TIDIG_COMP_CNT: 0
	.section	.text._ZN9rocsparseL19gebsrmvn_2xn_kernelILj128ELj14ELj4EdEEvi20rocsparse_direction_NS_24const_host_device_scalarIT2_EEPKiS6_PKS3_S8_S4_PS3_21rocsparse_index_base_b,"axG",@progbits,_ZN9rocsparseL19gebsrmvn_2xn_kernelILj128ELj14ELj4EdEEvi20rocsparse_direction_NS_24const_host_device_scalarIT2_EEPKiS6_PKS3_S8_S4_PS3_21rocsparse_index_base_b,comdat
	.globl	_ZN9rocsparseL19gebsrmvn_2xn_kernelILj128ELj14ELj4EdEEvi20rocsparse_direction_NS_24const_host_device_scalarIT2_EEPKiS6_PKS3_S8_S4_PS3_21rocsparse_index_base_b ; -- Begin function _ZN9rocsparseL19gebsrmvn_2xn_kernelILj128ELj14ELj4EdEEvi20rocsparse_direction_NS_24const_host_device_scalarIT2_EEPKiS6_PKS3_S8_S4_PS3_21rocsparse_index_base_b
	.p2align	8
	.type	_ZN9rocsparseL19gebsrmvn_2xn_kernelILj128ELj14ELj4EdEEvi20rocsparse_direction_NS_24const_host_device_scalarIT2_EEPKiS6_PKS3_S8_S4_PS3_21rocsparse_index_base_b,@function
_ZN9rocsparseL19gebsrmvn_2xn_kernelILj128ELj14ELj4EdEEvi20rocsparse_direction_NS_24const_host_device_scalarIT2_EEPKiS6_PKS3_S8_S4_PS3_21rocsparse_index_base_b: ; @_ZN9rocsparseL19gebsrmvn_2xn_kernelILj128ELj14ELj4EdEEvi20rocsparse_direction_NS_24const_host_device_scalarIT2_EEPKiS6_PKS3_S8_S4_PS3_21rocsparse_index_base_b
; %bb.0:
	s_clause 0x2
	s_load_b64 s[12:13], s[0:1], 0x40
	s_load_b64 s[4:5], s[0:1], 0x8
	s_load_b64 s[2:3], s[0:1], 0x30
	s_waitcnt lgkmcnt(0)
	s_bitcmp1_b32 s13, 0
	v_dual_mov_b32 v1, s4 :: v_dual_mov_b32 v2, s5
	s_cselect_b32 s6, -1, 0
	s_delay_alu instid0(SALU_CYCLE_1)
	s_and_b32 vcc_lo, exec_lo, s6
	s_xor_b32 s6, s6, -1
	s_cbranch_vccnz .LBB136_2
; %bb.1:
	v_dual_mov_b32 v1, s4 :: v_dual_mov_b32 v2, s5
	flat_load_b64 v[1:2], v[1:2]
.LBB136_2:
	v_dual_mov_b32 v4, s3 :: v_dual_mov_b32 v3, s2
	s_and_not1_b32 vcc_lo, exec_lo, s6
	s_cbranch_vccnz .LBB136_4
; %bb.3:
	v_dual_mov_b32 v4, s3 :: v_dual_mov_b32 v3, s2
	flat_load_b64 v[3:4], v[3:4]
.LBB136_4:
	s_waitcnt vmcnt(0) lgkmcnt(0)
	v_cmp_neq_f64_e32 vcc_lo, 0, v[1:2]
	v_cmp_neq_f64_e64 s2, 1.0, v[3:4]
	s_delay_alu instid0(VALU_DEP_1) | instskip(NEXT) | instid1(SALU_CYCLE_1)
	s_or_b32 s2, vcc_lo, s2
	s_and_saveexec_b32 s3, s2
	s_cbranch_execz .LBB136_23
; %bb.5:
	s_load_b64 s[2:3], s[0:1], 0x0
	v_lshrrev_b32_e32 v5, 2, v0
	s_delay_alu instid0(VALU_DEP_1) | instskip(SKIP_1) | instid1(VALU_DEP_1)
	v_lshl_or_b32 v5, s15, 5, v5
	s_waitcnt lgkmcnt(0)
	v_cmp_gt_i32_e32 vcc_lo, s2, v5
	s_and_b32 exec_lo, exec_lo, vcc_lo
	s_cbranch_execz .LBB136_23
; %bb.6:
	s_load_b256 s[4:11], s[0:1], 0x10
	v_ashrrev_i32_e32 v6, 31, v5
	v_and_b32_e32 v0, 3, v0
	s_cmp_lg_u32 s3, 0
	s_delay_alu instid0(VALU_DEP_2) | instskip(SKIP_1) | instid1(VALU_DEP_1)
	v_lshlrev_b64 v[6:7], 2, v[5:6]
	s_waitcnt lgkmcnt(0)
	v_add_co_u32 v6, vcc_lo, s4, v6
	s_delay_alu instid0(VALU_DEP_2) | instskip(SKIP_4) | instid1(VALU_DEP_2)
	v_add_co_ci_u32_e32 v7, vcc_lo, s5, v7, vcc_lo
	global_load_b64 v[6:7], v[6:7], off
	s_waitcnt vmcnt(0)
	v_subrev_nc_u32_e32 v6, s12, v6
	v_subrev_nc_u32_e32 v17, s12, v7
	v_add_nc_u32_e32 v6, v6, v0
	s_delay_alu instid0(VALU_DEP_1)
	v_cmp_lt_i32_e64 s2, v6, v17
	s_cbranch_scc0 .LBB136_12
; %bb.7:
	v_mov_b32_e32 v8, 0
	v_mov_b32_e32 v9, 0
	s_delay_alu instid0(VALU_DEP_1)
	v_dual_mov_b32 v11, v9 :: v_dual_mov_b32 v10, v8
	s_and_saveexec_b32 s3, s2
	s_cbranch_execz .LBB136_11
; %bb.8:
	v_dual_mov_b32 v8, 0 :: v_dual_mov_b32 v15, v6
	v_dual_mov_b32 v9, 0 :: v_dual_mov_b32 v14, 0
	v_mad_u64_u32 v[12:13], null, v6, 28, 26
	s_mov_b32 s4, 0
	s_delay_alu instid0(VALU_DEP_2)
	v_dual_mov_b32 v11, v9 :: v_dual_mov_b32 v10, v8
.LBB136_9:                              ; =>This Inner Loop Header: Depth=1
	v_ashrrev_i32_e32 v16, 31, v15
	s_delay_alu instid0(VALU_DEP_3) | instskip(SKIP_1) | instid1(VALU_DEP_3)
	v_subrev_nc_u32_e32 v13, 26, v12
	v_mov_b32_e32 v75, v14
	v_lshlrev_b64 v[18:19], 2, v[15:16]
	v_add_nc_u32_e32 v15, 4, v15
	s_delay_alu instid0(VALU_DEP_2) | instskip(NEXT) | instid1(VALU_DEP_3)
	v_add_co_u32 v18, vcc_lo, s6, v18
	v_add_co_ci_u32_e32 v19, vcc_lo, s7, v19, vcc_lo
	global_load_b32 v7, v[18:19], off
	v_lshlrev_b64 v[18:19], 3, v[13:14]
	v_subrev_nc_u32_e32 v13, 22, v12
	s_delay_alu instid0(VALU_DEP_1) | instskip(NEXT) | instid1(VALU_DEP_3)
	v_lshlrev_b64 v[30:31], 3, v[13:14]
	v_add_co_u32 v22, vcc_lo, s8, v18
	s_delay_alu instid0(VALU_DEP_4)
	v_add_co_ci_u32_e32 v23, vcc_lo, s9, v19, vcc_lo
	s_clause 0x1
	global_load_b128 v[18:21], v[22:23], off offset:16
	global_load_b128 v[22:25], v[22:23], off
	s_waitcnt vmcnt(2)
	v_subrev_nc_u32_e32 v7, s12, v7
	s_delay_alu instid0(VALU_DEP_1) | instskip(NEXT) | instid1(VALU_DEP_1)
	v_mul_lo_u32 v74, v7, 14
	v_lshlrev_b64 v[26:27], 3, v[74:75]
	v_add_nc_u32_e32 v13, 2, v74
	s_delay_alu instid0(VALU_DEP_1) | instskip(NEXT) | instid1(VALU_DEP_3)
	v_lshlrev_b64 v[34:35], 3, v[13:14]
	v_add_co_u32 v26, vcc_lo, s10, v26
	s_delay_alu instid0(VALU_DEP_4)
	v_add_co_ci_u32_e32 v27, vcc_lo, s11, v27, vcc_lo
	v_add_co_u32 v30, vcc_lo, s8, v30
	v_add_co_ci_u32_e32 v31, vcc_lo, s9, v31, vcc_lo
	global_load_b128 v[26:29], v[26:27], off
	v_add_co_u32 v34, vcc_lo, s10, v34
	v_add_co_ci_u32_e32 v35, vcc_lo, s11, v35, vcc_lo
	global_load_b128 v[30:33], v[30:31], off
	v_subrev_nc_u32_e32 v13, 20, v12
	global_load_b128 v[34:37], v[34:35], off
	v_lshlrev_b64 v[38:39], 3, v[13:14]
	v_subrev_nc_u32_e32 v13, 18, v12
	s_delay_alu instid0(VALU_DEP_2) | instskip(NEXT) | instid1(VALU_DEP_3)
	v_add_co_u32 v38, vcc_lo, s8, v38
	v_add_co_ci_u32_e32 v39, vcc_lo, s9, v39, vcc_lo
	s_delay_alu instid0(VALU_DEP_3)
	v_lshlrev_b64 v[42:43], 3, v[13:14]
	v_add_nc_u32_e32 v13, 4, v74
	global_load_b128 v[38:41], v[38:39], off
	v_lshlrev_b64 v[44:45], 3, v[13:14]
	v_add_co_u32 v42, vcc_lo, s8, v42
	v_add_co_ci_u32_e32 v43, vcc_lo, s9, v43, vcc_lo
	v_add_nc_u32_e32 v13, -16, v12
	s_delay_alu instid0(VALU_DEP_4)
	v_add_co_u32 v46, vcc_lo, s10, v44
	v_add_co_ci_u32_e32 v47, vcc_lo, s11, v45, vcc_lo
	global_load_b128 v[42:45], v[42:43], off
	global_load_b128 v[46:49], v[46:47], off
	v_lshlrev_b64 v[50:51], 3, v[13:14]
	v_add_nc_u32_e32 v13, -14, v12
	s_delay_alu instid0(VALU_DEP_2) | instskip(NEXT) | instid1(VALU_DEP_3)
	v_add_co_u32 v50, vcc_lo, s8, v50
	v_add_co_ci_u32_e32 v51, vcc_lo, s9, v51, vcc_lo
	s_delay_alu instid0(VALU_DEP_3)
	v_lshlrev_b64 v[54:55], 3, v[13:14]
	v_add_nc_u32_e32 v13, 6, v74
	global_load_b128 v[50:53], v[50:51], off
	v_lshlrev_b64 v[56:57], 3, v[13:14]
	v_add_co_u32 v54, vcc_lo, s8, v54
	v_add_co_ci_u32_e32 v55, vcc_lo, s9, v55, vcc_lo
	v_add_nc_u32_e32 v13, -12, v12
	s_delay_alu instid0(VALU_DEP_4)
	v_add_co_u32 v58, vcc_lo, s10, v56
	v_add_co_ci_u32_e32 v59, vcc_lo, s11, v57, vcc_lo
	global_load_b128 v[54:57], v[54:55], off
	global_load_b128 v[58:61], v[58:59], off
	v_lshlrev_b64 v[62:63], 3, v[13:14]
	v_add_nc_u32_e32 v13, -10, v12
	s_delay_alu instid0(VALU_DEP_2) | instskip(NEXT) | instid1(VALU_DEP_3)
	v_add_co_u32 v62, vcc_lo, s8, v62
	v_add_co_ci_u32_e32 v63, vcc_lo, s9, v63, vcc_lo
	s_delay_alu instid0(VALU_DEP_3)
	v_lshlrev_b64 v[66:67], 3, v[13:14]
	v_add_nc_u32_e32 v13, 8, v74
	global_load_b128 v[62:65], v[62:63], off
	v_lshlrev_b64 v[68:69], 3, v[13:14]
	v_add_co_u32 v66, vcc_lo, s8, v66
	v_add_co_ci_u32_e32 v67, vcc_lo, s9, v67, vcc_lo
	v_add_nc_u32_e32 v13, -8, v12
	s_delay_alu instid0(VALU_DEP_4)
	v_add_co_u32 v70, vcc_lo, s10, v68
	v_add_co_ci_u32_e32 v71, vcc_lo, s11, v69, vcc_lo
	global_load_b128 v[66:69], v[66:67], off
	global_load_b128 v[70:73], v[70:71], off
	s_waitcnt vmcnt(11)
	v_fma_f64 v[22:23], v[22:23], v[26:27], v[8:9]
	v_fma_f64 v[24:25], v[24:25], v[26:27], v[10:11]
	v_lshlrev_b64 v[7:8], 3, v[13:14]
	v_add_nc_u32_e32 v13, -6, v12
	s_delay_alu instid0(VALU_DEP_2) | instskip(NEXT) | instid1(VALU_DEP_3)
	v_add_co_u32 v7, vcc_lo, s8, v7
	v_add_co_ci_u32_e32 v8, vcc_lo, s9, v8, vcc_lo
	global_load_b128 v[7:10], v[7:8], off
	v_fma_f64 v[26:27], v[18:19], v[28:29], v[22:23]
	v_fma_f64 v[28:29], v[20:21], v[28:29], v[24:25]
	v_lshlrev_b64 v[18:19], 3, v[13:14]
	v_add_nc_u32_e32 v13, 10, v74
	s_delay_alu instid0(VALU_DEP_1) | instskip(NEXT) | instid1(VALU_DEP_3)
	v_lshlrev_b64 v[20:21], 3, v[13:14]
	v_add_co_u32 v18, vcc_lo, s8, v18
	s_delay_alu instid0(VALU_DEP_4) | instskip(SKIP_1) | instid1(VALU_DEP_4)
	v_add_co_ci_u32_e32 v19, vcc_lo, s9, v19, vcc_lo
	v_add_nc_u32_e32 v13, -4, v12
	v_add_co_u32 v22, vcc_lo, s10, v20
	v_add_co_ci_u32_e32 v23, vcc_lo, s11, v21, vcc_lo
	global_load_b128 v[18:21], v[18:19], off
	global_load_b128 v[22:25], v[22:23], off
	s_waitcnt vmcnt(12)
	v_fma_f64 v[30:31], v[30:31], v[34:35], v[26:27]
	v_fma_f64 v[32:33], v[32:33], v[34:35], v[28:29]
	v_lshlrev_b64 v[26:27], 3, v[13:14]
	v_add_nc_u32_e32 v13, -2, v12
	s_delay_alu instid0(VALU_DEP_2) | instskip(NEXT) | instid1(VALU_DEP_3)
	v_add_co_u32 v26, vcc_lo, s8, v26
	v_add_co_ci_u32_e32 v27, vcc_lo, s9, v27, vcc_lo
	global_load_b128 v[26:29], v[26:27], off
	s_waitcnt vmcnt(12)
	v_fma_f64 v[38:39], v[38:39], v[36:37], v[30:31]
	v_fma_f64 v[40:41], v[40:41], v[36:37], v[32:33]
	v_lshlrev_b64 v[30:31], 3, v[13:14]
	v_add_nc_u32_e32 v13, 12, v74
	s_delay_alu instid0(VALU_DEP_1) | instskip(NEXT) | instid1(VALU_DEP_3)
	v_lshlrev_b64 v[32:33], 3, v[13:14]
	v_add_co_u32 v30, vcc_lo, s8, v30
	s_delay_alu instid0(VALU_DEP_4) | instskip(SKIP_1) | instid1(VALU_DEP_4)
	v_add_co_ci_u32_e32 v31, vcc_lo, s9, v31, vcc_lo
	v_mov_b32_e32 v13, v14
	v_add_co_u32 v34, vcc_lo, s10, v32
	v_add_co_ci_u32_e32 v35, vcc_lo, s11, v33, vcc_lo
	global_load_b128 v[30:33], v[30:31], off
	global_load_b128 v[34:37], v[34:35], off
	s_waitcnt vmcnt(12)
	v_fma_f64 v[42:43], v[42:43], v[46:47], v[38:39]
	v_fma_f64 v[44:45], v[44:45], v[46:47], v[40:41]
	v_lshlrev_b64 v[38:39], 3, v[12:13]
	v_add_nc_u32_e32 v12, 0x70, v12
	s_delay_alu instid0(VALU_DEP_2) | instskip(NEXT) | instid1(VALU_DEP_3)
	v_add_co_u32 v38, vcc_lo, s8, v38
	v_add_co_ci_u32_e32 v39, vcc_lo, s9, v39, vcc_lo
	v_cmp_ge_i32_e32 vcc_lo, v15, v17
	global_load_b128 v[38:41], v[38:39], off
	s_or_b32 s4, vcc_lo, s4
	s_waitcnt vmcnt(12)
	v_fma_f64 v[42:43], v[50:51], v[48:49], v[42:43]
	v_fma_f64 v[44:45], v[52:53], v[48:49], v[44:45]
	s_waitcnt vmcnt(10)
	s_delay_alu instid0(VALU_DEP_2) | instskip(NEXT) | instid1(VALU_DEP_2)
	v_fma_f64 v[42:43], v[54:55], v[58:59], v[42:43]
	v_fma_f64 v[44:45], v[56:57], v[58:59], v[44:45]
	s_waitcnt vmcnt(9)
	s_delay_alu instid0(VALU_DEP_2) | instskip(NEXT) | instid1(VALU_DEP_2)
	;; [unrolled: 4-line block ×8, first 2 shown]
	v_fma_f64 v[8:9], v[38:39], v[36:37], v[7:8]
	v_fma_f64 v[10:11], v[40:41], v[36:37], v[10:11]
	s_and_not1_b32 exec_lo, exec_lo, s4
	s_cbranch_execnz .LBB136_9
; %bb.10:
	s_or_b32 exec_lo, exec_lo, s4
.LBB136_11:
	s_delay_alu instid0(SALU_CYCLE_1)
	s_or_b32 exec_lo, exec_lo, s3
	s_cbranch_execz .LBB136_13
	s_branch .LBB136_18
.LBB136_12:
                                        ; implicit-def: $vgpr8_vgpr9
                                        ; implicit-def: $vgpr10_vgpr11
.LBB136_13:
	v_mov_b32_e32 v8, 0
	v_mov_b32_e32 v9, 0
	s_delay_alu instid0(VALU_DEP_1)
	v_dual_mov_b32 v11, v9 :: v_dual_mov_b32 v10, v8
	s_and_saveexec_b32 s3, s2
	s_cbranch_execz .LBB136_17
; %bb.14:
	v_mov_b32_e32 v8, 0
	v_dual_mov_b32 v9, 0 :: v_dual_mov_b32 v14, 0
	v_mad_u64_u32 v[12:13], null, v6, 28, 27
	s_mov_b32 s2, 0
	s_delay_alu instid0(VALU_DEP_2)
	v_dual_mov_b32 v11, v9 :: v_dual_mov_b32 v10, v8
.LBB136_15:                             ; =>This Inner Loop Header: Depth=1
	v_ashrrev_i32_e32 v7, 31, v6
	s_delay_alu instid0(VALU_DEP_3) | instskip(SKIP_1) | instid1(VALU_DEP_3)
	v_subrev_nc_u32_e32 v13, 27, v12
	v_mov_b32_e32 v47, v14
	v_lshlrev_b64 v[15:16], 2, v[6:7]
	v_add_nc_u32_e32 v6, 4, v6
	s_delay_alu instid0(VALU_DEP_4) | instskip(SKIP_1) | instid1(VALU_DEP_4)
	v_lshlrev_b64 v[18:19], 3, v[13:14]
	v_add_nc_u32_e32 v13, -12, v12
	v_add_co_u32 v15, vcc_lo, s6, v15
	v_add_co_ci_u32_e32 v16, vcc_lo, s7, v16, vcc_lo
	s_delay_alu instid0(VALU_DEP_4)
	v_add_co_u32 v22, vcc_lo, s8, v18
	v_add_co_ci_u32_e32 v23, vcc_lo, s9, v19, vcc_lo
	global_load_b32 v7, v[15:16], off
	v_dual_mov_b32 v16, v14 :: v_dual_add_nc_u32 v15, -13, v12
	s_clause 0x1
	global_load_b128 v[18:21], v[22:23], off offset:16
	global_load_b128 v[22:25], v[22:23], off
	v_lshlrev_b64 v[30:31], 3, v[13:14]
	v_lshlrev_b64 v[15:16], 3, v[15:16]
	s_delay_alu instid0(VALU_DEP_1) | instskip(NEXT) | instid1(VALU_DEP_2)
	v_add_co_u32 v15, vcc_lo, s8, v15
	v_add_co_ci_u32_e32 v16, vcc_lo, s9, v16, vcc_lo
	global_load_b64 v[15:16], v[15:16], off
	s_waitcnt vmcnt(3)
	v_subrev_nc_u32_e32 v7, s12, v7
	s_delay_alu instid0(VALU_DEP_1) | instskip(NEXT) | instid1(VALU_DEP_1)
	v_mul_lo_u32 v46, v7, 14
	v_lshlrev_b64 v[26:27], 3, v[46:47]
	v_add_nc_u32_e32 v13, 2, v46
	s_delay_alu instid0(VALU_DEP_2) | instskip(NEXT) | instid1(VALU_DEP_3)
	v_add_co_u32 v26, vcc_lo, s10, v26
	v_add_co_ci_u32_e32 v27, vcc_lo, s11, v27, vcc_lo
	v_add_co_u32 v30, vcc_lo, s8, v30
	v_add_co_ci_u32_e32 v31, vcc_lo, s9, v31, vcc_lo
	global_load_b128 v[26:29], v[26:27], off
	global_load_b64 v[47:48], v[30:31], off
	v_lshlrev_b64 v[30:31], 3, v[13:14]
	v_add_nc_u32_e32 v13, -11, v12
	s_delay_alu instid0(VALU_DEP_1) | instskip(NEXT) | instid1(VALU_DEP_3)
	v_lshlrev_b64 v[32:33], 3, v[13:14]
	v_add_co_u32 v30, vcc_lo, s10, v30
	s_delay_alu instid0(VALU_DEP_4) | instskip(SKIP_1) | instid1(VALU_DEP_4)
	v_add_co_ci_u32_e32 v31, vcc_lo, s11, v31, vcc_lo
	v_add_nc_u32_e32 v13, -10, v12
	v_add_co_u32 v34, vcc_lo, s8, v32
	v_add_co_ci_u32_e32 v35, vcc_lo, s9, v33, vcc_lo
	global_load_b128 v[30:33], v[30:31], off
	global_load_b64 v[49:50], v[34:35], off
	v_lshlrev_b64 v[34:35], 3, v[13:14]
	v_subrev_nc_u32_e32 v13, 23, v12
	s_delay_alu instid0(VALU_DEP_2) | instskip(NEXT) | instid1(VALU_DEP_3)
	v_add_co_u32 v34, vcc_lo, s8, v34
	v_add_co_ci_u32_e32 v35, vcc_lo, s9, v35, vcc_lo
	global_load_b64 v[51:52], v[34:35], off
	v_lshlrev_b64 v[34:35], 3, v[13:14]
	v_add_nc_u32_e32 v13, 4, v46
	s_delay_alu instid0(VALU_DEP_1) | instskip(SKIP_1) | instid1(VALU_DEP_4)
	v_lshlrev_b64 v[36:37], 3, v[13:14]
	v_add_nc_u32_e32 v13, -9, v12
	v_add_co_u32 v34, vcc_lo, s8, v34
	v_add_co_ci_u32_e32 v35, vcc_lo, s9, v35, vcc_lo
	s_delay_alu instid0(VALU_DEP_3) | instskip(SKIP_3) | instid1(VALU_DEP_4)
	v_lshlrev_b64 v[38:39], 3, v[13:14]
	v_add_co_u32 v36, vcc_lo, s10, v36
	v_add_co_ci_u32_e32 v37, vcc_lo, s11, v37, vcc_lo
	v_subrev_nc_u32_e32 v13, 22, v12
	v_add_co_u32 v38, vcc_lo, s8, v38
	v_add_co_ci_u32_e32 v39, vcc_lo, s9, v39, vcc_lo
	global_load_b64 v[53:54], v[34:35], off
	global_load_b128 v[34:37], v[36:37], off
	global_load_b64 v[55:56], v[38:39], off
	v_lshlrev_b64 v[38:39], 3, v[13:14]
	v_add_nc_u32_e32 v13, -8, v12
	s_delay_alu instid0(VALU_DEP_1) | instskip(NEXT) | instid1(VALU_DEP_3)
	v_lshlrev_b64 v[40:41], 3, v[13:14]
	v_add_co_u32 v38, vcc_lo, s8, v38
	s_delay_alu instid0(VALU_DEP_4) | instskip(SKIP_1) | instid1(VALU_DEP_4)
	v_add_co_ci_u32_e32 v39, vcc_lo, s9, v39, vcc_lo
	v_subrev_nc_u32_e32 v13, 21, v12
	v_add_co_u32 v40, vcc_lo, s8, v40
	v_add_co_ci_u32_e32 v41, vcc_lo, s9, v41, vcc_lo
	s_clause 0x1
	global_load_b64 v[57:58], v[38:39], off
	global_load_b64 v[59:60], v[40:41], off
	v_lshlrev_b64 v[38:39], 3, v[13:14]
	v_add_nc_u32_e32 v13, 6, v46
	s_delay_alu instid0(VALU_DEP_1) | instskip(SKIP_1) | instid1(VALU_DEP_4)
	v_lshlrev_b64 v[40:41], 3, v[13:14]
	v_add_nc_u32_e32 v13, -7, v12
	v_add_co_u32 v38, vcc_lo, s8, v38
	v_add_co_ci_u32_e32 v39, vcc_lo, s9, v39, vcc_lo
	s_delay_alu instid0(VALU_DEP_3) | instskip(SKIP_3) | instid1(VALU_DEP_4)
	v_lshlrev_b64 v[42:43], 3, v[13:14]
	v_add_co_u32 v40, vcc_lo, s10, v40
	v_add_co_ci_u32_e32 v41, vcc_lo, s11, v41, vcc_lo
	v_subrev_nc_u32_e32 v13, 20, v12
	v_add_co_u32 v42, vcc_lo, s8, v42
	v_add_co_ci_u32_e32 v43, vcc_lo, s9, v43, vcc_lo
	global_load_b64 v[61:62], v[38:39], off
	global_load_b128 v[38:41], v[40:41], off
	global_load_b64 v[63:64], v[42:43], off
	v_lshlrev_b64 v[42:43], 3, v[13:14]
	v_add_nc_u32_e32 v13, -6, v12
	s_delay_alu instid0(VALU_DEP_1) | instskip(NEXT) | instid1(VALU_DEP_3)
	v_lshlrev_b64 v[44:45], 3, v[13:14]
	v_add_co_u32 v42, vcc_lo, s8, v42
	s_delay_alu instid0(VALU_DEP_4) | instskip(SKIP_1) | instid1(VALU_DEP_4)
	v_add_co_ci_u32_e32 v43, vcc_lo, s9, v43, vcc_lo
	v_subrev_nc_u32_e32 v13, 19, v12
	v_add_co_u32 v44, vcc_lo, s8, v44
	v_add_co_ci_u32_e32 v45, vcc_lo, s9, v45, vcc_lo
	s_clause 0x1
	global_load_b64 v[65:66], v[42:43], off
	global_load_b64 v[67:68], v[44:45], off
	v_lshlrev_b64 v[42:43], 3, v[13:14]
	v_add_nc_u32_e32 v13, 8, v46
	s_delay_alu instid0(VALU_DEP_1) | instskip(SKIP_1) | instid1(VALU_DEP_4)
	v_lshlrev_b64 v[44:45], 3, v[13:14]
	v_add_nc_u32_e32 v13, -5, v12
	v_add_co_u32 v42, vcc_lo, s8, v42
	v_add_co_ci_u32_e32 v43, vcc_lo, s9, v43, vcc_lo
	s_delay_alu instid0(VALU_DEP_3) | instskip(SKIP_3) | instid1(VALU_DEP_4)
	v_lshlrev_b64 v[69:70], 3, v[13:14]
	v_add_co_u32 v44, vcc_lo, s10, v44
	v_add_co_ci_u32_e32 v45, vcc_lo, s11, v45, vcc_lo
	v_subrev_nc_u32_e32 v13, 18, v12
	v_add_co_u32 v69, vcc_lo, s8, v69
	v_add_co_ci_u32_e32 v70, vcc_lo, s9, v70, vcc_lo
	global_load_b64 v[71:72], v[42:43], off
	global_load_b128 v[42:45], v[44:45], off
	global_load_b64 v[69:70], v[69:70], off
	s_waitcnt vmcnt(17)
	v_fma_f64 v[7:8], v[22:23], v[26:27], v[8:9]
	v_fma_f64 v[9:10], v[15:16], v[26:27], v[10:11]
	v_lshlrev_b64 v[15:16], 3, v[13:14]
	v_add_nc_u32_e32 v13, -4, v12
	s_delay_alu instid0(VALU_DEP_1) | instskip(NEXT) | instid1(VALU_DEP_3)
	v_lshlrev_b64 v[22:23], 3, v[13:14]
	v_add_co_u32 v15, vcc_lo, s8, v15
	s_delay_alu instid0(VALU_DEP_4) | instskip(SKIP_1) | instid1(VALU_DEP_4)
	v_add_co_ci_u32_e32 v16, vcc_lo, s9, v16, vcc_lo
	v_subrev_nc_u32_e32 v13, 17, v12
	v_add_co_u32 v22, vcc_lo, s8, v22
	v_add_co_ci_u32_e32 v23, vcc_lo, s9, v23, vcc_lo
	s_clause 0x1
	global_load_b64 v[15:16], v[15:16], off
	global_load_b64 v[22:23], v[22:23], off
	v_lshlrev_b64 v[26:27], 3, v[13:14]
	v_add_nc_u32_e32 v13, 10, v46
	v_fma_f64 v[24:25], v[24:25], v[28:29], v[7:8]
	s_waitcnt vmcnt(18)
	v_fma_f64 v[28:29], v[47:48], v[28:29], v[9:10]
	s_delay_alu instid0(VALU_DEP_3) | instskip(SKIP_3) | instid1(VALU_DEP_3)
	v_lshlrev_b64 v[7:8], 3, v[13:14]
	v_add_nc_u32_e32 v13, -3, v12
	v_add_co_u32 v9, vcc_lo, s8, v26
	v_add_co_ci_u32_e32 v10, vcc_lo, s9, v27, vcc_lo
	v_lshlrev_b64 v[26:27], 3, v[13:14]
	v_add_co_u32 v7, vcc_lo, s10, v7
	v_add_co_ci_u32_e32 v8, vcc_lo, s11, v8, vcc_lo
	v_add_nc_u32_e32 v13, -16, v12
	s_delay_alu instid0(VALU_DEP_4)
	v_add_co_u32 v26, vcc_lo, s8, v26
	v_add_co_ci_u32_e32 v27, vcc_lo, s9, v27, vcc_lo
	global_load_b64 v[47:48], v[9:10], off
	global_load_b128 v[7:10], v[7:8], off
	global_load_b64 v[26:27], v[26:27], off
	s_waitcnt vmcnt(20)
	v_fma_f64 v[18:19], v[18:19], v[30:31], v[24:25]
	s_waitcnt vmcnt(19)
	v_fma_f64 v[24:25], v[49:50], v[30:31], v[28:29]
	v_lshlrev_b64 v[28:29], 3, v[13:14]
	v_add_nc_u32_e32 v13, -2, v12
	s_delay_alu instid0(VALU_DEP_1) | instskip(NEXT) | instid1(VALU_DEP_3)
	v_lshlrev_b64 v[30:31], 3, v[13:14]
	v_add_co_u32 v28, vcc_lo, s8, v28
	s_delay_alu instid0(VALU_DEP_4) | instskip(SKIP_1) | instid1(VALU_DEP_4)
	v_add_co_ci_u32_e32 v29, vcc_lo, s9, v29, vcc_lo
	v_add_nc_u32_e32 v13, -15, v12
	v_add_co_u32 v30, vcc_lo, s8, v30
	v_add_co_ci_u32_e32 v31, vcc_lo, s9, v31, vcc_lo
	s_clause 0x1
	global_load_b64 v[28:29], v[28:29], off
	global_load_b64 v[30:31], v[30:31], off
	v_lshlrev_b64 v[49:50], 3, v[13:14]
	v_add_nc_u32_e32 v13, 12, v46
	v_fma_f64 v[73:74], v[20:21], v[32:33], v[18:19]
	s_waitcnt vmcnt(20)
	v_fma_f64 v[24:25], v[51:52], v[32:33], v[24:25]
	s_delay_alu instid0(VALU_DEP_3) | instskip(SKIP_3) | instid1(VALU_DEP_3)
	v_lshlrev_b64 v[18:19], 3, v[13:14]
	v_add_nc_u32_e32 v13, -1, v12
	v_add_co_u32 v20, vcc_lo, s8, v49
	v_add_co_ci_u32_e32 v21, vcc_lo, s9, v50, vcc_lo
	v_lshlrev_b64 v[32:33], 3, v[13:14]
	v_add_co_u32 v18, vcc_lo, s10, v18
	v_add_co_ci_u32_e32 v19, vcc_lo, s11, v19, vcc_lo
	v_mov_b32_e32 v13, v14
	s_delay_alu instid0(VALU_DEP_4)
	v_add_co_u32 v32, vcc_lo, s8, v32
	v_add_co_ci_u32_e32 v33, vcc_lo, s9, v33, vcc_lo
	global_load_b64 v[49:50], v[20:21], off
	global_load_b128 v[18:21], v[18:19], off
	global_load_b64 v[32:33], v[32:33], off
	s_waitcnt vmcnt(21)
	v_fma_f64 v[51:52], v[53:54], v[34:35], v[73:74]
	s_waitcnt vmcnt(20)
	v_fma_f64 v[24:25], v[55:56], v[34:35], v[24:25]
	v_lshlrev_b64 v[34:35], 3, v[12:13]
	v_add_nc_u32_e32 v13, -14, v12
	v_add_nc_u32_e32 v12, 0x70, v12
	s_delay_alu instid0(VALU_DEP_2) | instskip(NEXT) | instid1(VALU_DEP_4)
	v_lshlrev_b64 v[53:54], 3, v[13:14]
	v_add_co_u32 v34, vcc_lo, s8, v34
	v_add_co_ci_u32_e32 v35, vcc_lo, s9, v35, vcc_lo
	s_delay_alu instid0(VALU_DEP_3) | instskip(NEXT) | instid1(VALU_DEP_4)
	v_add_co_u32 v53, vcc_lo, s8, v53
	v_add_co_ci_u32_e32 v54, vcc_lo, s9, v54, vcc_lo
	s_clause 0x1
	global_load_b64 v[53:54], v[53:54], off
	global_load_b64 v[34:35], v[34:35], off
	v_cmp_ge_i32_e32 vcc_lo, v6, v17
	s_or_b32 s2, vcc_lo, s2
	s_waitcnt vmcnt(21)
	v_fma_f64 v[51:52], v[57:58], v[36:37], v[51:52]
	s_waitcnt vmcnt(20)
	v_fma_f64 v[24:25], v[59:60], v[36:37], v[24:25]
	s_waitcnt vmcnt(18)
	s_delay_alu instid0(VALU_DEP_2) | instskip(SKIP_1) | instid1(VALU_DEP_2)
	v_fma_f64 v[36:37], v[61:62], v[38:39], v[51:52]
	s_waitcnt vmcnt(17)
	v_fma_f64 v[24:25], v[63:64], v[38:39], v[24:25]
	s_waitcnt vmcnt(16)
	s_delay_alu instid0(VALU_DEP_2) | instskip(SKIP_1) | instid1(VALU_DEP_2)
	;; [unrolled: 5-line block ×8, first 2 shown]
	v_fma_f64 v[8:9], v[53:54], v[20:21], v[9:10]
	s_waitcnt vmcnt(0)
	v_fma_f64 v[10:11], v[34:35], v[20:21], v[15:16]
	s_and_not1_b32 exec_lo, exec_lo, s2
	s_cbranch_execnz .LBB136_15
; %bb.16:
	s_or_b32 exec_lo, exec_lo, s2
.LBB136_17:
	s_delay_alu instid0(SALU_CYCLE_1)
	s_or_b32 exec_lo, exec_lo, s3
.LBB136_18:
	v_mbcnt_lo_u32_b32 v14, -1, 0
	s_delay_alu instid0(VALU_DEP_1) | instskip(NEXT) | instid1(VALU_DEP_1)
	v_xor_b32_e32 v6, 2, v14
	v_cmp_gt_i32_e32 vcc_lo, 32, v6
	v_cndmask_b32_e32 v6, v14, v6, vcc_lo
	s_delay_alu instid0(VALU_DEP_1)
	v_lshlrev_b32_e32 v13, 2, v6
	ds_bpermute_b32 v6, v13, v8
	ds_bpermute_b32 v7, v13, v9
	s_waitcnt lgkmcnt(0)
	v_add_f64 v[6:7], v[8:9], v[6:7]
	v_xor_b32_e32 v8, 1, v14
	s_delay_alu instid0(VALU_DEP_1)
	v_cmp_gt_i32_e32 vcc_lo, 32, v8
	v_cndmask_b32_e32 v8, v14, v8, vcc_lo
	ds_bpermute_b32 v12, v13, v10
	ds_bpermute_b32 v13, v13, v11
	v_cmp_eq_u32_e32 vcc_lo, 3, v0
	s_waitcnt lgkmcnt(0)
	v_add_f64 v[10:11], v[10:11], v[12:13]
	v_lshlrev_b32_e32 v13, 2, v8
	ds_bpermute_b32 v8, v13, v6
	ds_bpermute_b32 v9, v13, v7
	ds_bpermute_b32 v12, v13, v10
	ds_bpermute_b32 v13, v13, v11
	s_and_b32 exec_lo, exec_lo, vcc_lo
	s_cbranch_execz .LBB136_23
; %bb.19:
	s_waitcnt lgkmcnt(2)
	v_add_f64 v[8:9], v[6:7], v[8:9]
	s_waitcnt lgkmcnt(0)
	v_add_f64 v[6:7], v[10:11], v[12:13]
	s_load_b64 s[0:1], s[0:1], 0x38
	s_mov_b32 s2, exec_lo
	v_cmpx_eq_f64_e32 0, v[3:4]
	s_xor_b32 s2, exec_lo, s2
	s_cbranch_execz .LBB136_21
; %bb.20:
	s_delay_alu instid0(VALU_DEP_3) | instskip(NEXT) | instid1(VALU_DEP_3)
	v_mul_f64 v[8:9], v[1:2], v[8:9]
	v_mul_f64 v[10:11], v[1:2], v[6:7]
	v_lshlrev_b32_e32 v0, 1, v5
                                        ; implicit-def: $vgpr5
                                        ; implicit-def: $vgpr3_vgpr4
                                        ; implicit-def: $vgpr6_vgpr7
	s_delay_alu instid0(VALU_DEP_1) | instskip(NEXT) | instid1(VALU_DEP_1)
	v_ashrrev_i32_e32 v1, 31, v0
	v_lshlrev_b64 v[0:1], 3, v[0:1]
	s_waitcnt lgkmcnt(0)
	s_delay_alu instid0(VALU_DEP_1) | instskip(NEXT) | instid1(VALU_DEP_2)
	v_add_co_u32 v0, vcc_lo, s0, v0
	v_add_co_ci_u32_e32 v1, vcc_lo, s1, v1, vcc_lo
	global_store_b128 v[0:1], v[8:11], off
                                        ; implicit-def: $vgpr1_vgpr2
                                        ; implicit-def: $vgpr8_vgpr9
.LBB136_21:
	s_and_not1_saveexec_b32 s2, s2
	s_cbranch_execz .LBB136_23
; %bb.22:
	v_lshlrev_b32_e32 v10, 1, v5
	s_delay_alu instid0(VALU_DEP_4) | instskip(NEXT) | instid1(VALU_DEP_4)
	v_mul_f64 v[8:9], v[1:2], v[8:9]
	v_mul_f64 v[5:6], v[1:2], v[6:7]
	s_delay_alu instid0(VALU_DEP_3) | instskip(NEXT) | instid1(VALU_DEP_1)
	v_ashrrev_i32_e32 v11, 31, v10
	v_lshlrev_b64 v[10:11], 3, v[10:11]
	s_waitcnt lgkmcnt(0)
	s_delay_alu instid0(VALU_DEP_1) | instskip(NEXT) | instid1(VALU_DEP_2)
	v_add_co_u32 v14, vcc_lo, s0, v10
	v_add_co_ci_u32_e32 v15, vcc_lo, s1, v11, vcc_lo
	global_load_b128 v[10:13], v[14:15], off
	s_waitcnt vmcnt(0)
	v_fma_f64 v[0:1], v[3:4], v[10:11], v[8:9]
	v_fma_f64 v[2:3], v[3:4], v[12:13], v[5:6]
	global_store_b128 v[14:15], v[0:3], off
.LBB136_23:
	s_nop 0
	s_sendmsg sendmsg(MSG_DEALLOC_VGPRS)
	s_endpgm
	.section	.rodata,"a",@progbits
	.p2align	6, 0x0
	.amdhsa_kernel _ZN9rocsparseL19gebsrmvn_2xn_kernelILj128ELj14ELj4EdEEvi20rocsparse_direction_NS_24const_host_device_scalarIT2_EEPKiS6_PKS3_S8_S4_PS3_21rocsparse_index_base_b
		.amdhsa_group_segment_fixed_size 0
		.amdhsa_private_segment_fixed_size 0
		.amdhsa_kernarg_size 72
		.amdhsa_user_sgpr_count 15
		.amdhsa_user_sgpr_dispatch_ptr 0
		.amdhsa_user_sgpr_queue_ptr 0
		.amdhsa_user_sgpr_kernarg_segment_ptr 1
		.amdhsa_user_sgpr_dispatch_id 0
		.amdhsa_user_sgpr_private_segment_size 0
		.amdhsa_wavefront_size32 1
		.amdhsa_uses_dynamic_stack 0
		.amdhsa_enable_private_segment 0
		.amdhsa_system_sgpr_workgroup_id_x 1
		.amdhsa_system_sgpr_workgroup_id_y 0
		.amdhsa_system_sgpr_workgroup_id_z 0
		.amdhsa_system_sgpr_workgroup_info 0
		.amdhsa_system_vgpr_workitem_id 0
		.amdhsa_next_free_vgpr 76
		.amdhsa_next_free_sgpr 16
		.amdhsa_reserve_vcc 1
		.amdhsa_float_round_mode_32 0
		.amdhsa_float_round_mode_16_64 0
		.amdhsa_float_denorm_mode_32 3
		.amdhsa_float_denorm_mode_16_64 3
		.amdhsa_dx10_clamp 1
		.amdhsa_ieee_mode 1
		.amdhsa_fp16_overflow 0
		.amdhsa_workgroup_processor_mode 1
		.amdhsa_memory_ordered 1
		.amdhsa_forward_progress 0
		.amdhsa_shared_vgpr_count 0
		.amdhsa_exception_fp_ieee_invalid_op 0
		.amdhsa_exception_fp_denorm_src 0
		.amdhsa_exception_fp_ieee_div_zero 0
		.amdhsa_exception_fp_ieee_overflow 0
		.amdhsa_exception_fp_ieee_underflow 0
		.amdhsa_exception_fp_ieee_inexact 0
		.amdhsa_exception_int_div_zero 0
	.end_amdhsa_kernel
	.section	.text._ZN9rocsparseL19gebsrmvn_2xn_kernelILj128ELj14ELj4EdEEvi20rocsparse_direction_NS_24const_host_device_scalarIT2_EEPKiS6_PKS3_S8_S4_PS3_21rocsparse_index_base_b,"axG",@progbits,_ZN9rocsparseL19gebsrmvn_2xn_kernelILj128ELj14ELj4EdEEvi20rocsparse_direction_NS_24const_host_device_scalarIT2_EEPKiS6_PKS3_S8_S4_PS3_21rocsparse_index_base_b,comdat
.Lfunc_end136:
	.size	_ZN9rocsparseL19gebsrmvn_2xn_kernelILj128ELj14ELj4EdEEvi20rocsparse_direction_NS_24const_host_device_scalarIT2_EEPKiS6_PKS3_S8_S4_PS3_21rocsparse_index_base_b, .Lfunc_end136-_ZN9rocsparseL19gebsrmvn_2xn_kernelILj128ELj14ELj4EdEEvi20rocsparse_direction_NS_24const_host_device_scalarIT2_EEPKiS6_PKS3_S8_S4_PS3_21rocsparse_index_base_b
                                        ; -- End function
	.section	.AMDGPU.csdata,"",@progbits
; Kernel info:
; codeLenInByte = 3560
; NumSgprs: 18
; NumVgprs: 76
; ScratchSize: 0
; MemoryBound: 1
; FloatMode: 240
; IeeeMode: 1
; LDSByteSize: 0 bytes/workgroup (compile time only)
; SGPRBlocks: 2
; VGPRBlocks: 9
; NumSGPRsForWavesPerEU: 18
; NumVGPRsForWavesPerEU: 76
; Occupancy: 16
; WaveLimiterHint : 1
; COMPUTE_PGM_RSRC2:SCRATCH_EN: 0
; COMPUTE_PGM_RSRC2:USER_SGPR: 15
; COMPUTE_PGM_RSRC2:TRAP_HANDLER: 0
; COMPUTE_PGM_RSRC2:TGID_X_EN: 1
; COMPUTE_PGM_RSRC2:TGID_Y_EN: 0
; COMPUTE_PGM_RSRC2:TGID_Z_EN: 0
; COMPUTE_PGM_RSRC2:TIDIG_COMP_CNT: 0
	.section	.text._ZN9rocsparseL19gebsrmvn_2xn_kernelILj128ELj14ELj8EdEEvi20rocsparse_direction_NS_24const_host_device_scalarIT2_EEPKiS6_PKS3_S8_S4_PS3_21rocsparse_index_base_b,"axG",@progbits,_ZN9rocsparseL19gebsrmvn_2xn_kernelILj128ELj14ELj8EdEEvi20rocsparse_direction_NS_24const_host_device_scalarIT2_EEPKiS6_PKS3_S8_S4_PS3_21rocsparse_index_base_b,comdat
	.globl	_ZN9rocsparseL19gebsrmvn_2xn_kernelILj128ELj14ELj8EdEEvi20rocsparse_direction_NS_24const_host_device_scalarIT2_EEPKiS6_PKS3_S8_S4_PS3_21rocsparse_index_base_b ; -- Begin function _ZN9rocsparseL19gebsrmvn_2xn_kernelILj128ELj14ELj8EdEEvi20rocsparse_direction_NS_24const_host_device_scalarIT2_EEPKiS6_PKS3_S8_S4_PS3_21rocsparse_index_base_b
	.p2align	8
	.type	_ZN9rocsparseL19gebsrmvn_2xn_kernelILj128ELj14ELj8EdEEvi20rocsparse_direction_NS_24const_host_device_scalarIT2_EEPKiS6_PKS3_S8_S4_PS3_21rocsparse_index_base_b,@function
_ZN9rocsparseL19gebsrmvn_2xn_kernelILj128ELj14ELj8EdEEvi20rocsparse_direction_NS_24const_host_device_scalarIT2_EEPKiS6_PKS3_S8_S4_PS3_21rocsparse_index_base_b: ; @_ZN9rocsparseL19gebsrmvn_2xn_kernelILj128ELj14ELj8EdEEvi20rocsparse_direction_NS_24const_host_device_scalarIT2_EEPKiS6_PKS3_S8_S4_PS3_21rocsparse_index_base_b
; %bb.0:
	s_clause 0x2
	s_load_b64 s[12:13], s[0:1], 0x40
	s_load_b64 s[4:5], s[0:1], 0x8
	s_load_b64 s[2:3], s[0:1], 0x30
	s_waitcnt lgkmcnt(0)
	s_bitcmp1_b32 s13, 0
	v_dual_mov_b32 v1, s4 :: v_dual_mov_b32 v2, s5
	s_cselect_b32 s6, -1, 0
	s_delay_alu instid0(SALU_CYCLE_1)
	s_and_b32 vcc_lo, exec_lo, s6
	s_xor_b32 s6, s6, -1
	s_cbranch_vccnz .LBB137_2
; %bb.1:
	v_dual_mov_b32 v1, s4 :: v_dual_mov_b32 v2, s5
	flat_load_b64 v[1:2], v[1:2]
.LBB137_2:
	v_dual_mov_b32 v4, s3 :: v_dual_mov_b32 v3, s2
	s_and_not1_b32 vcc_lo, exec_lo, s6
	s_cbranch_vccnz .LBB137_4
; %bb.3:
	v_dual_mov_b32 v4, s3 :: v_dual_mov_b32 v3, s2
	flat_load_b64 v[3:4], v[3:4]
.LBB137_4:
	s_waitcnt vmcnt(0) lgkmcnt(0)
	v_cmp_neq_f64_e32 vcc_lo, 0, v[1:2]
	v_cmp_neq_f64_e64 s2, 1.0, v[3:4]
	s_delay_alu instid0(VALU_DEP_1) | instskip(NEXT) | instid1(SALU_CYCLE_1)
	s_or_b32 s2, vcc_lo, s2
	s_and_saveexec_b32 s3, s2
	s_cbranch_execz .LBB137_23
; %bb.5:
	s_load_b64 s[2:3], s[0:1], 0x0
	v_lshrrev_b32_e32 v5, 3, v0
	s_delay_alu instid0(VALU_DEP_1) | instskip(SKIP_1) | instid1(VALU_DEP_1)
	v_lshl_or_b32 v5, s15, 4, v5
	s_waitcnt lgkmcnt(0)
	v_cmp_gt_i32_e32 vcc_lo, s2, v5
	s_and_b32 exec_lo, exec_lo, vcc_lo
	s_cbranch_execz .LBB137_23
; %bb.6:
	s_load_b256 s[4:11], s[0:1], 0x10
	v_ashrrev_i32_e32 v6, 31, v5
	v_and_b32_e32 v0, 7, v0
	s_cmp_lg_u32 s3, 0
	s_delay_alu instid0(VALU_DEP_2) | instskip(SKIP_1) | instid1(VALU_DEP_1)
	v_lshlrev_b64 v[6:7], 2, v[5:6]
	s_waitcnt lgkmcnt(0)
	v_add_co_u32 v6, vcc_lo, s4, v6
	s_delay_alu instid0(VALU_DEP_2) | instskip(SKIP_4) | instid1(VALU_DEP_2)
	v_add_co_ci_u32_e32 v7, vcc_lo, s5, v7, vcc_lo
	global_load_b64 v[6:7], v[6:7], off
	s_waitcnt vmcnt(0)
	v_subrev_nc_u32_e32 v6, s12, v6
	v_subrev_nc_u32_e32 v17, s12, v7
	v_add_nc_u32_e32 v6, v6, v0
	s_delay_alu instid0(VALU_DEP_1)
	v_cmp_lt_i32_e64 s2, v6, v17
	s_cbranch_scc0 .LBB137_12
; %bb.7:
	v_mov_b32_e32 v8, 0
	v_mov_b32_e32 v9, 0
	s_delay_alu instid0(VALU_DEP_1)
	v_dual_mov_b32 v11, v9 :: v_dual_mov_b32 v10, v8
	s_and_saveexec_b32 s3, s2
	s_cbranch_execz .LBB137_11
; %bb.8:
	v_dual_mov_b32 v8, 0 :: v_dual_mov_b32 v15, v6
	v_dual_mov_b32 v9, 0 :: v_dual_mov_b32 v14, 0
	v_mad_u64_u32 v[12:13], null, v6, 28, 26
	s_mov_b32 s4, 0
	s_delay_alu instid0(VALU_DEP_2)
	v_dual_mov_b32 v11, v9 :: v_dual_mov_b32 v10, v8
.LBB137_9:                              ; =>This Inner Loop Header: Depth=1
	v_ashrrev_i32_e32 v16, 31, v15
	s_delay_alu instid0(VALU_DEP_3) | instskip(SKIP_1) | instid1(VALU_DEP_3)
	v_subrev_nc_u32_e32 v13, 26, v12
	v_mov_b32_e32 v75, v14
	v_lshlrev_b64 v[18:19], 2, v[15:16]
	v_add_nc_u32_e32 v15, 8, v15
	s_delay_alu instid0(VALU_DEP_2) | instskip(NEXT) | instid1(VALU_DEP_3)
	v_add_co_u32 v18, vcc_lo, s6, v18
	v_add_co_ci_u32_e32 v19, vcc_lo, s7, v19, vcc_lo
	global_load_b32 v7, v[18:19], off
	v_lshlrev_b64 v[18:19], 3, v[13:14]
	v_subrev_nc_u32_e32 v13, 22, v12
	s_delay_alu instid0(VALU_DEP_1) | instskip(NEXT) | instid1(VALU_DEP_3)
	v_lshlrev_b64 v[30:31], 3, v[13:14]
	v_add_co_u32 v22, vcc_lo, s8, v18
	s_delay_alu instid0(VALU_DEP_4)
	v_add_co_ci_u32_e32 v23, vcc_lo, s9, v19, vcc_lo
	s_clause 0x1
	global_load_b128 v[18:21], v[22:23], off offset:16
	global_load_b128 v[22:25], v[22:23], off
	s_waitcnt vmcnt(2)
	v_subrev_nc_u32_e32 v7, s12, v7
	s_delay_alu instid0(VALU_DEP_1) | instskip(NEXT) | instid1(VALU_DEP_1)
	v_mul_lo_u32 v74, v7, 14
	v_lshlrev_b64 v[26:27], 3, v[74:75]
	v_add_nc_u32_e32 v13, 2, v74
	s_delay_alu instid0(VALU_DEP_1) | instskip(NEXT) | instid1(VALU_DEP_3)
	v_lshlrev_b64 v[34:35], 3, v[13:14]
	v_add_co_u32 v26, vcc_lo, s10, v26
	s_delay_alu instid0(VALU_DEP_4)
	v_add_co_ci_u32_e32 v27, vcc_lo, s11, v27, vcc_lo
	v_add_co_u32 v30, vcc_lo, s8, v30
	v_add_co_ci_u32_e32 v31, vcc_lo, s9, v31, vcc_lo
	global_load_b128 v[26:29], v[26:27], off
	v_add_co_u32 v34, vcc_lo, s10, v34
	v_add_co_ci_u32_e32 v35, vcc_lo, s11, v35, vcc_lo
	global_load_b128 v[30:33], v[30:31], off
	v_subrev_nc_u32_e32 v13, 20, v12
	global_load_b128 v[34:37], v[34:35], off
	v_lshlrev_b64 v[38:39], 3, v[13:14]
	v_subrev_nc_u32_e32 v13, 18, v12
	s_delay_alu instid0(VALU_DEP_2) | instskip(NEXT) | instid1(VALU_DEP_3)
	v_add_co_u32 v38, vcc_lo, s8, v38
	v_add_co_ci_u32_e32 v39, vcc_lo, s9, v39, vcc_lo
	s_delay_alu instid0(VALU_DEP_3)
	v_lshlrev_b64 v[42:43], 3, v[13:14]
	v_add_nc_u32_e32 v13, 4, v74
	global_load_b128 v[38:41], v[38:39], off
	v_lshlrev_b64 v[44:45], 3, v[13:14]
	v_add_co_u32 v42, vcc_lo, s8, v42
	v_add_co_ci_u32_e32 v43, vcc_lo, s9, v43, vcc_lo
	v_add_nc_u32_e32 v13, -16, v12
	s_delay_alu instid0(VALU_DEP_4)
	v_add_co_u32 v46, vcc_lo, s10, v44
	v_add_co_ci_u32_e32 v47, vcc_lo, s11, v45, vcc_lo
	global_load_b128 v[42:45], v[42:43], off
	global_load_b128 v[46:49], v[46:47], off
	v_lshlrev_b64 v[50:51], 3, v[13:14]
	v_add_nc_u32_e32 v13, -14, v12
	s_delay_alu instid0(VALU_DEP_2) | instskip(NEXT) | instid1(VALU_DEP_3)
	v_add_co_u32 v50, vcc_lo, s8, v50
	v_add_co_ci_u32_e32 v51, vcc_lo, s9, v51, vcc_lo
	s_delay_alu instid0(VALU_DEP_3)
	v_lshlrev_b64 v[54:55], 3, v[13:14]
	v_add_nc_u32_e32 v13, 6, v74
	global_load_b128 v[50:53], v[50:51], off
	v_lshlrev_b64 v[56:57], 3, v[13:14]
	v_add_co_u32 v54, vcc_lo, s8, v54
	v_add_co_ci_u32_e32 v55, vcc_lo, s9, v55, vcc_lo
	v_add_nc_u32_e32 v13, -12, v12
	s_delay_alu instid0(VALU_DEP_4)
	v_add_co_u32 v58, vcc_lo, s10, v56
	v_add_co_ci_u32_e32 v59, vcc_lo, s11, v57, vcc_lo
	global_load_b128 v[54:57], v[54:55], off
	global_load_b128 v[58:61], v[58:59], off
	v_lshlrev_b64 v[62:63], 3, v[13:14]
	v_add_nc_u32_e32 v13, -10, v12
	s_delay_alu instid0(VALU_DEP_2) | instskip(NEXT) | instid1(VALU_DEP_3)
	v_add_co_u32 v62, vcc_lo, s8, v62
	v_add_co_ci_u32_e32 v63, vcc_lo, s9, v63, vcc_lo
	s_delay_alu instid0(VALU_DEP_3)
	v_lshlrev_b64 v[66:67], 3, v[13:14]
	v_add_nc_u32_e32 v13, 8, v74
	global_load_b128 v[62:65], v[62:63], off
	v_lshlrev_b64 v[68:69], 3, v[13:14]
	v_add_co_u32 v66, vcc_lo, s8, v66
	v_add_co_ci_u32_e32 v67, vcc_lo, s9, v67, vcc_lo
	v_add_nc_u32_e32 v13, -8, v12
	s_delay_alu instid0(VALU_DEP_4)
	v_add_co_u32 v70, vcc_lo, s10, v68
	v_add_co_ci_u32_e32 v71, vcc_lo, s11, v69, vcc_lo
	global_load_b128 v[66:69], v[66:67], off
	global_load_b128 v[70:73], v[70:71], off
	s_waitcnt vmcnt(11)
	v_fma_f64 v[22:23], v[22:23], v[26:27], v[8:9]
	v_fma_f64 v[24:25], v[24:25], v[26:27], v[10:11]
	v_lshlrev_b64 v[7:8], 3, v[13:14]
	v_add_nc_u32_e32 v13, -6, v12
	s_delay_alu instid0(VALU_DEP_2) | instskip(NEXT) | instid1(VALU_DEP_3)
	v_add_co_u32 v7, vcc_lo, s8, v7
	v_add_co_ci_u32_e32 v8, vcc_lo, s9, v8, vcc_lo
	global_load_b128 v[7:10], v[7:8], off
	v_fma_f64 v[26:27], v[18:19], v[28:29], v[22:23]
	v_fma_f64 v[28:29], v[20:21], v[28:29], v[24:25]
	v_lshlrev_b64 v[18:19], 3, v[13:14]
	v_add_nc_u32_e32 v13, 10, v74
	s_delay_alu instid0(VALU_DEP_1) | instskip(NEXT) | instid1(VALU_DEP_3)
	v_lshlrev_b64 v[20:21], 3, v[13:14]
	v_add_co_u32 v18, vcc_lo, s8, v18
	s_delay_alu instid0(VALU_DEP_4) | instskip(SKIP_1) | instid1(VALU_DEP_4)
	v_add_co_ci_u32_e32 v19, vcc_lo, s9, v19, vcc_lo
	v_add_nc_u32_e32 v13, -4, v12
	v_add_co_u32 v22, vcc_lo, s10, v20
	v_add_co_ci_u32_e32 v23, vcc_lo, s11, v21, vcc_lo
	global_load_b128 v[18:21], v[18:19], off
	global_load_b128 v[22:25], v[22:23], off
	s_waitcnt vmcnt(12)
	v_fma_f64 v[30:31], v[30:31], v[34:35], v[26:27]
	v_fma_f64 v[32:33], v[32:33], v[34:35], v[28:29]
	v_lshlrev_b64 v[26:27], 3, v[13:14]
	v_add_nc_u32_e32 v13, -2, v12
	s_delay_alu instid0(VALU_DEP_2) | instskip(NEXT) | instid1(VALU_DEP_3)
	v_add_co_u32 v26, vcc_lo, s8, v26
	v_add_co_ci_u32_e32 v27, vcc_lo, s9, v27, vcc_lo
	global_load_b128 v[26:29], v[26:27], off
	s_waitcnt vmcnt(12)
	v_fma_f64 v[38:39], v[38:39], v[36:37], v[30:31]
	v_fma_f64 v[40:41], v[40:41], v[36:37], v[32:33]
	v_lshlrev_b64 v[30:31], 3, v[13:14]
	v_add_nc_u32_e32 v13, 12, v74
	s_delay_alu instid0(VALU_DEP_1) | instskip(NEXT) | instid1(VALU_DEP_3)
	v_lshlrev_b64 v[32:33], 3, v[13:14]
	v_add_co_u32 v30, vcc_lo, s8, v30
	s_delay_alu instid0(VALU_DEP_4) | instskip(SKIP_1) | instid1(VALU_DEP_4)
	v_add_co_ci_u32_e32 v31, vcc_lo, s9, v31, vcc_lo
	v_mov_b32_e32 v13, v14
	v_add_co_u32 v34, vcc_lo, s10, v32
	v_add_co_ci_u32_e32 v35, vcc_lo, s11, v33, vcc_lo
	global_load_b128 v[30:33], v[30:31], off
	global_load_b128 v[34:37], v[34:35], off
	s_waitcnt vmcnt(12)
	v_fma_f64 v[42:43], v[42:43], v[46:47], v[38:39]
	v_fma_f64 v[44:45], v[44:45], v[46:47], v[40:41]
	v_lshlrev_b64 v[38:39], 3, v[12:13]
	v_add_nc_u32_e32 v12, 0xe0, v12
	s_delay_alu instid0(VALU_DEP_2) | instskip(NEXT) | instid1(VALU_DEP_3)
	v_add_co_u32 v38, vcc_lo, s8, v38
	v_add_co_ci_u32_e32 v39, vcc_lo, s9, v39, vcc_lo
	v_cmp_ge_i32_e32 vcc_lo, v15, v17
	global_load_b128 v[38:41], v[38:39], off
	s_or_b32 s4, vcc_lo, s4
	s_waitcnt vmcnt(12)
	v_fma_f64 v[42:43], v[50:51], v[48:49], v[42:43]
	v_fma_f64 v[44:45], v[52:53], v[48:49], v[44:45]
	s_waitcnt vmcnt(10)
	s_delay_alu instid0(VALU_DEP_2) | instskip(NEXT) | instid1(VALU_DEP_2)
	v_fma_f64 v[42:43], v[54:55], v[58:59], v[42:43]
	v_fma_f64 v[44:45], v[56:57], v[58:59], v[44:45]
	s_waitcnt vmcnt(9)
	s_delay_alu instid0(VALU_DEP_2) | instskip(NEXT) | instid1(VALU_DEP_2)
	;; [unrolled: 4-line block ×8, first 2 shown]
	v_fma_f64 v[8:9], v[38:39], v[36:37], v[7:8]
	v_fma_f64 v[10:11], v[40:41], v[36:37], v[10:11]
	s_and_not1_b32 exec_lo, exec_lo, s4
	s_cbranch_execnz .LBB137_9
; %bb.10:
	s_or_b32 exec_lo, exec_lo, s4
.LBB137_11:
	s_delay_alu instid0(SALU_CYCLE_1)
	s_or_b32 exec_lo, exec_lo, s3
	s_cbranch_execz .LBB137_13
	s_branch .LBB137_18
.LBB137_12:
                                        ; implicit-def: $vgpr8_vgpr9
                                        ; implicit-def: $vgpr10_vgpr11
.LBB137_13:
	v_mov_b32_e32 v8, 0
	v_mov_b32_e32 v9, 0
	s_delay_alu instid0(VALU_DEP_1)
	v_dual_mov_b32 v11, v9 :: v_dual_mov_b32 v10, v8
	s_and_saveexec_b32 s3, s2
	s_cbranch_execz .LBB137_17
; %bb.14:
	v_mov_b32_e32 v8, 0
	v_dual_mov_b32 v9, 0 :: v_dual_mov_b32 v14, 0
	v_mad_u64_u32 v[12:13], null, v6, 28, 27
	s_mov_b32 s2, 0
	s_delay_alu instid0(VALU_DEP_2)
	v_dual_mov_b32 v11, v9 :: v_dual_mov_b32 v10, v8
.LBB137_15:                             ; =>This Inner Loop Header: Depth=1
	v_ashrrev_i32_e32 v7, 31, v6
	s_delay_alu instid0(VALU_DEP_3) | instskip(SKIP_1) | instid1(VALU_DEP_3)
	v_subrev_nc_u32_e32 v13, 27, v12
	v_mov_b32_e32 v47, v14
	v_lshlrev_b64 v[15:16], 2, v[6:7]
	v_add_nc_u32_e32 v6, 8, v6
	s_delay_alu instid0(VALU_DEP_4) | instskip(SKIP_1) | instid1(VALU_DEP_4)
	v_lshlrev_b64 v[18:19], 3, v[13:14]
	v_add_nc_u32_e32 v13, -12, v12
	v_add_co_u32 v15, vcc_lo, s6, v15
	v_add_co_ci_u32_e32 v16, vcc_lo, s7, v16, vcc_lo
	s_delay_alu instid0(VALU_DEP_4)
	v_add_co_u32 v22, vcc_lo, s8, v18
	v_add_co_ci_u32_e32 v23, vcc_lo, s9, v19, vcc_lo
	global_load_b32 v7, v[15:16], off
	v_dual_mov_b32 v16, v14 :: v_dual_add_nc_u32 v15, -13, v12
	s_clause 0x1
	global_load_b128 v[18:21], v[22:23], off offset:16
	global_load_b128 v[22:25], v[22:23], off
	v_lshlrev_b64 v[30:31], 3, v[13:14]
	v_lshlrev_b64 v[15:16], 3, v[15:16]
	s_delay_alu instid0(VALU_DEP_1) | instskip(NEXT) | instid1(VALU_DEP_2)
	v_add_co_u32 v15, vcc_lo, s8, v15
	v_add_co_ci_u32_e32 v16, vcc_lo, s9, v16, vcc_lo
	global_load_b64 v[15:16], v[15:16], off
	s_waitcnt vmcnt(3)
	v_subrev_nc_u32_e32 v7, s12, v7
	s_delay_alu instid0(VALU_DEP_1) | instskip(NEXT) | instid1(VALU_DEP_1)
	v_mul_lo_u32 v46, v7, 14
	v_lshlrev_b64 v[26:27], 3, v[46:47]
	v_add_nc_u32_e32 v13, 2, v46
	s_delay_alu instid0(VALU_DEP_2) | instskip(NEXT) | instid1(VALU_DEP_3)
	v_add_co_u32 v26, vcc_lo, s10, v26
	v_add_co_ci_u32_e32 v27, vcc_lo, s11, v27, vcc_lo
	v_add_co_u32 v30, vcc_lo, s8, v30
	v_add_co_ci_u32_e32 v31, vcc_lo, s9, v31, vcc_lo
	global_load_b128 v[26:29], v[26:27], off
	global_load_b64 v[47:48], v[30:31], off
	v_lshlrev_b64 v[30:31], 3, v[13:14]
	v_add_nc_u32_e32 v13, -11, v12
	s_delay_alu instid0(VALU_DEP_1) | instskip(NEXT) | instid1(VALU_DEP_3)
	v_lshlrev_b64 v[32:33], 3, v[13:14]
	v_add_co_u32 v30, vcc_lo, s10, v30
	s_delay_alu instid0(VALU_DEP_4) | instskip(SKIP_1) | instid1(VALU_DEP_4)
	v_add_co_ci_u32_e32 v31, vcc_lo, s11, v31, vcc_lo
	v_add_nc_u32_e32 v13, -10, v12
	v_add_co_u32 v34, vcc_lo, s8, v32
	v_add_co_ci_u32_e32 v35, vcc_lo, s9, v33, vcc_lo
	global_load_b128 v[30:33], v[30:31], off
	global_load_b64 v[49:50], v[34:35], off
	v_lshlrev_b64 v[34:35], 3, v[13:14]
	v_subrev_nc_u32_e32 v13, 23, v12
	s_delay_alu instid0(VALU_DEP_2) | instskip(NEXT) | instid1(VALU_DEP_3)
	v_add_co_u32 v34, vcc_lo, s8, v34
	v_add_co_ci_u32_e32 v35, vcc_lo, s9, v35, vcc_lo
	global_load_b64 v[51:52], v[34:35], off
	v_lshlrev_b64 v[34:35], 3, v[13:14]
	v_add_nc_u32_e32 v13, 4, v46
	s_delay_alu instid0(VALU_DEP_1) | instskip(SKIP_1) | instid1(VALU_DEP_4)
	v_lshlrev_b64 v[36:37], 3, v[13:14]
	v_add_nc_u32_e32 v13, -9, v12
	v_add_co_u32 v34, vcc_lo, s8, v34
	v_add_co_ci_u32_e32 v35, vcc_lo, s9, v35, vcc_lo
	s_delay_alu instid0(VALU_DEP_3) | instskip(SKIP_3) | instid1(VALU_DEP_4)
	v_lshlrev_b64 v[38:39], 3, v[13:14]
	v_add_co_u32 v36, vcc_lo, s10, v36
	v_add_co_ci_u32_e32 v37, vcc_lo, s11, v37, vcc_lo
	v_subrev_nc_u32_e32 v13, 22, v12
	v_add_co_u32 v38, vcc_lo, s8, v38
	v_add_co_ci_u32_e32 v39, vcc_lo, s9, v39, vcc_lo
	global_load_b64 v[53:54], v[34:35], off
	global_load_b128 v[34:37], v[36:37], off
	global_load_b64 v[55:56], v[38:39], off
	v_lshlrev_b64 v[38:39], 3, v[13:14]
	v_add_nc_u32_e32 v13, -8, v12
	s_delay_alu instid0(VALU_DEP_1) | instskip(NEXT) | instid1(VALU_DEP_3)
	v_lshlrev_b64 v[40:41], 3, v[13:14]
	v_add_co_u32 v38, vcc_lo, s8, v38
	s_delay_alu instid0(VALU_DEP_4) | instskip(SKIP_1) | instid1(VALU_DEP_4)
	v_add_co_ci_u32_e32 v39, vcc_lo, s9, v39, vcc_lo
	v_subrev_nc_u32_e32 v13, 21, v12
	v_add_co_u32 v40, vcc_lo, s8, v40
	v_add_co_ci_u32_e32 v41, vcc_lo, s9, v41, vcc_lo
	s_clause 0x1
	global_load_b64 v[57:58], v[38:39], off
	global_load_b64 v[59:60], v[40:41], off
	v_lshlrev_b64 v[38:39], 3, v[13:14]
	v_add_nc_u32_e32 v13, 6, v46
	s_delay_alu instid0(VALU_DEP_1) | instskip(SKIP_1) | instid1(VALU_DEP_4)
	v_lshlrev_b64 v[40:41], 3, v[13:14]
	v_add_nc_u32_e32 v13, -7, v12
	v_add_co_u32 v38, vcc_lo, s8, v38
	v_add_co_ci_u32_e32 v39, vcc_lo, s9, v39, vcc_lo
	s_delay_alu instid0(VALU_DEP_3) | instskip(SKIP_3) | instid1(VALU_DEP_4)
	v_lshlrev_b64 v[42:43], 3, v[13:14]
	v_add_co_u32 v40, vcc_lo, s10, v40
	v_add_co_ci_u32_e32 v41, vcc_lo, s11, v41, vcc_lo
	v_subrev_nc_u32_e32 v13, 20, v12
	v_add_co_u32 v42, vcc_lo, s8, v42
	v_add_co_ci_u32_e32 v43, vcc_lo, s9, v43, vcc_lo
	global_load_b64 v[61:62], v[38:39], off
	global_load_b128 v[38:41], v[40:41], off
	global_load_b64 v[63:64], v[42:43], off
	v_lshlrev_b64 v[42:43], 3, v[13:14]
	v_add_nc_u32_e32 v13, -6, v12
	s_delay_alu instid0(VALU_DEP_1) | instskip(NEXT) | instid1(VALU_DEP_3)
	v_lshlrev_b64 v[44:45], 3, v[13:14]
	v_add_co_u32 v42, vcc_lo, s8, v42
	s_delay_alu instid0(VALU_DEP_4) | instskip(SKIP_1) | instid1(VALU_DEP_4)
	v_add_co_ci_u32_e32 v43, vcc_lo, s9, v43, vcc_lo
	v_subrev_nc_u32_e32 v13, 19, v12
	v_add_co_u32 v44, vcc_lo, s8, v44
	v_add_co_ci_u32_e32 v45, vcc_lo, s9, v45, vcc_lo
	s_clause 0x1
	global_load_b64 v[65:66], v[42:43], off
	global_load_b64 v[67:68], v[44:45], off
	v_lshlrev_b64 v[42:43], 3, v[13:14]
	v_add_nc_u32_e32 v13, 8, v46
	s_delay_alu instid0(VALU_DEP_1) | instskip(SKIP_1) | instid1(VALU_DEP_4)
	v_lshlrev_b64 v[44:45], 3, v[13:14]
	v_add_nc_u32_e32 v13, -5, v12
	v_add_co_u32 v42, vcc_lo, s8, v42
	v_add_co_ci_u32_e32 v43, vcc_lo, s9, v43, vcc_lo
	s_delay_alu instid0(VALU_DEP_3) | instskip(SKIP_3) | instid1(VALU_DEP_4)
	v_lshlrev_b64 v[69:70], 3, v[13:14]
	v_add_co_u32 v44, vcc_lo, s10, v44
	v_add_co_ci_u32_e32 v45, vcc_lo, s11, v45, vcc_lo
	v_subrev_nc_u32_e32 v13, 18, v12
	v_add_co_u32 v69, vcc_lo, s8, v69
	v_add_co_ci_u32_e32 v70, vcc_lo, s9, v70, vcc_lo
	global_load_b64 v[71:72], v[42:43], off
	global_load_b128 v[42:45], v[44:45], off
	global_load_b64 v[69:70], v[69:70], off
	s_waitcnt vmcnt(17)
	v_fma_f64 v[7:8], v[22:23], v[26:27], v[8:9]
	v_fma_f64 v[9:10], v[15:16], v[26:27], v[10:11]
	v_lshlrev_b64 v[15:16], 3, v[13:14]
	v_add_nc_u32_e32 v13, -4, v12
	s_delay_alu instid0(VALU_DEP_1) | instskip(NEXT) | instid1(VALU_DEP_3)
	v_lshlrev_b64 v[22:23], 3, v[13:14]
	v_add_co_u32 v15, vcc_lo, s8, v15
	s_delay_alu instid0(VALU_DEP_4) | instskip(SKIP_1) | instid1(VALU_DEP_4)
	v_add_co_ci_u32_e32 v16, vcc_lo, s9, v16, vcc_lo
	v_subrev_nc_u32_e32 v13, 17, v12
	v_add_co_u32 v22, vcc_lo, s8, v22
	v_add_co_ci_u32_e32 v23, vcc_lo, s9, v23, vcc_lo
	s_clause 0x1
	global_load_b64 v[15:16], v[15:16], off
	global_load_b64 v[22:23], v[22:23], off
	v_lshlrev_b64 v[26:27], 3, v[13:14]
	v_add_nc_u32_e32 v13, 10, v46
	v_fma_f64 v[24:25], v[24:25], v[28:29], v[7:8]
	s_waitcnt vmcnt(18)
	v_fma_f64 v[28:29], v[47:48], v[28:29], v[9:10]
	s_delay_alu instid0(VALU_DEP_3) | instskip(SKIP_3) | instid1(VALU_DEP_3)
	v_lshlrev_b64 v[7:8], 3, v[13:14]
	v_add_nc_u32_e32 v13, -3, v12
	v_add_co_u32 v9, vcc_lo, s8, v26
	v_add_co_ci_u32_e32 v10, vcc_lo, s9, v27, vcc_lo
	v_lshlrev_b64 v[26:27], 3, v[13:14]
	v_add_co_u32 v7, vcc_lo, s10, v7
	v_add_co_ci_u32_e32 v8, vcc_lo, s11, v8, vcc_lo
	v_add_nc_u32_e32 v13, -16, v12
	s_delay_alu instid0(VALU_DEP_4)
	v_add_co_u32 v26, vcc_lo, s8, v26
	v_add_co_ci_u32_e32 v27, vcc_lo, s9, v27, vcc_lo
	global_load_b64 v[47:48], v[9:10], off
	global_load_b128 v[7:10], v[7:8], off
	global_load_b64 v[26:27], v[26:27], off
	s_waitcnt vmcnt(20)
	v_fma_f64 v[18:19], v[18:19], v[30:31], v[24:25]
	s_waitcnt vmcnt(19)
	v_fma_f64 v[24:25], v[49:50], v[30:31], v[28:29]
	v_lshlrev_b64 v[28:29], 3, v[13:14]
	v_add_nc_u32_e32 v13, -2, v12
	s_delay_alu instid0(VALU_DEP_1) | instskip(NEXT) | instid1(VALU_DEP_3)
	v_lshlrev_b64 v[30:31], 3, v[13:14]
	v_add_co_u32 v28, vcc_lo, s8, v28
	s_delay_alu instid0(VALU_DEP_4) | instskip(SKIP_1) | instid1(VALU_DEP_4)
	v_add_co_ci_u32_e32 v29, vcc_lo, s9, v29, vcc_lo
	v_add_nc_u32_e32 v13, -15, v12
	v_add_co_u32 v30, vcc_lo, s8, v30
	v_add_co_ci_u32_e32 v31, vcc_lo, s9, v31, vcc_lo
	s_clause 0x1
	global_load_b64 v[28:29], v[28:29], off
	global_load_b64 v[30:31], v[30:31], off
	v_lshlrev_b64 v[49:50], 3, v[13:14]
	v_add_nc_u32_e32 v13, 12, v46
	v_fma_f64 v[73:74], v[20:21], v[32:33], v[18:19]
	s_waitcnt vmcnt(20)
	v_fma_f64 v[24:25], v[51:52], v[32:33], v[24:25]
	s_delay_alu instid0(VALU_DEP_3) | instskip(SKIP_3) | instid1(VALU_DEP_3)
	v_lshlrev_b64 v[18:19], 3, v[13:14]
	v_add_nc_u32_e32 v13, -1, v12
	v_add_co_u32 v20, vcc_lo, s8, v49
	v_add_co_ci_u32_e32 v21, vcc_lo, s9, v50, vcc_lo
	v_lshlrev_b64 v[32:33], 3, v[13:14]
	v_add_co_u32 v18, vcc_lo, s10, v18
	v_add_co_ci_u32_e32 v19, vcc_lo, s11, v19, vcc_lo
	v_mov_b32_e32 v13, v14
	s_delay_alu instid0(VALU_DEP_4)
	v_add_co_u32 v32, vcc_lo, s8, v32
	v_add_co_ci_u32_e32 v33, vcc_lo, s9, v33, vcc_lo
	global_load_b64 v[49:50], v[20:21], off
	global_load_b128 v[18:21], v[18:19], off
	global_load_b64 v[32:33], v[32:33], off
	s_waitcnt vmcnt(21)
	v_fma_f64 v[51:52], v[53:54], v[34:35], v[73:74]
	s_waitcnt vmcnt(20)
	v_fma_f64 v[24:25], v[55:56], v[34:35], v[24:25]
	v_lshlrev_b64 v[34:35], 3, v[12:13]
	v_add_nc_u32_e32 v13, -14, v12
	v_add_nc_u32_e32 v12, 0xe0, v12
	s_delay_alu instid0(VALU_DEP_2) | instskip(NEXT) | instid1(VALU_DEP_4)
	v_lshlrev_b64 v[53:54], 3, v[13:14]
	v_add_co_u32 v34, vcc_lo, s8, v34
	v_add_co_ci_u32_e32 v35, vcc_lo, s9, v35, vcc_lo
	s_delay_alu instid0(VALU_DEP_3) | instskip(NEXT) | instid1(VALU_DEP_4)
	v_add_co_u32 v53, vcc_lo, s8, v53
	v_add_co_ci_u32_e32 v54, vcc_lo, s9, v54, vcc_lo
	s_clause 0x1
	global_load_b64 v[53:54], v[53:54], off
	global_load_b64 v[34:35], v[34:35], off
	v_cmp_ge_i32_e32 vcc_lo, v6, v17
	s_or_b32 s2, vcc_lo, s2
	s_waitcnt vmcnt(21)
	v_fma_f64 v[51:52], v[57:58], v[36:37], v[51:52]
	s_waitcnt vmcnt(20)
	v_fma_f64 v[24:25], v[59:60], v[36:37], v[24:25]
	s_waitcnt vmcnt(18)
	s_delay_alu instid0(VALU_DEP_2) | instskip(SKIP_1) | instid1(VALU_DEP_2)
	v_fma_f64 v[36:37], v[61:62], v[38:39], v[51:52]
	s_waitcnt vmcnt(17)
	v_fma_f64 v[24:25], v[63:64], v[38:39], v[24:25]
	s_waitcnt vmcnt(16)
	s_delay_alu instid0(VALU_DEP_2) | instskip(SKIP_1) | instid1(VALU_DEP_2)
	v_fma_f64 v[36:37], v[65:66], v[40:41], v[36:37]
	s_waitcnt vmcnt(15)
	v_fma_f64 v[24:25], v[67:68], v[40:41], v[24:25]
	s_waitcnt vmcnt(13)
	s_delay_alu instid0(VALU_DEP_2) | instskip(SKIP_1) | instid1(VALU_DEP_2)
	v_fma_f64 v[36:37], v[71:72], v[42:43], v[36:37]
	s_waitcnt vmcnt(12)
	v_fma_f64 v[24:25], v[69:70], v[42:43], v[24:25]
	s_waitcnt vmcnt(11)
	s_delay_alu instid0(VALU_DEP_2) | instskip(SKIP_1) | instid1(VALU_DEP_2)
	v_fma_f64 v[15:16], v[15:16], v[44:45], v[36:37]
	s_waitcnt vmcnt(10)
	v_fma_f64 v[22:23], v[22:23], v[44:45], v[24:25]
	s_waitcnt vmcnt(8)
	s_delay_alu instid0(VALU_DEP_2) | instskip(SKIP_1) | instid1(VALU_DEP_2)
	v_fma_f64 v[15:16], v[47:48], v[7:8], v[15:16]
	s_waitcnt vmcnt(7)
	v_fma_f64 v[7:8], v[26:27], v[7:8], v[22:23]
	s_waitcnt vmcnt(6)
	s_delay_alu instid0(VALU_DEP_2) | instskip(SKIP_1) | instid1(VALU_DEP_2)
	v_fma_f64 v[15:16], v[28:29], v[9:10], v[15:16]
	s_waitcnt vmcnt(5)
	v_fma_f64 v[7:8], v[30:31], v[9:10], v[7:8]
	s_waitcnt vmcnt(3)
	s_delay_alu instid0(VALU_DEP_2) | instskip(SKIP_1) | instid1(VALU_DEP_2)
	v_fma_f64 v[9:10], v[49:50], v[18:19], v[15:16]
	s_waitcnt vmcnt(2)
	v_fma_f64 v[15:16], v[32:33], v[18:19], v[7:8]
	s_waitcnt vmcnt(1)
	s_delay_alu instid0(VALU_DEP_2) | instskip(SKIP_1) | instid1(VALU_DEP_2)
	v_fma_f64 v[8:9], v[53:54], v[20:21], v[9:10]
	s_waitcnt vmcnt(0)
	v_fma_f64 v[10:11], v[34:35], v[20:21], v[15:16]
	s_and_not1_b32 exec_lo, exec_lo, s2
	s_cbranch_execnz .LBB137_15
; %bb.16:
	s_or_b32 exec_lo, exec_lo, s2
.LBB137_17:
	s_delay_alu instid0(SALU_CYCLE_1)
	s_or_b32 exec_lo, exec_lo, s3
.LBB137_18:
	v_mbcnt_lo_u32_b32 v14, -1, 0
	s_delay_alu instid0(VALU_DEP_1) | instskip(NEXT) | instid1(VALU_DEP_1)
	v_xor_b32_e32 v6, 4, v14
	v_cmp_gt_i32_e32 vcc_lo, 32, v6
	v_cndmask_b32_e32 v6, v14, v6, vcc_lo
	s_delay_alu instid0(VALU_DEP_1)
	v_lshlrev_b32_e32 v13, 2, v6
	ds_bpermute_b32 v6, v13, v8
	ds_bpermute_b32 v7, v13, v9
	;; [unrolled: 1-line block ×4, first 2 shown]
	s_waitcnt lgkmcnt(2)
	v_add_f64 v[6:7], v[8:9], v[6:7]
	s_waitcnt lgkmcnt(0)
	v_add_f64 v[8:9], v[10:11], v[12:13]
	v_xor_b32_e32 v10, 2, v14
	s_delay_alu instid0(VALU_DEP_1) | instskip(SKIP_1) | instid1(VALU_DEP_1)
	v_cmp_gt_i32_e32 vcc_lo, 32, v10
	v_cndmask_b32_e32 v10, v14, v10, vcc_lo
	v_lshlrev_b32_e32 v13, 2, v10
	ds_bpermute_b32 v10, v13, v6
	ds_bpermute_b32 v11, v13, v7
	;; [unrolled: 1-line block ×4, first 2 shown]
	s_waitcnt lgkmcnt(2)
	v_add_f64 v[6:7], v[6:7], v[10:11]
	s_waitcnt lgkmcnt(0)
	v_add_f64 v[10:11], v[8:9], v[12:13]
	v_xor_b32_e32 v8, 1, v14
	s_delay_alu instid0(VALU_DEP_1) | instskip(SKIP_2) | instid1(VALU_DEP_2)
	v_cmp_gt_i32_e32 vcc_lo, 32, v8
	v_cndmask_b32_e32 v8, v14, v8, vcc_lo
	v_cmp_eq_u32_e32 vcc_lo, 7, v0
	v_lshlrev_b32_e32 v13, 2, v8
	ds_bpermute_b32 v8, v13, v6
	ds_bpermute_b32 v9, v13, v7
	;; [unrolled: 1-line block ×4, first 2 shown]
	s_and_b32 exec_lo, exec_lo, vcc_lo
	s_cbranch_execz .LBB137_23
; %bb.19:
	s_waitcnt lgkmcnt(2)
	v_add_f64 v[8:9], v[6:7], v[8:9]
	s_waitcnt lgkmcnt(0)
	v_add_f64 v[6:7], v[10:11], v[12:13]
	s_load_b64 s[0:1], s[0:1], 0x38
	s_mov_b32 s2, exec_lo
	v_cmpx_eq_f64_e32 0, v[3:4]
	s_xor_b32 s2, exec_lo, s2
	s_cbranch_execz .LBB137_21
; %bb.20:
	s_delay_alu instid0(VALU_DEP_3) | instskip(NEXT) | instid1(VALU_DEP_3)
	v_mul_f64 v[8:9], v[1:2], v[8:9]
	v_mul_f64 v[10:11], v[1:2], v[6:7]
	v_lshlrev_b32_e32 v0, 1, v5
                                        ; implicit-def: $vgpr5
                                        ; implicit-def: $vgpr3_vgpr4
                                        ; implicit-def: $vgpr6_vgpr7
	s_delay_alu instid0(VALU_DEP_1) | instskip(NEXT) | instid1(VALU_DEP_1)
	v_ashrrev_i32_e32 v1, 31, v0
	v_lshlrev_b64 v[0:1], 3, v[0:1]
	s_waitcnt lgkmcnt(0)
	s_delay_alu instid0(VALU_DEP_1) | instskip(NEXT) | instid1(VALU_DEP_2)
	v_add_co_u32 v0, vcc_lo, s0, v0
	v_add_co_ci_u32_e32 v1, vcc_lo, s1, v1, vcc_lo
	global_store_b128 v[0:1], v[8:11], off
                                        ; implicit-def: $vgpr1_vgpr2
                                        ; implicit-def: $vgpr8_vgpr9
.LBB137_21:
	s_and_not1_saveexec_b32 s2, s2
	s_cbranch_execz .LBB137_23
; %bb.22:
	v_lshlrev_b32_e32 v10, 1, v5
	s_delay_alu instid0(VALU_DEP_4) | instskip(NEXT) | instid1(VALU_DEP_4)
	v_mul_f64 v[8:9], v[1:2], v[8:9]
	v_mul_f64 v[5:6], v[1:2], v[6:7]
	s_delay_alu instid0(VALU_DEP_3) | instskip(NEXT) | instid1(VALU_DEP_1)
	v_ashrrev_i32_e32 v11, 31, v10
	v_lshlrev_b64 v[10:11], 3, v[10:11]
	s_waitcnt lgkmcnt(0)
	s_delay_alu instid0(VALU_DEP_1) | instskip(NEXT) | instid1(VALU_DEP_2)
	v_add_co_u32 v14, vcc_lo, s0, v10
	v_add_co_ci_u32_e32 v15, vcc_lo, s1, v11, vcc_lo
	global_load_b128 v[10:13], v[14:15], off
	s_waitcnt vmcnt(0)
	v_fma_f64 v[0:1], v[3:4], v[10:11], v[8:9]
	v_fma_f64 v[2:3], v[3:4], v[12:13], v[5:6]
	global_store_b128 v[14:15], v[0:3], off
.LBB137_23:
	s_nop 0
	s_sendmsg sendmsg(MSG_DEALLOC_VGPRS)
	s_endpgm
	.section	.rodata,"a",@progbits
	.p2align	6, 0x0
	.amdhsa_kernel _ZN9rocsparseL19gebsrmvn_2xn_kernelILj128ELj14ELj8EdEEvi20rocsparse_direction_NS_24const_host_device_scalarIT2_EEPKiS6_PKS3_S8_S4_PS3_21rocsparse_index_base_b
		.amdhsa_group_segment_fixed_size 0
		.amdhsa_private_segment_fixed_size 0
		.amdhsa_kernarg_size 72
		.amdhsa_user_sgpr_count 15
		.amdhsa_user_sgpr_dispatch_ptr 0
		.amdhsa_user_sgpr_queue_ptr 0
		.amdhsa_user_sgpr_kernarg_segment_ptr 1
		.amdhsa_user_sgpr_dispatch_id 0
		.amdhsa_user_sgpr_private_segment_size 0
		.amdhsa_wavefront_size32 1
		.amdhsa_uses_dynamic_stack 0
		.amdhsa_enable_private_segment 0
		.amdhsa_system_sgpr_workgroup_id_x 1
		.amdhsa_system_sgpr_workgroup_id_y 0
		.amdhsa_system_sgpr_workgroup_id_z 0
		.amdhsa_system_sgpr_workgroup_info 0
		.amdhsa_system_vgpr_workitem_id 0
		.amdhsa_next_free_vgpr 76
		.amdhsa_next_free_sgpr 16
		.amdhsa_reserve_vcc 1
		.amdhsa_float_round_mode_32 0
		.amdhsa_float_round_mode_16_64 0
		.amdhsa_float_denorm_mode_32 3
		.amdhsa_float_denorm_mode_16_64 3
		.amdhsa_dx10_clamp 1
		.amdhsa_ieee_mode 1
		.amdhsa_fp16_overflow 0
		.amdhsa_workgroup_processor_mode 1
		.amdhsa_memory_ordered 1
		.amdhsa_forward_progress 0
		.amdhsa_shared_vgpr_count 0
		.amdhsa_exception_fp_ieee_invalid_op 0
		.amdhsa_exception_fp_denorm_src 0
		.amdhsa_exception_fp_ieee_div_zero 0
		.amdhsa_exception_fp_ieee_overflow 0
		.amdhsa_exception_fp_ieee_underflow 0
		.amdhsa_exception_fp_ieee_inexact 0
		.amdhsa_exception_int_div_zero 0
	.end_amdhsa_kernel
	.section	.text._ZN9rocsparseL19gebsrmvn_2xn_kernelILj128ELj14ELj8EdEEvi20rocsparse_direction_NS_24const_host_device_scalarIT2_EEPKiS6_PKS3_S8_S4_PS3_21rocsparse_index_base_b,"axG",@progbits,_ZN9rocsparseL19gebsrmvn_2xn_kernelILj128ELj14ELj8EdEEvi20rocsparse_direction_NS_24const_host_device_scalarIT2_EEPKiS6_PKS3_S8_S4_PS3_21rocsparse_index_base_b,comdat
.Lfunc_end137:
	.size	_ZN9rocsparseL19gebsrmvn_2xn_kernelILj128ELj14ELj8EdEEvi20rocsparse_direction_NS_24const_host_device_scalarIT2_EEPKiS6_PKS3_S8_S4_PS3_21rocsparse_index_base_b, .Lfunc_end137-_ZN9rocsparseL19gebsrmvn_2xn_kernelILj128ELj14ELj8EdEEvi20rocsparse_direction_NS_24const_host_device_scalarIT2_EEPKiS6_PKS3_S8_S4_PS3_21rocsparse_index_base_b
                                        ; -- End function
	.section	.AMDGPU.csdata,"",@progbits
; Kernel info:
; codeLenInByte = 3636
; NumSgprs: 18
; NumVgprs: 76
; ScratchSize: 0
; MemoryBound: 1
; FloatMode: 240
; IeeeMode: 1
; LDSByteSize: 0 bytes/workgroup (compile time only)
; SGPRBlocks: 2
; VGPRBlocks: 9
; NumSGPRsForWavesPerEU: 18
; NumVGPRsForWavesPerEU: 76
; Occupancy: 16
; WaveLimiterHint : 1
; COMPUTE_PGM_RSRC2:SCRATCH_EN: 0
; COMPUTE_PGM_RSRC2:USER_SGPR: 15
; COMPUTE_PGM_RSRC2:TRAP_HANDLER: 0
; COMPUTE_PGM_RSRC2:TGID_X_EN: 1
; COMPUTE_PGM_RSRC2:TGID_Y_EN: 0
; COMPUTE_PGM_RSRC2:TGID_Z_EN: 0
; COMPUTE_PGM_RSRC2:TIDIG_COMP_CNT: 0
	.section	.text._ZN9rocsparseL19gebsrmvn_2xn_kernelILj128ELj14ELj16EdEEvi20rocsparse_direction_NS_24const_host_device_scalarIT2_EEPKiS6_PKS3_S8_S4_PS3_21rocsparse_index_base_b,"axG",@progbits,_ZN9rocsparseL19gebsrmvn_2xn_kernelILj128ELj14ELj16EdEEvi20rocsparse_direction_NS_24const_host_device_scalarIT2_EEPKiS6_PKS3_S8_S4_PS3_21rocsparse_index_base_b,comdat
	.globl	_ZN9rocsparseL19gebsrmvn_2xn_kernelILj128ELj14ELj16EdEEvi20rocsparse_direction_NS_24const_host_device_scalarIT2_EEPKiS6_PKS3_S8_S4_PS3_21rocsparse_index_base_b ; -- Begin function _ZN9rocsparseL19gebsrmvn_2xn_kernelILj128ELj14ELj16EdEEvi20rocsparse_direction_NS_24const_host_device_scalarIT2_EEPKiS6_PKS3_S8_S4_PS3_21rocsparse_index_base_b
	.p2align	8
	.type	_ZN9rocsparseL19gebsrmvn_2xn_kernelILj128ELj14ELj16EdEEvi20rocsparse_direction_NS_24const_host_device_scalarIT2_EEPKiS6_PKS3_S8_S4_PS3_21rocsparse_index_base_b,@function
_ZN9rocsparseL19gebsrmvn_2xn_kernelILj128ELj14ELj16EdEEvi20rocsparse_direction_NS_24const_host_device_scalarIT2_EEPKiS6_PKS3_S8_S4_PS3_21rocsparse_index_base_b: ; @_ZN9rocsparseL19gebsrmvn_2xn_kernelILj128ELj14ELj16EdEEvi20rocsparse_direction_NS_24const_host_device_scalarIT2_EEPKiS6_PKS3_S8_S4_PS3_21rocsparse_index_base_b
; %bb.0:
	s_clause 0x2
	s_load_b64 s[12:13], s[0:1], 0x40
	s_load_b64 s[4:5], s[0:1], 0x8
	;; [unrolled: 1-line block ×3, first 2 shown]
	s_waitcnt lgkmcnt(0)
	s_bitcmp1_b32 s13, 0
	v_dual_mov_b32 v1, s4 :: v_dual_mov_b32 v2, s5
	s_cselect_b32 s6, -1, 0
	s_delay_alu instid0(SALU_CYCLE_1)
	s_and_b32 vcc_lo, exec_lo, s6
	s_xor_b32 s6, s6, -1
	s_cbranch_vccnz .LBB138_2
; %bb.1:
	v_dual_mov_b32 v1, s4 :: v_dual_mov_b32 v2, s5
	flat_load_b64 v[1:2], v[1:2]
.LBB138_2:
	v_dual_mov_b32 v4, s3 :: v_dual_mov_b32 v3, s2
	s_and_not1_b32 vcc_lo, exec_lo, s6
	s_cbranch_vccnz .LBB138_4
; %bb.3:
	v_dual_mov_b32 v4, s3 :: v_dual_mov_b32 v3, s2
	flat_load_b64 v[3:4], v[3:4]
.LBB138_4:
	s_waitcnt vmcnt(0) lgkmcnt(0)
	v_cmp_neq_f64_e32 vcc_lo, 0, v[1:2]
	v_cmp_neq_f64_e64 s2, 1.0, v[3:4]
	s_delay_alu instid0(VALU_DEP_1) | instskip(NEXT) | instid1(SALU_CYCLE_1)
	s_or_b32 s2, vcc_lo, s2
	s_and_saveexec_b32 s3, s2
	s_cbranch_execz .LBB138_23
; %bb.5:
	s_load_b64 s[2:3], s[0:1], 0x0
	v_lshrrev_b32_e32 v5, 4, v0
	s_delay_alu instid0(VALU_DEP_1) | instskip(SKIP_1) | instid1(VALU_DEP_1)
	v_lshl_or_b32 v5, s15, 3, v5
	s_waitcnt lgkmcnt(0)
	v_cmp_gt_i32_e32 vcc_lo, s2, v5
	s_and_b32 exec_lo, exec_lo, vcc_lo
	s_cbranch_execz .LBB138_23
; %bb.6:
	s_load_b256 s[4:11], s[0:1], 0x10
	v_ashrrev_i32_e32 v6, 31, v5
	v_and_b32_e32 v0, 15, v0
	s_cmp_lg_u32 s3, 0
	s_delay_alu instid0(VALU_DEP_2) | instskip(SKIP_1) | instid1(VALU_DEP_1)
	v_lshlrev_b64 v[6:7], 2, v[5:6]
	s_waitcnt lgkmcnt(0)
	v_add_co_u32 v6, vcc_lo, s4, v6
	s_delay_alu instid0(VALU_DEP_2) | instskip(SKIP_4) | instid1(VALU_DEP_2)
	v_add_co_ci_u32_e32 v7, vcc_lo, s5, v7, vcc_lo
	global_load_b64 v[6:7], v[6:7], off
	s_waitcnt vmcnt(0)
	v_subrev_nc_u32_e32 v6, s12, v6
	v_subrev_nc_u32_e32 v17, s12, v7
	v_add_nc_u32_e32 v6, v6, v0
	s_delay_alu instid0(VALU_DEP_1)
	v_cmp_lt_i32_e64 s2, v6, v17
	s_cbranch_scc0 .LBB138_12
; %bb.7:
	v_mov_b32_e32 v8, 0
	v_mov_b32_e32 v9, 0
	s_delay_alu instid0(VALU_DEP_1)
	v_dual_mov_b32 v11, v9 :: v_dual_mov_b32 v10, v8
	s_and_saveexec_b32 s3, s2
	s_cbranch_execz .LBB138_11
; %bb.8:
	v_dual_mov_b32 v8, 0 :: v_dual_mov_b32 v15, v6
	v_dual_mov_b32 v9, 0 :: v_dual_mov_b32 v14, 0
	v_mad_u64_u32 v[12:13], null, v6, 28, 26
	s_mov_b32 s4, 0
	s_delay_alu instid0(VALU_DEP_2)
	v_dual_mov_b32 v11, v9 :: v_dual_mov_b32 v10, v8
.LBB138_9:                              ; =>This Inner Loop Header: Depth=1
	v_ashrrev_i32_e32 v16, 31, v15
	s_delay_alu instid0(VALU_DEP_3) | instskip(SKIP_1) | instid1(VALU_DEP_3)
	v_subrev_nc_u32_e32 v13, 26, v12
	v_mov_b32_e32 v75, v14
	v_lshlrev_b64 v[18:19], 2, v[15:16]
	v_add_nc_u32_e32 v15, 16, v15
	s_delay_alu instid0(VALU_DEP_2) | instskip(NEXT) | instid1(VALU_DEP_3)
	v_add_co_u32 v18, vcc_lo, s6, v18
	v_add_co_ci_u32_e32 v19, vcc_lo, s7, v19, vcc_lo
	global_load_b32 v7, v[18:19], off
	v_lshlrev_b64 v[18:19], 3, v[13:14]
	v_subrev_nc_u32_e32 v13, 22, v12
	s_delay_alu instid0(VALU_DEP_1) | instskip(NEXT) | instid1(VALU_DEP_3)
	v_lshlrev_b64 v[30:31], 3, v[13:14]
	v_add_co_u32 v22, vcc_lo, s8, v18
	s_delay_alu instid0(VALU_DEP_4)
	v_add_co_ci_u32_e32 v23, vcc_lo, s9, v19, vcc_lo
	s_clause 0x1
	global_load_b128 v[18:21], v[22:23], off offset:16
	global_load_b128 v[22:25], v[22:23], off
	s_waitcnt vmcnt(2)
	v_subrev_nc_u32_e32 v7, s12, v7
	s_delay_alu instid0(VALU_DEP_1) | instskip(NEXT) | instid1(VALU_DEP_1)
	v_mul_lo_u32 v74, v7, 14
	v_lshlrev_b64 v[26:27], 3, v[74:75]
	v_add_nc_u32_e32 v13, 2, v74
	s_delay_alu instid0(VALU_DEP_1) | instskip(NEXT) | instid1(VALU_DEP_3)
	v_lshlrev_b64 v[34:35], 3, v[13:14]
	v_add_co_u32 v26, vcc_lo, s10, v26
	s_delay_alu instid0(VALU_DEP_4)
	v_add_co_ci_u32_e32 v27, vcc_lo, s11, v27, vcc_lo
	v_add_co_u32 v30, vcc_lo, s8, v30
	v_add_co_ci_u32_e32 v31, vcc_lo, s9, v31, vcc_lo
	global_load_b128 v[26:29], v[26:27], off
	v_add_co_u32 v34, vcc_lo, s10, v34
	v_add_co_ci_u32_e32 v35, vcc_lo, s11, v35, vcc_lo
	global_load_b128 v[30:33], v[30:31], off
	v_subrev_nc_u32_e32 v13, 20, v12
	global_load_b128 v[34:37], v[34:35], off
	v_lshlrev_b64 v[38:39], 3, v[13:14]
	v_subrev_nc_u32_e32 v13, 18, v12
	s_delay_alu instid0(VALU_DEP_2) | instskip(NEXT) | instid1(VALU_DEP_3)
	v_add_co_u32 v38, vcc_lo, s8, v38
	v_add_co_ci_u32_e32 v39, vcc_lo, s9, v39, vcc_lo
	s_delay_alu instid0(VALU_DEP_3)
	v_lshlrev_b64 v[42:43], 3, v[13:14]
	v_add_nc_u32_e32 v13, 4, v74
	global_load_b128 v[38:41], v[38:39], off
	v_lshlrev_b64 v[44:45], 3, v[13:14]
	v_add_co_u32 v42, vcc_lo, s8, v42
	v_add_co_ci_u32_e32 v43, vcc_lo, s9, v43, vcc_lo
	v_add_nc_u32_e32 v13, -16, v12
	s_delay_alu instid0(VALU_DEP_4)
	v_add_co_u32 v46, vcc_lo, s10, v44
	v_add_co_ci_u32_e32 v47, vcc_lo, s11, v45, vcc_lo
	global_load_b128 v[42:45], v[42:43], off
	global_load_b128 v[46:49], v[46:47], off
	v_lshlrev_b64 v[50:51], 3, v[13:14]
	v_add_nc_u32_e32 v13, -14, v12
	s_delay_alu instid0(VALU_DEP_2) | instskip(NEXT) | instid1(VALU_DEP_3)
	v_add_co_u32 v50, vcc_lo, s8, v50
	v_add_co_ci_u32_e32 v51, vcc_lo, s9, v51, vcc_lo
	s_delay_alu instid0(VALU_DEP_3)
	v_lshlrev_b64 v[54:55], 3, v[13:14]
	v_add_nc_u32_e32 v13, 6, v74
	global_load_b128 v[50:53], v[50:51], off
	v_lshlrev_b64 v[56:57], 3, v[13:14]
	v_add_co_u32 v54, vcc_lo, s8, v54
	v_add_co_ci_u32_e32 v55, vcc_lo, s9, v55, vcc_lo
	v_add_nc_u32_e32 v13, -12, v12
	s_delay_alu instid0(VALU_DEP_4)
	v_add_co_u32 v58, vcc_lo, s10, v56
	v_add_co_ci_u32_e32 v59, vcc_lo, s11, v57, vcc_lo
	global_load_b128 v[54:57], v[54:55], off
	global_load_b128 v[58:61], v[58:59], off
	v_lshlrev_b64 v[62:63], 3, v[13:14]
	v_add_nc_u32_e32 v13, -10, v12
	s_delay_alu instid0(VALU_DEP_2) | instskip(NEXT) | instid1(VALU_DEP_3)
	v_add_co_u32 v62, vcc_lo, s8, v62
	v_add_co_ci_u32_e32 v63, vcc_lo, s9, v63, vcc_lo
	s_delay_alu instid0(VALU_DEP_3)
	v_lshlrev_b64 v[66:67], 3, v[13:14]
	v_add_nc_u32_e32 v13, 8, v74
	global_load_b128 v[62:65], v[62:63], off
	v_lshlrev_b64 v[68:69], 3, v[13:14]
	v_add_co_u32 v66, vcc_lo, s8, v66
	v_add_co_ci_u32_e32 v67, vcc_lo, s9, v67, vcc_lo
	v_add_nc_u32_e32 v13, -8, v12
	s_delay_alu instid0(VALU_DEP_4)
	v_add_co_u32 v70, vcc_lo, s10, v68
	v_add_co_ci_u32_e32 v71, vcc_lo, s11, v69, vcc_lo
	global_load_b128 v[66:69], v[66:67], off
	global_load_b128 v[70:73], v[70:71], off
	s_waitcnt vmcnt(11)
	v_fma_f64 v[22:23], v[22:23], v[26:27], v[8:9]
	v_fma_f64 v[24:25], v[24:25], v[26:27], v[10:11]
	v_lshlrev_b64 v[7:8], 3, v[13:14]
	v_add_nc_u32_e32 v13, -6, v12
	s_delay_alu instid0(VALU_DEP_2) | instskip(NEXT) | instid1(VALU_DEP_3)
	v_add_co_u32 v7, vcc_lo, s8, v7
	v_add_co_ci_u32_e32 v8, vcc_lo, s9, v8, vcc_lo
	global_load_b128 v[7:10], v[7:8], off
	v_fma_f64 v[26:27], v[18:19], v[28:29], v[22:23]
	v_fma_f64 v[28:29], v[20:21], v[28:29], v[24:25]
	v_lshlrev_b64 v[18:19], 3, v[13:14]
	v_add_nc_u32_e32 v13, 10, v74
	s_delay_alu instid0(VALU_DEP_1) | instskip(NEXT) | instid1(VALU_DEP_3)
	v_lshlrev_b64 v[20:21], 3, v[13:14]
	v_add_co_u32 v18, vcc_lo, s8, v18
	s_delay_alu instid0(VALU_DEP_4) | instskip(SKIP_1) | instid1(VALU_DEP_4)
	v_add_co_ci_u32_e32 v19, vcc_lo, s9, v19, vcc_lo
	v_add_nc_u32_e32 v13, -4, v12
	v_add_co_u32 v22, vcc_lo, s10, v20
	v_add_co_ci_u32_e32 v23, vcc_lo, s11, v21, vcc_lo
	global_load_b128 v[18:21], v[18:19], off
	global_load_b128 v[22:25], v[22:23], off
	s_waitcnt vmcnt(12)
	v_fma_f64 v[30:31], v[30:31], v[34:35], v[26:27]
	v_fma_f64 v[32:33], v[32:33], v[34:35], v[28:29]
	v_lshlrev_b64 v[26:27], 3, v[13:14]
	v_add_nc_u32_e32 v13, -2, v12
	s_delay_alu instid0(VALU_DEP_2) | instskip(NEXT) | instid1(VALU_DEP_3)
	v_add_co_u32 v26, vcc_lo, s8, v26
	v_add_co_ci_u32_e32 v27, vcc_lo, s9, v27, vcc_lo
	global_load_b128 v[26:29], v[26:27], off
	s_waitcnt vmcnt(12)
	v_fma_f64 v[38:39], v[38:39], v[36:37], v[30:31]
	v_fma_f64 v[40:41], v[40:41], v[36:37], v[32:33]
	v_lshlrev_b64 v[30:31], 3, v[13:14]
	v_add_nc_u32_e32 v13, 12, v74
	s_delay_alu instid0(VALU_DEP_1) | instskip(NEXT) | instid1(VALU_DEP_3)
	v_lshlrev_b64 v[32:33], 3, v[13:14]
	v_add_co_u32 v30, vcc_lo, s8, v30
	s_delay_alu instid0(VALU_DEP_4) | instskip(SKIP_1) | instid1(VALU_DEP_4)
	v_add_co_ci_u32_e32 v31, vcc_lo, s9, v31, vcc_lo
	v_mov_b32_e32 v13, v14
	v_add_co_u32 v34, vcc_lo, s10, v32
	v_add_co_ci_u32_e32 v35, vcc_lo, s11, v33, vcc_lo
	global_load_b128 v[30:33], v[30:31], off
	global_load_b128 v[34:37], v[34:35], off
	s_waitcnt vmcnt(12)
	v_fma_f64 v[42:43], v[42:43], v[46:47], v[38:39]
	v_fma_f64 v[44:45], v[44:45], v[46:47], v[40:41]
	v_lshlrev_b64 v[38:39], 3, v[12:13]
	v_add_nc_u32_e32 v12, 0x1c0, v12
	s_delay_alu instid0(VALU_DEP_2) | instskip(NEXT) | instid1(VALU_DEP_3)
	v_add_co_u32 v38, vcc_lo, s8, v38
	v_add_co_ci_u32_e32 v39, vcc_lo, s9, v39, vcc_lo
	v_cmp_ge_i32_e32 vcc_lo, v15, v17
	global_load_b128 v[38:41], v[38:39], off
	s_or_b32 s4, vcc_lo, s4
	s_waitcnt vmcnt(12)
	v_fma_f64 v[42:43], v[50:51], v[48:49], v[42:43]
	v_fma_f64 v[44:45], v[52:53], v[48:49], v[44:45]
	s_waitcnt vmcnt(10)
	s_delay_alu instid0(VALU_DEP_2) | instskip(NEXT) | instid1(VALU_DEP_2)
	v_fma_f64 v[42:43], v[54:55], v[58:59], v[42:43]
	v_fma_f64 v[44:45], v[56:57], v[58:59], v[44:45]
	s_waitcnt vmcnt(9)
	s_delay_alu instid0(VALU_DEP_2) | instskip(NEXT) | instid1(VALU_DEP_2)
	;; [unrolled: 4-line block ×8, first 2 shown]
	v_fma_f64 v[8:9], v[38:39], v[36:37], v[7:8]
	v_fma_f64 v[10:11], v[40:41], v[36:37], v[10:11]
	s_and_not1_b32 exec_lo, exec_lo, s4
	s_cbranch_execnz .LBB138_9
; %bb.10:
	s_or_b32 exec_lo, exec_lo, s4
.LBB138_11:
	s_delay_alu instid0(SALU_CYCLE_1)
	s_or_b32 exec_lo, exec_lo, s3
	s_cbranch_execz .LBB138_13
	s_branch .LBB138_18
.LBB138_12:
                                        ; implicit-def: $vgpr8_vgpr9
                                        ; implicit-def: $vgpr10_vgpr11
.LBB138_13:
	v_mov_b32_e32 v8, 0
	v_mov_b32_e32 v9, 0
	s_delay_alu instid0(VALU_DEP_1)
	v_dual_mov_b32 v11, v9 :: v_dual_mov_b32 v10, v8
	s_and_saveexec_b32 s3, s2
	s_cbranch_execz .LBB138_17
; %bb.14:
	v_mov_b32_e32 v8, 0
	v_dual_mov_b32 v9, 0 :: v_dual_mov_b32 v14, 0
	v_mad_u64_u32 v[12:13], null, v6, 28, 27
	s_mov_b32 s2, 0
	s_delay_alu instid0(VALU_DEP_2)
	v_dual_mov_b32 v11, v9 :: v_dual_mov_b32 v10, v8
.LBB138_15:                             ; =>This Inner Loop Header: Depth=1
	v_ashrrev_i32_e32 v7, 31, v6
	s_delay_alu instid0(VALU_DEP_3) | instskip(SKIP_1) | instid1(VALU_DEP_3)
	v_subrev_nc_u32_e32 v13, 27, v12
	v_mov_b32_e32 v47, v14
	v_lshlrev_b64 v[15:16], 2, v[6:7]
	v_add_nc_u32_e32 v6, 16, v6
	s_delay_alu instid0(VALU_DEP_4) | instskip(SKIP_1) | instid1(VALU_DEP_4)
	v_lshlrev_b64 v[18:19], 3, v[13:14]
	v_add_nc_u32_e32 v13, -12, v12
	v_add_co_u32 v15, vcc_lo, s6, v15
	v_add_co_ci_u32_e32 v16, vcc_lo, s7, v16, vcc_lo
	s_delay_alu instid0(VALU_DEP_4)
	v_add_co_u32 v22, vcc_lo, s8, v18
	v_add_co_ci_u32_e32 v23, vcc_lo, s9, v19, vcc_lo
	global_load_b32 v7, v[15:16], off
	v_dual_mov_b32 v16, v14 :: v_dual_add_nc_u32 v15, -13, v12
	s_clause 0x1
	global_load_b128 v[18:21], v[22:23], off offset:16
	global_load_b128 v[22:25], v[22:23], off
	v_lshlrev_b64 v[30:31], 3, v[13:14]
	v_lshlrev_b64 v[15:16], 3, v[15:16]
	s_delay_alu instid0(VALU_DEP_1) | instskip(NEXT) | instid1(VALU_DEP_2)
	v_add_co_u32 v15, vcc_lo, s8, v15
	v_add_co_ci_u32_e32 v16, vcc_lo, s9, v16, vcc_lo
	global_load_b64 v[15:16], v[15:16], off
	s_waitcnt vmcnt(3)
	v_subrev_nc_u32_e32 v7, s12, v7
	s_delay_alu instid0(VALU_DEP_1) | instskip(NEXT) | instid1(VALU_DEP_1)
	v_mul_lo_u32 v46, v7, 14
	v_lshlrev_b64 v[26:27], 3, v[46:47]
	v_add_nc_u32_e32 v13, 2, v46
	s_delay_alu instid0(VALU_DEP_2) | instskip(NEXT) | instid1(VALU_DEP_3)
	v_add_co_u32 v26, vcc_lo, s10, v26
	v_add_co_ci_u32_e32 v27, vcc_lo, s11, v27, vcc_lo
	v_add_co_u32 v30, vcc_lo, s8, v30
	v_add_co_ci_u32_e32 v31, vcc_lo, s9, v31, vcc_lo
	global_load_b128 v[26:29], v[26:27], off
	global_load_b64 v[47:48], v[30:31], off
	v_lshlrev_b64 v[30:31], 3, v[13:14]
	v_add_nc_u32_e32 v13, -11, v12
	s_delay_alu instid0(VALU_DEP_1) | instskip(NEXT) | instid1(VALU_DEP_3)
	v_lshlrev_b64 v[32:33], 3, v[13:14]
	v_add_co_u32 v30, vcc_lo, s10, v30
	s_delay_alu instid0(VALU_DEP_4) | instskip(SKIP_1) | instid1(VALU_DEP_4)
	v_add_co_ci_u32_e32 v31, vcc_lo, s11, v31, vcc_lo
	v_add_nc_u32_e32 v13, -10, v12
	v_add_co_u32 v34, vcc_lo, s8, v32
	v_add_co_ci_u32_e32 v35, vcc_lo, s9, v33, vcc_lo
	global_load_b128 v[30:33], v[30:31], off
	global_load_b64 v[49:50], v[34:35], off
	v_lshlrev_b64 v[34:35], 3, v[13:14]
	v_subrev_nc_u32_e32 v13, 23, v12
	s_delay_alu instid0(VALU_DEP_2) | instskip(NEXT) | instid1(VALU_DEP_3)
	v_add_co_u32 v34, vcc_lo, s8, v34
	v_add_co_ci_u32_e32 v35, vcc_lo, s9, v35, vcc_lo
	global_load_b64 v[51:52], v[34:35], off
	v_lshlrev_b64 v[34:35], 3, v[13:14]
	v_add_nc_u32_e32 v13, 4, v46
	s_delay_alu instid0(VALU_DEP_1) | instskip(SKIP_1) | instid1(VALU_DEP_4)
	v_lshlrev_b64 v[36:37], 3, v[13:14]
	v_add_nc_u32_e32 v13, -9, v12
	v_add_co_u32 v34, vcc_lo, s8, v34
	v_add_co_ci_u32_e32 v35, vcc_lo, s9, v35, vcc_lo
	s_delay_alu instid0(VALU_DEP_3) | instskip(SKIP_3) | instid1(VALU_DEP_4)
	v_lshlrev_b64 v[38:39], 3, v[13:14]
	v_add_co_u32 v36, vcc_lo, s10, v36
	v_add_co_ci_u32_e32 v37, vcc_lo, s11, v37, vcc_lo
	v_subrev_nc_u32_e32 v13, 22, v12
	v_add_co_u32 v38, vcc_lo, s8, v38
	v_add_co_ci_u32_e32 v39, vcc_lo, s9, v39, vcc_lo
	global_load_b64 v[53:54], v[34:35], off
	global_load_b128 v[34:37], v[36:37], off
	global_load_b64 v[55:56], v[38:39], off
	v_lshlrev_b64 v[38:39], 3, v[13:14]
	v_add_nc_u32_e32 v13, -8, v12
	s_delay_alu instid0(VALU_DEP_1) | instskip(NEXT) | instid1(VALU_DEP_3)
	v_lshlrev_b64 v[40:41], 3, v[13:14]
	v_add_co_u32 v38, vcc_lo, s8, v38
	s_delay_alu instid0(VALU_DEP_4) | instskip(SKIP_1) | instid1(VALU_DEP_4)
	v_add_co_ci_u32_e32 v39, vcc_lo, s9, v39, vcc_lo
	v_subrev_nc_u32_e32 v13, 21, v12
	v_add_co_u32 v40, vcc_lo, s8, v40
	v_add_co_ci_u32_e32 v41, vcc_lo, s9, v41, vcc_lo
	s_clause 0x1
	global_load_b64 v[57:58], v[38:39], off
	global_load_b64 v[59:60], v[40:41], off
	v_lshlrev_b64 v[38:39], 3, v[13:14]
	v_add_nc_u32_e32 v13, 6, v46
	s_delay_alu instid0(VALU_DEP_1) | instskip(SKIP_1) | instid1(VALU_DEP_4)
	v_lshlrev_b64 v[40:41], 3, v[13:14]
	v_add_nc_u32_e32 v13, -7, v12
	v_add_co_u32 v38, vcc_lo, s8, v38
	v_add_co_ci_u32_e32 v39, vcc_lo, s9, v39, vcc_lo
	s_delay_alu instid0(VALU_DEP_3) | instskip(SKIP_3) | instid1(VALU_DEP_4)
	v_lshlrev_b64 v[42:43], 3, v[13:14]
	v_add_co_u32 v40, vcc_lo, s10, v40
	v_add_co_ci_u32_e32 v41, vcc_lo, s11, v41, vcc_lo
	v_subrev_nc_u32_e32 v13, 20, v12
	v_add_co_u32 v42, vcc_lo, s8, v42
	v_add_co_ci_u32_e32 v43, vcc_lo, s9, v43, vcc_lo
	global_load_b64 v[61:62], v[38:39], off
	global_load_b128 v[38:41], v[40:41], off
	global_load_b64 v[63:64], v[42:43], off
	v_lshlrev_b64 v[42:43], 3, v[13:14]
	v_add_nc_u32_e32 v13, -6, v12
	s_delay_alu instid0(VALU_DEP_1) | instskip(NEXT) | instid1(VALU_DEP_3)
	v_lshlrev_b64 v[44:45], 3, v[13:14]
	v_add_co_u32 v42, vcc_lo, s8, v42
	s_delay_alu instid0(VALU_DEP_4) | instskip(SKIP_1) | instid1(VALU_DEP_4)
	v_add_co_ci_u32_e32 v43, vcc_lo, s9, v43, vcc_lo
	v_subrev_nc_u32_e32 v13, 19, v12
	v_add_co_u32 v44, vcc_lo, s8, v44
	v_add_co_ci_u32_e32 v45, vcc_lo, s9, v45, vcc_lo
	s_clause 0x1
	global_load_b64 v[65:66], v[42:43], off
	global_load_b64 v[67:68], v[44:45], off
	v_lshlrev_b64 v[42:43], 3, v[13:14]
	v_add_nc_u32_e32 v13, 8, v46
	s_delay_alu instid0(VALU_DEP_1) | instskip(SKIP_1) | instid1(VALU_DEP_4)
	v_lshlrev_b64 v[44:45], 3, v[13:14]
	v_add_nc_u32_e32 v13, -5, v12
	v_add_co_u32 v42, vcc_lo, s8, v42
	v_add_co_ci_u32_e32 v43, vcc_lo, s9, v43, vcc_lo
	s_delay_alu instid0(VALU_DEP_3) | instskip(SKIP_3) | instid1(VALU_DEP_4)
	v_lshlrev_b64 v[69:70], 3, v[13:14]
	v_add_co_u32 v44, vcc_lo, s10, v44
	v_add_co_ci_u32_e32 v45, vcc_lo, s11, v45, vcc_lo
	v_subrev_nc_u32_e32 v13, 18, v12
	v_add_co_u32 v69, vcc_lo, s8, v69
	v_add_co_ci_u32_e32 v70, vcc_lo, s9, v70, vcc_lo
	global_load_b64 v[71:72], v[42:43], off
	global_load_b128 v[42:45], v[44:45], off
	global_load_b64 v[69:70], v[69:70], off
	s_waitcnt vmcnt(17)
	v_fma_f64 v[7:8], v[22:23], v[26:27], v[8:9]
	v_fma_f64 v[9:10], v[15:16], v[26:27], v[10:11]
	v_lshlrev_b64 v[15:16], 3, v[13:14]
	v_add_nc_u32_e32 v13, -4, v12
	s_delay_alu instid0(VALU_DEP_1) | instskip(NEXT) | instid1(VALU_DEP_3)
	v_lshlrev_b64 v[22:23], 3, v[13:14]
	v_add_co_u32 v15, vcc_lo, s8, v15
	s_delay_alu instid0(VALU_DEP_4) | instskip(SKIP_1) | instid1(VALU_DEP_4)
	v_add_co_ci_u32_e32 v16, vcc_lo, s9, v16, vcc_lo
	v_subrev_nc_u32_e32 v13, 17, v12
	v_add_co_u32 v22, vcc_lo, s8, v22
	v_add_co_ci_u32_e32 v23, vcc_lo, s9, v23, vcc_lo
	s_clause 0x1
	global_load_b64 v[15:16], v[15:16], off
	global_load_b64 v[22:23], v[22:23], off
	v_lshlrev_b64 v[26:27], 3, v[13:14]
	v_add_nc_u32_e32 v13, 10, v46
	v_fma_f64 v[24:25], v[24:25], v[28:29], v[7:8]
	s_waitcnt vmcnt(18)
	v_fma_f64 v[28:29], v[47:48], v[28:29], v[9:10]
	s_delay_alu instid0(VALU_DEP_3) | instskip(SKIP_3) | instid1(VALU_DEP_3)
	v_lshlrev_b64 v[7:8], 3, v[13:14]
	v_add_nc_u32_e32 v13, -3, v12
	v_add_co_u32 v9, vcc_lo, s8, v26
	v_add_co_ci_u32_e32 v10, vcc_lo, s9, v27, vcc_lo
	v_lshlrev_b64 v[26:27], 3, v[13:14]
	v_add_co_u32 v7, vcc_lo, s10, v7
	v_add_co_ci_u32_e32 v8, vcc_lo, s11, v8, vcc_lo
	v_add_nc_u32_e32 v13, -16, v12
	s_delay_alu instid0(VALU_DEP_4)
	v_add_co_u32 v26, vcc_lo, s8, v26
	v_add_co_ci_u32_e32 v27, vcc_lo, s9, v27, vcc_lo
	global_load_b64 v[47:48], v[9:10], off
	global_load_b128 v[7:10], v[7:8], off
	global_load_b64 v[26:27], v[26:27], off
	s_waitcnt vmcnt(20)
	v_fma_f64 v[18:19], v[18:19], v[30:31], v[24:25]
	s_waitcnt vmcnt(19)
	v_fma_f64 v[24:25], v[49:50], v[30:31], v[28:29]
	v_lshlrev_b64 v[28:29], 3, v[13:14]
	v_add_nc_u32_e32 v13, -2, v12
	s_delay_alu instid0(VALU_DEP_1) | instskip(NEXT) | instid1(VALU_DEP_3)
	v_lshlrev_b64 v[30:31], 3, v[13:14]
	v_add_co_u32 v28, vcc_lo, s8, v28
	s_delay_alu instid0(VALU_DEP_4) | instskip(SKIP_1) | instid1(VALU_DEP_4)
	v_add_co_ci_u32_e32 v29, vcc_lo, s9, v29, vcc_lo
	v_add_nc_u32_e32 v13, -15, v12
	v_add_co_u32 v30, vcc_lo, s8, v30
	v_add_co_ci_u32_e32 v31, vcc_lo, s9, v31, vcc_lo
	s_clause 0x1
	global_load_b64 v[28:29], v[28:29], off
	global_load_b64 v[30:31], v[30:31], off
	v_lshlrev_b64 v[49:50], 3, v[13:14]
	v_add_nc_u32_e32 v13, 12, v46
	v_fma_f64 v[73:74], v[20:21], v[32:33], v[18:19]
	s_waitcnt vmcnt(20)
	v_fma_f64 v[24:25], v[51:52], v[32:33], v[24:25]
	s_delay_alu instid0(VALU_DEP_3) | instskip(SKIP_3) | instid1(VALU_DEP_3)
	v_lshlrev_b64 v[18:19], 3, v[13:14]
	v_add_nc_u32_e32 v13, -1, v12
	v_add_co_u32 v20, vcc_lo, s8, v49
	v_add_co_ci_u32_e32 v21, vcc_lo, s9, v50, vcc_lo
	v_lshlrev_b64 v[32:33], 3, v[13:14]
	v_add_co_u32 v18, vcc_lo, s10, v18
	v_add_co_ci_u32_e32 v19, vcc_lo, s11, v19, vcc_lo
	v_mov_b32_e32 v13, v14
	s_delay_alu instid0(VALU_DEP_4)
	v_add_co_u32 v32, vcc_lo, s8, v32
	v_add_co_ci_u32_e32 v33, vcc_lo, s9, v33, vcc_lo
	global_load_b64 v[49:50], v[20:21], off
	global_load_b128 v[18:21], v[18:19], off
	global_load_b64 v[32:33], v[32:33], off
	s_waitcnt vmcnt(21)
	v_fma_f64 v[51:52], v[53:54], v[34:35], v[73:74]
	s_waitcnt vmcnt(20)
	v_fma_f64 v[24:25], v[55:56], v[34:35], v[24:25]
	v_lshlrev_b64 v[34:35], 3, v[12:13]
	v_add_nc_u32_e32 v13, -14, v12
	v_add_nc_u32_e32 v12, 0x1c0, v12
	s_delay_alu instid0(VALU_DEP_2) | instskip(NEXT) | instid1(VALU_DEP_4)
	v_lshlrev_b64 v[53:54], 3, v[13:14]
	v_add_co_u32 v34, vcc_lo, s8, v34
	v_add_co_ci_u32_e32 v35, vcc_lo, s9, v35, vcc_lo
	s_delay_alu instid0(VALU_DEP_3) | instskip(NEXT) | instid1(VALU_DEP_4)
	v_add_co_u32 v53, vcc_lo, s8, v53
	v_add_co_ci_u32_e32 v54, vcc_lo, s9, v54, vcc_lo
	s_clause 0x1
	global_load_b64 v[53:54], v[53:54], off
	global_load_b64 v[34:35], v[34:35], off
	v_cmp_ge_i32_e32 vcc_lo, v6, v17
	s_or_b32 s2, vcc_lo, s2
	s_waitcnt vmcnt(21)
	v_fma_f64 v[51:52], v[57:58], v[36:37], v[51:52]
	s_waitcnt vmcnt(20)
	v_fma_f64 v[24:25], v[59:60], v[36:37], v[24:25]
	s_waitcnt vmcnt(18)
	s_delay_alu instid0(VALU_DEP_2) | instskip(SKIP_1) | instid1(VALU_DEP_2)
	v_fma_f64 v[36:37], v[61:62], v[38:39], v[51:52]
	s_waitcnt vmcnt(17)
	v_fma_f64 v[24:25], v[63:64], v[38:39], v[24:25]
	s_waitcnt vmcnt(16)
	s_delay_alu instid0(VALU_DEP_2) | instskip(SKIP_1) | instid1(VALU_DEP_2)
	v_fma_f64 v[36:37], v[65:66], v[40:41], v[36:37]
	s_waitcnt vmcnt(15)
	v_fma_f64 v[24:25], v[67:68], v[40:41], v[24:25]
	s_waitcnt vmcnt(13)
	s_delay_alu instid0(VALU_DEP_2) | instskip(SKIP_1) | instid1(VALU_DEP_2)
	v_fma_f64 v[36:37], v[71:72], v[42:43], v[36:37]
	s_waitcnt vmcnt(12)
	v_fma_f64 v[24:25], v[69:70], v[42:43], v[24:25]
	s_waitcnt vmcnt(11)
	s_delay_alu instid0(VALU_DEP_2) | instskip(SKIP_1) | instid1(VALU_DEP_2)
	v_fma_f64 v[15:16], v[15:16], v[44:45], v[36:37]
	s_waitcnt vmcnt(10)
	v_fma_f64 v[22:23], v[22:23], v[44:45], v[24:25]
	s_waitcnt vmcnt(8)
	s_delay_alu instid0(VALU_DEP_2) | instskip(SKIP_1) | instid1(VALU_DEP_2)
	v_fma_f64 v[15:16], v[47:48], v[7:8], v[15:16]
	s_waitcnt vmcnt(7)
	v_fma_f64 v[7:8], v[26:27], v[7:8], v[22:23]
	s_waitcnt vmcnt(6)
	s_delay_alu instid0(VALU_DEP_2) | instskip(SKIP_1) | instid1(VALU_DEP_2)
	v_fma_f64 v[15:16], v[28:29], v[9:10], v[15:16]
	s_waitcnt vmcnt(5)
	v_fma_f64 v[7:8], v[30:31], v[9:10], v[7:8]
	s_waitcnt vmcnt(3)
	s_delay_alu instid0(VALU_DEP_2) | instskip(SKIP_1) | instid1(VALU_DEP_2)
	v_fma_f64 v[9:10], v[49:50], v[18:19], v[15:16]
	s_waitcnt vmcnt(2)
	v_fma_f64 v[15:16], v[32:33], v[18:19], v[7:8]
	s_waitcnt vmcnt(1)
	s_delay_alu instid0(VALU_DEP_2) | instskip(SKIP_1) | instid1(VALU_DEP_2)
	v_fma_f64 v[8:9], v[53:54], v[20:21], v[9:10]
	s_waitcnt vmcnt(0)
	v_fma_f64 v[10:11], v[34:35], v[20:21], v[15:16]
	s_and_not1_b32 exec_lo, exec_lo, s2
	s_cbranch_execnz .LBB138_15
; %bb.16:
	s_or_b32 exec_lo, exec_lo, s2
.LBB138_17:
	s_delay_alu instid0(SALU_CYCLE_1)
	s_or_b32 exec_lo, exec_lo, s3
.LBB138_18:
	v_mbcnt_lo_u32_b32 v14, -1, 0
	s_delay_alu instid0(VALU_DEP_1) | instskip(NEXT) | instid1(VALU_DEP_1)
	v_xor_b32_e32 v6, 8, v14
	v_cmp_gt_i32_e32 vcc_lo, 32, v6
	v_cndmask_b32_e32 v6, v14, v6, vcc_lo
	s_delay_alu instid0(VALU_DEP_1)
	v_lshlrev_b32_e32 v13, 2, v6
	ds_bpermute_b32 v6, v13, v8
	ds_bpermute_b32 v7, v13, v9
	;; [unrolled: 1-line block ×4, first 2 shown]
	s_waitcnt lgkmcnt(2)
	v_add_f64 v[6:7], v[8:9], v[6:7]
	s_waitcnt lgkmcnt(0)
	v_add_f64 v[8:9], v[10:11], v[12:13]
	v_xor_b32_e32 v10, 4, v14
	s_delay_alu instid0(VALU_DEP_1) | instskip(SKIP_1) | instid1(VALU_DEP_1)
	v_cmp_gt_i32_e32 vcc_lo, 32, v10
	v_cndmask_b32_e32 v10, v14, v10, vcc_lo
	v_lshlrev_b32_e32 v13, 2, v10
	ds_bpermute_b32 v10, v13, v6
	ds_bpermute_b32 v11, v13, v7
	;; [unrolled: 1-line block ×4, first 2 shown]
	s_waitcnt lgkmcnt(2)
	v_add_f64 v[6:7], v[6:7], v[10:11]
	v_xor_b32_e32 v10, 2, v14
	s_waitcnt lgkmcnt(0)
	v_add_f64 v[8:9], v[8:9], v[12:13]
	s_delay_alu instid0(VALU_DEP_2) | instskip(SKIP_1) | instid1(VALU_DEP_1)
	v_cmp_gt_i32_e32 vcc_lo, 32, v10
	v_cndmask_b32_e32 v10, v14, v10, vcc_lo
	v_lshlrev_b32_e32 v13, 2, v10
	ds_bpermute_b32 v10, v13, v6
	ds_bpermute_b32 v11, v13, v7
	;; [unrolled: 1-line block ×4, first 2 shown]
	s_waitcnt lgkmcnt(2)
	v_add_f64 v[6:7], v[6:7], v[10:11]
	s_waitcnt lgkmcnt(0)
	v_add_f64 v[10:11], v[8:9], v[12:13]
	v_xor_b32_e32 v8, 1, v14
	s_delay_alu instid0(VALU_DEP_1) | instskip(SKIP_2) | instid1(VALU_DEP_2)
	v_cmp_gt_i32_e32 vcc_lo, 32, v8
	v_cndmask_b32_e32 v8, v14, v8, vcc_lo
	v_cmp_eq_u32_e32 vcc_lo, 15, v0
	v_lshlrev_b32_e32 v13, 2, v8
	ds_bpermute_b32 v8, v13, v6
	ds_bpermute_b32 v9, v13, v7
	;; [unrolled: 1-line block ×4, first 2 shown]
	s_and_b32 exec_lo, exec_lo, vcc_lo
	s_cbranch_execz .LBB138_23
; %bb.19:
	s_waitcnt lgkmcnt(2)
	v_add_f64 v[8:9], v[6:7], v[8:9]
	s_waitcnt lgkmcnt(0)
	v_add_f64 v[6:7], v[10:11], v[12:13]
	s_load_b64 s[0:1], s[0:1], 0x38
	s_mov_b32 s2, exec_lo
	v_cmpx_eq_f64_e32 0, v[3:4]
	s_xor_b32 s2, exec_lo, s2
	s_cbranch_execz .LBB138_21
; %bb.20:
	s_delay_alu instid0(VALU_DEP_3) | instskip(NEXT) | instid1(VALU_DEP_3)
	v_mul_f64 v[8:9], v[1:2], v[8:9]
	v_mul_f64 v[10:11], v[1:2], v[6:7]
	v_lshlrev_b32_e32 v0, 1, v5
                                        ; implicit-def: $vgpr5
                                        ; implicit-def: $vgpr3_vgpr4
                                        ; implicit-def: $vgpr6_vgpr7
	s_delay_alu instid0(VALU_DEP_1) | instskip(NEXT) | instid1(VALU_DEP_1)
	v_ashrrev_i32_e32 v1, 31, v0
	v_lshlrev_b64 v[0:1], 3, v[0:1]
	s_waitcnt lgkmcnt(0)
	s_delay_alu instid0(VALU_DEP_1) | instskip(NEXT) | instid1(VALU_DEP_2)
	v_add_co_u32 v0, vcc_lo, s0, v0
	v_add_co_ci_u32_e32 v1, vcc_lo, s1, v1, vcc_lo
	global_store_b128 v[0:1], v[8:11], off
                                        ; implicit-def: $vgpr1_vgpr2
                                        ; implicit-def: $vgpr8_vgpr9
.LBB138_21:
	s_and_not1_saveexec_b32 s2, s2
	s_cbranch_execz .LBB138_23
; %bb.22:
	v_lshlrev_b32_e32 v10, 1, v5
	s_delay_alu instid0(VALU_DEP_4) | instskip(NEXT) | instid1(VALU_DEP_4)
	v_mul_f64 v[8:9], v[1:2], v[8:9]
	v_mul_f64 v[5:6], v[1:2], v[6:7]
	s_delay_alu instid0(VALU_DEP_3) | instskip(NEXT) | instid1(VALU_DEP_1)
	v_ashrrev_i32_e32 v11, 31, v10
	v_lshlrev_b64 v[10:11], 3, v[10:11]
	s_waitcnt lgkmcnt(0)
	s_delay_alu instid0(VALU_DEP_1) | instskip(NEXT) | instid1(VALU_DEP_2)
	v_add_co_u32 v14, vcc_lo, s0, v10
	v_add_co_ci_u32_e32 v15, vcc_lo, s1, v11, vcc_lo
	global_load_b128 v[10:13], v[14:15], off
	s_waitcnt vmcnt(0)
	v_fma_f64 v[0:1], v[3:4], v[10:11], v[8:9]
	v_fma_f64 v[2:3], v[3:4], v[12:13], v[5:6]
	global_store_b128 v[14:15], v[0:3], off
.LBB138_23:
	s_nop 0
	s_sendmsg sendmsg(MSG_DEALLOC_VGPRS)
	s_endpgm
	.section	.rodata,"a",@progbits
	.p2align	6, 0x0
	.amdhsa_kernel _ZN9rocsparseL19gebsrmvn_2xn_kernelILj128ELj14ELj16EdEEvi20rocsparse_direction_NS_24const_host_device_scalarIT2_EEPKiS6_PKS3_S8_S4_PS3_21rocsparse_index_base_b
		.amdhsa_group_segment_fixed_size 0
		.amdhsa_private_segment_fixed_size 0
		.amdhsa_kernarg_size 72
		.amdhsa_user_sgpr_count 15
		.amdhsa_user_sgpr_dispatch_ptr 0
		.amdhsa_user_sgpr_queue_ptr 0
		.amdhsa_user_sgpr_kernarg_segment_ptr 1
		.amdhsa_user_sgpr_dispatch_id 0
		.amdhsa_user_sgpr_private_segment_size 0
		.amdhsa_wavefront_size32 1
		.amdhsa_uses_dynamic_stack 0
		.amdhsa_enable_private_segment 0
		.amdhsa_system_sgpr_workgroup_id_x 1
		.amdhsa_system_sgpr_workgroup_id_y 0
		.amdhsa_system_sgpr_workgroup_id_z 0
		.amdhsa_system_sgpr_workgroup_info 0
		.amdhsa_system_vgpr_workitem_id 0
		.amdhsa_next_free_vgpr 76
		.amdhsa_next_free_sgpr 16
		.amdhsa_reserve_vcc 1
		.amdhsa_float_round_mode_32 0
		.amdhsa_float_round_mode_16_64 0
		.amdhsa_float_denorm_mode_32 3
		.amdhsa_float_denorm_mode_16_64 3
		.amdhsa_dx10_clamp 1
		.amdhsa_ieee_mode 1
		.amdhsa_fp16_overflow 0
		.amdhsa_workgroup_processor_mode 1
		.amdhsa_memory_ordered 1
		.amdhsa_forward_progress 0
		.amdhsa_shared_vgpr_count 0
		.amdhsa_exception_fp_ieee_invalid_op 0
		.amdhsa_exception_fp_denorm_src 0
		.amdhsa_exception_fp_ieee_div_zero 0
		.amdhsa_exception_fp_ieee_overflow 0
		.amdhsa_exception_fp_ieee_underflow 0
		.amdhsa_exception_fp_ieee_inexact 0
		.amdhsa_exception_int_div_zero 0
	.end_amdhsa_kernel
	.section	.text._ZN9rocsparseL19gebsrmvn_2xn_kernelILj128ELj14ELj16EdEEvi20rocsparse_direction_NS_24const_host_device_scalarIT2_EEPKiS6_PKS3_S8_S4_PS3_21rocsparse_index_base_b,"axG",@progbits,_ZN9rocsparseL19gebsrmvn_2xn_kernelILj128ELj14ELj16EdEEvi20rocsparse_direction_NS_24const_host_device_scalarIT2_EEPKiS6_PKS3_S8_S4_PS3_21rocsparse_index_base_b,comdat
.Lfunc_end138:
	.size	_ZN9rocsparseL19gebsrmvn_2xn_kernelILj128ELj14ELj16EdEEvi20rocsparse_direction_NS_24const_host_device_scalarIT2_EEPKiS6_PKS3_S8_S4_PS3_21rocsparse_index_base_b, .Lfunc_end138-_ZN9rocsparseL19gebsrmvn_2xn_kernelILj128ELj14ELj16EdEEvi20rocsparse_direction_NS_24const_host_device_scalarIT2_EEPKiS6_PKS3_S8_S4_PS3_21rocsparse_index_base_b
                                        ; -- End function
	.section	.AMDGPU.csdata,"",@progbits
; Kernel info:
; codeLenInByte = 3712
; NumSgprs: 18
; NumVgprs: 76
; ScratchSize: 0
; MemoryBound: 1
; FloatMode: 240
; IeeeMode: 1
; LDSByteSize: 0 bytes/workgroup (compile time only)
; SGPRBlocks: 2
; VGPRBlocks: 9
; NumSGPRsForWavesPerEU: 18
; NumVGPRsForWavesPerEU: 76
; Occupancy: 16
; WaveLimiterHint : 1
; COMPUTE_PGM_RSRC2:SCRATCH_EN: 0
; COMPUTE_PGM_RSRC2:USER_SGPR: 15
; COMPUTE_PGM_RSRC2:TRAP_HANDLER: 0
; COMPUTE_PGM_RSRC2:TGID_X_EN: 1
; COMPUTE_PGM_RSRC2:TGID_Y_EN: 0
; COMPUTE_PGM_RSRC2:TGID_Z_EN: 0
; COMPUTE_PGM_RSRC2:TIDIG_COMP_CNT: 0
	.section	.text._ZN9rocsparseL19gebsrmvn_2xn_kernelILj128ELj14ELj32EdEEvi20rocsparse_direction_NS_24const_host_device_scalarIT2_EEPKiS6_PKS3_S8_S4_PS3_21rocsparse_index_base_b,"axG",@progbits,_ZN9rocsparseL19gebsrmvn_2xn_kernelILj128ELj14ELj32EdEEvi20rocsparse_direction_NS_24const_host_device_scalarIT2_EEPKiS6_PKS3_S8_S4_PS3_21rocsparse_index_base_b,comdat
	.globl	_ZN9rocsparseL19gebsrmvn_2xn_kernelILj128ELj14ELj32EdEEvi20rocsparse_direction_NS_24const_host_device_scalarIT2_EEPKiS6_PKS3_S8_S4_PS3_21rocsparse_index_base_b ; -- Begin function _ZN9rocsparseL19gebsrmvn_2xn_kernelILj128ELj14ELj32EdEEvi20rocsparse_direction_NS_24const_host_device_scalarIT2_EEPKiS6_PKS3_S8_S4_PS3_21rocsparse_index_base_b
	.p2align	8
	.type	_ZN9rocsparseL19gebsrmvn_2xn_kernelILj128ELj14ELj32EdEEvi20rocsparse_direction_NS_24const_host_device_scalarIT2_EEPKiS6_PKS3_S8_S4_PS3_21rocsparse_index_base_b,@function
_ZN9rocsparseL19gebsrmvn_2xn_kernelILj128ELj14ELj32EdEEvi20rocsparse_direction_NS_24const_host_device_scalarIT2_EEPKiS6_PKS3_S8_S4_PS3_21rocsparse_index_base_b: ; @_ZN9rocsparseL19gebsrmvn_2xn_kernelILj128ELj14ELj32EdEEvi20rocsparse_direction_NS_24const_host_device_scalarIT2_EEPKiS6_PKS3_S8_S4_PS3_21rocsparse_index_base_b
; %bb.0:
	s_clause 0x2
	s_load_b64 s[12:13], s[0:1], 0x40
	s_load_b64 s[4:5], s[0:1], 0x8
	;; [unrolled: 1-line block ×3, first 2 shown]
	s_waitcnt lgkmcnt(0)
	s_bitcmp1_b32 s13, 0
	v_dual_mov_b32 v1, s4 :: v_dual_mov_b32 v2, s5
	s_cselect_b32 s6, -1, 0
	s_delay_alu instid0(SALU_CYCLE_1)
	s_and_b32 vcc_lo, exec_lo, s6
	s_xor_b32 s6, s6, -1
	s_cbranch_vccnz .LBB139_2
; %bb.1:
	v_dual_mov_b32 v1, s4 :: v_dual_mov_b32 v2, s5
	flat_load_b64 v[1:2], v[1:2]
.LBB139_2:
	v_dual_mov_b32 v4, s3 :: v_dual_mov_b32 v3, s2
	s_and_not1_b32 vcc_lo, exec_lo, s6
	s_cbranch_vccnz .LBB139_4
; %bb.3:
	v_dual_mov_b32 v4, s3 :: v_dual_mov_b32 v3, s2
	flat_load_b64 v[3:4], v[3:4]
.LBB139_4:
	s_waitcnt vmcnt(0) lgkmcnt(0)
	v_cmp_neq_f64_e32 vcc_lo, 0, v[1:2]
	v_cmp_neq_f64_e64 s2, 1.0, v[3:4]
	s_delay_alu instid0(VALU_DEP_1) | instskip(NEXT) | instid1(SALU_CYCLE_1)
	s_or_b32 s2, vcc_lo, s2
	s_and_saveexec_b32 s3, s2
	s_cbranch_execz .LBB139_23
; %bb.5:
	s_load_b64 s[2:3], s[0:1], 0x0
	v_lshrrev_b32_e32 v5, 5, v0
	s_delay_alu instid0(VALU_DEP_1) | instskip(SKIP_1) | instid1(VALU_DEP_1)
	v_lshl_or_b32 v5, s15, 2, v5
	s_waitcnt lgkmcnt(0)
	v_cmp_gt_i32_e32 vcc_lo, s2, v5
	s_and_b32 exec_lo, exec_lo, vcc_lo
	s_cbranch_execz .LBB139_23
; %bb.6:
	s_load_b256 s[4:11], s[0:1], 0x10
	v_ashrrev_i32_e32 v6, 31, v5
	v_and_b32_e32 v0, 31, v0
	s_cmp_lg_u32 s3, 0
	s_delay_alu instid0(VALU_DEP_2) | instskip(SKIP_1) | instid1(VALU_DEP_1)
	v_lshlrev_b64 v[6:7], 2, v[5:6]
	s_waitcnt lgkmcnt(0)
	v_add_co_u32 v6, vcc_lo, s4, v6
	s_delay_alu instid0(VALU_DEP_2) | instskip(SKIP_4) | instid1(VALU_DEP_2)
	v_add_co_ci_u32_e32 v7, vcc_lo, s5, v7, vcc_lo
	global_load_b64 v[6:7], v[6:7], off
	s_waitcnt vmcnt(0)
	v_subrev_nc_u32_e32 v6, s12, v6
	v_subrev_nc_u32_e32 v17, s12, v7
	v_add_nc_u32_e32 v6, v6, v0
	s_delay_alu instid0(VALU_DEP_1)
	v_cmp_lt_i32_e64 s2, v6, v17
	s_cbranch_scc0 .LBB139_12
; %bb.7:
	v_mov_b32_e32 v8, 0
	v_mov_b32_e32 v9, 0
	s_delay_alu instid0(VALU_DEP_1)
	v_dual_mov_b32 v11, v9 :: v_dual_mov_b32 v10, v8
	s_and_saveexec_b32 s3, s2
	s_cbranch_execz .LBB139_11
; %bb.8:
	v_dual_mov_b32 v8, 0 :: v_dual_mov_b32 v15, v6
	v_dual_mov_b32 v9, 0 :: v_dual_mov_b32 v14, 0
	v_mad_u64_u32 v[12:13], null, v6, 28, 26
	s_mov_b32 s4, 0
	s_delay_alu instid0(VALU_DEP_2)
	v_dual_mov_b32 v11, v9 :: v_dual_mov_b32 v10, v8
.LBB139_9:                              ; =>This Inner Loop Header: Depth=1
	v_ashrrev_i32_e32 v16, 31, v15
	s_delay_alu instid0(VALU_DEP_3) | instskip(SKIP_1) | instid1(VALU_DEP_3)
	v_subrev_nc_u32_e32 v13, 26, v12
	v_mov_b32_e32 v75, v14
	v_lshlrev_b64 v[18:19], 2, v[15:16]
	v_add_nc_u32_e32 v15, 32, v15
	s_delay_alu instid0(VALU_DEP_2) | instskip(NEXT) | instid1(VALU_DEP_3)
	v_add_co_u32 v18, vcc_lo, s6, v18
	v_add_co_ci_u32_e32 v19, vcc_lo, s7, v19, vcc_lo
	global_load_b32 v7, v[18:19], off
	v_lshlrev_b64 v[18:19], 3, v[13:14]
	v_subrev_nc_u32_e32 v13, 22, v12
	s_delay_alu instid0(VALU_DEP_1) | instskip(NEXT) | instid1(VALU_DEP_3)
	v_lshlrev_b64 v[30:31], 3, v[13:14]
	v_add_co_u32 v22, vcc_lo, s8, v18
	s_delay_alu instid0(VALU_DEP_4)
	v_add_co_ci_u32_e32 v23, vcc_lo, s9, v19, vcc_lo
	s_clause 0x1
	global_load_b128 v[18:21], v[22:23], off offset:16
	global_load_b128 v[22:25], v[22:23], off
	s_waitcnt vmcnt(2)
	v_subrev_nc_u32_e32 v7, s12, v7
	s_delay_alu instid0(VALU_DEP_1) | instskip(NEXT) | instid1(VALU_DEP_1)
	v_mul_lo_u32 v74, v7, 14
	v_lshlrev_b64 v[26:27], 3, v[74:75]
	v_add_nc_u32_e32 v13, 2, v74
	s_delay_alu instid0(VALU_DEP_1) | instskip(NEXT) | instid1(VALU_DEP_3)
	v_lshlrev_b64 v[34:35], 3, v[13:14]
	v_add_co_u32 v26, vcc_lo, s10, v26
	s_delay_alu instid0(VALU_DEP_4)
	v_add_co_ci_u32_e32 v27, vcc_lo, s11, v27, vcc_lo
	v_add_co_u32 v30, vcc_lo, s8, v30
	v_add_co_ci_u32_e32 v31, vcc_lo, s9, v31, vcc_lo
	global_load_b128 v[26:29], v[26:27], off
	v_add_co_u32 v34, vcc_lo, s10, v34
	v_add_co_ci_u32_e32 v35, vcc_lo, s11, v35, vcc_lo
	global_load_b128 v[30:33], v[30:31], off
	v_subrev_nc_u32_e32 v13, 20, v12
	global_load_b128 v[34:37], v[34:35], off
	v_lshlrev_b64 v[38:39], 3, v[13:14]
	v_subrev_nc_u32_e32 v13, 18, v12
	s_delay_alu instid0(VALU_DEP_2) | instskip(NEXT) | instid1(VALU_DEP_3)
	v_add_co_u32 v38, vcc_lo, s8, v38
	v_add_co_ci_u32_e32 v39, vcc_lo, s9, v39, vcc_lo
	s_delay_alu instid0(VALU_DEP_3)
	v_lshlrev_b64 v[42:43], 3, v[13:14]
	v_add_nc_u32_e32 v13, 4, v74
	global_load_b128 v[38:41], v[38:39], off
	v_lshlrev_b64 v[44:45], 3, v[13:14]
	v_add_co_u32 v42, vcc_lo, s8, v42
	v_add_co_ci_u32_e32 v43, vcc_lo, s9, v43, vcc_lo
	v_add_nc_u32_e32 v13, -16, v12
	s_delay_alu instid0(VALU_DEP_4)
	v_add_co_u32 v46, vcc_lo, s10, v44
	v_add_co_ci_u32_e32 v47, vcc_lo, s11, v45, vcc_lo
	global_load_b128 v[42:45], v[42:43], off
	global_load_b128 v[46:49], v[46:47], off
	v_lshlrev_b64 v[50:51], 3, v[13:14]
	v_add_nc_u32_e32 v13, -14, v12
	s_delay_alu instid0(VALU_DEP_2) | instskip(NEXT) | instid1(VALU_DEP_3)
	v_add_co_u32 v50, vcc_lo, s8, v50
	v_add_co_ci_u32_e32 v51, vcc_lo, s9, v51, vcc_lo
	s_delay_alu instid0(VALU_DEP_3)
	v_lshlrev_b64 v[54:55], 3, v[13:14]
	v_add_nc_u32_e32 v13, 6, v74
	global_load_b128 v[50:53], v[50:51], off
	v_lshlrev_b64 v[56:57], 3, v[13:14]
	v_add_co_u32 v54, vcc_lo, s8, v54
	v_add_co_ci_u32_e32 v55, vcc_lo, s9, v55, vcc_lo
	v_add_nc_u32_e32 v13, -12, v12
	s_delay_alu instid0(VALU_DEP_4)
	v_add_co_u32 v58, vcc_lo, s10, v56
	v_add_co_ci_u32_e32 v59, vcc_lo, s11, v57, vcc_lo
	global_load_b128 v[54:57], v[54:55], off
	global_load_b128 v[58:61], v[58:59], off
	v_lshlrev_b64 v[62:63], 3, v[13:14]
	v_add_nc_u32_e32 v13, -10, v12
	s_delay_alu instid0(VALU_DEP_2) | instskip(NEXT) | instid1(VALU_DEP_3)
	v_add_co_u32 v62, vcc_lo, s8, v62
	v_add_co_ci_u32_e32 v63, vcc_lo, s9, v63, vcc_lo
	s_delay_alu instid0(VALU_DEP_3)
	v_lshlrev_b64 v[66:67], 3, v[13:14]
	v_add_nc_u32_e32 v13, 8, v74
	global_load_b128 v[62:65], v[62:63], off
	v_lshlrev_b64 v[68:69], 3, v[13:14]
	v_add_co_u32 v66, vcc_lo, s8, v66
	v_add_co_ci_u32_e32 v67, vcc_lo, s9, v67, vcc_lo
	v_add_nc_u32_e32 v13, -8, v12
	s_delay_alu instid0(VALU_DEP_4)
	v_add_co_u32 v70, vcc_lo, s10, v68
	v_add_co_ci_u32_e32 v71, vcc_lo, s11, v69, vcc_lo
	global_load_b128 v[66:69], v[66:67], off
	global_load_b128 v[70:73], v[70:71], off
	s_waitcnt vmcnt(11)
	v_fma_f64 v[22:23], v[22:23], v[26:27], v[8:9]
	v_fma_f64 v[24:25], v[24:25], v[26:27], v[10:11]
	v_lshlrev_b64 v[7:8], 3, v[13:14]
	v_add_nc_u32_e32 v13, -6, v12
	s_delay_alu instid0(VALU_DEP_2) | instskip(NEXT) | instid1(VALU_DEP_3)
	v_add_co_u32 v7, vcc_lo, s8, v7
	v_add_co_ci_u32_e32 v8, vcc_lo, s9, v8, vcc_lo
	global_load_b128 v[7:10], v[7:8], off
	v_fma_f64 v[26:27], v[18:19], v[28:29], v[22:23]
	v_fma_f64 v[28:29], v[20:21], v[28:29], v[24:25]
	v_lshlrev_b64 v[18:19], 3, v[13:14]
	v_add_nc_u32_e32 v13, 10, v74
	s_delay_alu instid0(VALU_DEP_1) | instskip(NEXT) | instid1(VALU_DEP_3)
	v_lshlrev_b64 v[20:21], 3, v[13:14]
	v_add_co_u32 v18, vcc_lo, s8, v18
	s_delay_alu instid0(VALU_DEP_4) | instskip(SKIP_1) | instid1(VALU_DEP_4)
	v_add_co_ci_u32_e32 v19, vcc_lo, s9, v19, vcc_lo
	v_add_nc_u32_e32 v13, -4, v12
	v_add_co_u32 v22, vcc_lo, s10, v20
	v_add_co_ci_u32_e32 v23, vcc_lo, s11, v21, vcc_lo
	global_load_b128 v[18:21], v[18:19], off
	global_load_b128 v[22:25], v[22:23], off
	s_waitcnt vmcnt(12)
	v_fma_f64 v[30:31], v[30:31], v[34:35], v[26:27]
	v_fma_f64 v[32:33], v[32:33], v[34:35], v[28:29]
	v_lshlrev_b64 v[26:27], 3, v[13:14]
	v_add_nc_u32_e32 v13, -2, v12
	s_delay_alu instid0(VALU_DEP_2) | instskip(NEXT) | instid1(VALU_DEP_3)
	v_add_co_u32 v26, vcc_lo, s8, v26
	v_add_co_ci_u32_e32 v27, vcc_lo, s9, v27, vcc_lo
	global_load_b128 v[26:29], v[26:27], off
	s_waitcnt vmcnt(12)
	v_fma_f64 v[38:39], v[38:39], v[36:37], v[30:31]
	v_fma_f64 v[40:41], v[40:41], v[36:37], v[32:33]
	v_lshlrev_b64 v[30:31], 3, v[13:14]
	v_add_nc_u32_e32 v13, 12, v74
	s_delay_alu instid0(VALU_DEP_1) | instskip(NEXT) | instid1(VALU_DEP_3)
	v_lshlrev_b64 v[32:33], 3, v[13:14]
	v_add_co_u32 v30, vcc_lo, s8, v30
	s_delay_alu instid0(VALU_DEP_4) | instskip(SKIP_1) | instid1(VALU_DEP_4)
	v_add_co_ci_u32_e32 v31, vcc_lo, s9, v31, vcc_lo
	v_mov_b32_e32 v13, v14
	v_add_co_u32 v34, vcc_lo, s10, v32
	v_add_co_ci_u32_e32 v35, vcc_lo, s11, v33, vcc_lo
	global_load_b128 v[30:33], v[30:31], off
	global_load_b128 v[34:37], v[34:35], off
	s_waitcnt vmcnt(12)
	v_fma_f64 v[42:43], v[42:43], v[46:47], v[38:39]
	v_fma_f64 v[44:45], v[44:45], v[46:47], v[40:41]
	v_lshlrev_b64 v[38:39], 3, v[12:13]
	v_add_nc_u32_e32 v12, 0x380, v12
	s_delay_alu instid0(VALU_DEP_2) | instskip(NEXT) | instid1(VALU_DEP_3)
	v_add_co_u32 v38, vcc_lo, s8, v38
	v_add_co_ci_u32_e32 v39, vcc_lo, s9, v39, vcc_lo
	v_cmp_ge_i32_e32 vcc_lo, v15, v17
	global_load_b128 v[38:41], v[38:39], off
	s_or_b32 s4, vcc_lo, s4
	s_waitcnt vmcnt(12)
	v_fma_f64 v[42:43], v[50:51], v[48:49], v[42:43]
	v_fma_f64 v[44:45], v[52:53], v[48:49], v[44:45]
	s_waitcnt vmcnt(10)
	s_delay_alu instid0(VALU_DEP_2) | instskip(NEXT) | instid1(VALU_DEP_2)
	v_fma_f64 v[42:43], v[54:55], v[58:59], v[42:43]
	v_fma_f64 v[44:45], v[56:57], v[58:59], v[44:45]
	s_waitcnt vmcnt(9)
	s_delay_alu instid0(VALU_DEP_2) | instskip(NEXT) | instid1(VALU_DEP_2)
	;; [unrolled: 4-line block ×8, first 2 shown]
	v_fma_f64 v[8:9], v[38:39], v[36:37], v[7:8]
	v_fma_f64 v[10:11], v[40:41], v[36:37], v[10:11]
	s_and_not1_b32 exec_lo, exec_lo, s4
	s_cbranch_execnz .LBB139_9
; %bb.10:
	s_or_b32 exec_lo, exec_lo, s4
.LBB139_11:
	s_delay_alu instid0(SALU_CYCLE_1)
	s_or_b32 exec_lo, exec_lo, s3
	s_cbranch_execz .LBB139_13
	s_branch .LBB139_18
.LBB139_12:
                                        ; implicit-def: $vgpr8_vgpr9
                                        ; implicit-def: $vgpr10_vgpr11
.LBB139_13:
	v_mov_b32_e32 v8, 0
	v_mov_b32_e32 v9, 0
	s_delay_alu instid0(VALU_DEP_1)
	v_dual_mov_b32 v11, v9 :: v_dual_mov_b32 v10, v8
	s_and_saveexec_b32 s3, s2
	s_cbranch_execz .LBB139_17
; %bb.14:
	v_mov_b32_e32 v8, 0
	v_dual_mov_b32 v9, 0 :: v_dual_mov_b32 v14, 0
	v_mad_u64_u32 v[12:13], null, v6, 28, 27
	s_mov_b32 s2, 0
	s_delay_alu instid0(VALU_DEP_2)
	v_dual_mov_b32 v11, v9 :: v_dual_mov_b32 v10, v8
.LBB139_15:                             ; =>This Inner Loop Header: Depth=1
	v_ashrrev_i32_e32 v7, 31, v6
	s_delay_alu instid0(VALU_DEP_3) | instskip(SKIP_1) | instid1(VALU_DEP_3)
	v_subrev_nc_u32_e32 v13, 27, v12
	v_mov_b32_e32 v47, v14
	v_lshlrev_b64 v[15:16], 2, v[6:7]
	v_add_nc_u32_e32 v6, 32, v6
	s_delay_alu instid0(VALU_DEP_4) | instskip(SKIP_1) | instid1(VALU_DEP_4)
	v_lshlrev_b64 v[18:19], 3, v[13:14]
	v_add_nc_u32_e32 v13, -12, v12
	v_add_co_u32 v15, vcc_lo, s6, v15
	v_add_co_ci_u32_e32 v16, vcc_lo, s7, v16, vcc_lo
	s_delay_alu instid0(VALU_DEP_4)
	v_add_co_u32 v22, vcc_lo, s8, v18
	v_add_co_ci_u32_e32 v23, vcc_lo, s9, v19, vcc_lo
	global_load_b32 v7, v[15:16], off
	v_dual_mov_b32 v16, v14 :: v_dual_add_nc_u32 v15, -13, v12
	s_clause 0x1
	global_load_b128 v[18:21], v[22:23], off offset:16
	global_load_b128 v[22:25], v[22:23], off
	v_lshlrev_b64 v[30:31], 3, v[13:14]
	v_lshlrev_b64 v[15:16], 3, v[15:16]
	s_delay_alu instid0(VALU_DEP_1) | instskip(NEXT) | instid1(VALU_DEP_2)
	v_add_co_u32 v15, vcc_lo, s8, v15
	v_add_co_ci_u32_e32 v16, vcc_lo, s9, v16, vcc_lo
	global_load_b64 v[15:16], v[15:16], off
	s_waitcnt vmcnt(3)
	v_subrev_nc_u32_e32 v7, s12, v7
	s_delay_alu instid0(VALU_DEP_1) | instskip(NEXT) | instid1(VALU_DEP_1)
	v_mul_lo_u32 v46, v7, 14
	v_lshlrev_b64 v[26:27], 3, v[46:47]
	v_add_nc_u32_e32 v13, 2, v46
	s_delay_alu instid0(VALU_DEP_2) | instskip(NEXT) | instid1(VALU_DEP_3)
	v_add_co_u32 v26, vcc_lo, s10, v26
	v_add_co_ci_u32_e32 v27, vcc_lo, s11, v27, vcc_lo
	v_add_co_u32 v30, vcc_lo, s8, v30
	v_add_co_ci_u32_e32 v31, vcc_lo, s9, v31, vcc_lo
	global_load_b128 v[26:29], v[26:27], off
	global_load_b64 v[47:48], v[30:31], off
	v_lshlrev_b64 v[30:31], 3, v[13:14]
	v_add_nc_u32_e32 v13, -11, v12
	s_delay_alu instid0(VALU_DEP_1) | instskip(NEXT) | instid1(VALU_DEP_3)
	v_lshlrev_b64 v[32:33], 3, v[13:14]
	v_add_co_u32 v30, vcc_lo, s10, v30
	s_delay_alu instid0(VALU_DEP_4) | instskip(SKIP_1) | instid1(VALU_DEP_4)
	v_add_co_ci_u32_e32 v31, vcc_lo, s11, v31, vcc_lo
	v_add_nc_u32_e32 v13, -10, v12
	v_add_co_u32 v34, vcc_lo, s8, v32
	v_add_co_ci_u32_e32 v35, vcc_lo, s9, v33, vcc_lo
	global_load_b128 v[30:33], v[30:31], off
	global_load_b64 v[49:50], v[34:35], off
	v_lshlrev_b64 v[34:35], 3, v[13:14]
	v_subrev_nc_u32_e32 v13, 23, v12
	s_delay_alu instid0(VALU_DEP_2) | instskip(NEXT) | instid1(VALU_DEP_3)
	v_add_co_u32 v34, vcc_lo, s8, v34
	v_add_co_ci_u32_e32 v35, vcc_lo, s9, v35, vcc_lo
	global_load_b64 v[51:52], v[34:35], off
	v_lshlrev_b64 v[34:35], 3, v[13:14]
	v_add_nc_u32_e32 v13, 4, v46
	s_delay_alu instid0(VALU_DEP_1) | instskip(SKIP_1) | instid1(VALU_DEP_4)
	v_lshlrev_b64 v[36:37], 3, v[13:14]
	v_add_nc_u32_e32 v13, -9, v12
	v_add_co_u32 v34, vcc_lo, s8, v34
	v_add_co_ci_u32_e32 v35, vcc_lo, s9, v35, vcc_lo
	s_delay_alu instid0(VALU_DEP_3) | instskip(SKIP_3) | instid1(VALU_DEP_4)
	v_lshlrev_b64 v[38:39], 3, v[13:14]
	v_add_co_u32 v36, vcc_lo, s10, v36
	v_add_co_ci_u32_e32 v37, vcc_lo, s11, v37, vcc_lo
	v_subrev_nc_u32_e32 v13, 22, v12
	v_add_co_u32 v38, vcc_lo, s8, v38
	v_add_co_ci_u32_e32 v39, vcc_lo, s9, v39, vcc_lo
	global_load_b64 v[53:54], v[34:35], off
	global_load_b128 v[34:37], v[36:37], off
	global_load_b64 v[55:56], v[38:39], off
	v_lshlrev_b64 v[38:39], 3, v[13:14]
	v_add_nc_u32_e32 v13, -8, v12
	s_delay_alu instid0(VALU_DEP_1) | instskip(NEXT) | instid1(VALU_DEP_3)
	v_lshlrev_b64 v[40:41], 3, v[13:14]
	v_add_co_u32 v38, vcc_lo, s8, v38
	s_delay_alu instid0(VALU_DEP_4) | instskip(SKIP_1) | instid1(VALU_DEP_4)
	v_add_co_ci_u32_e32 v39, vcc_lo, s9, v39, vcc_lo
	v_subrev_nc_u32_e32 v13, 21, v12
	v_add_co_u32 v40, vcc_lo, s8, v40
	v_add_co_ci_u32_e32 v41, vcc_lo, s9, v41, vcc_lo
	s_clause 0x1
	global_load_b64 v[57:58], v[38:39], off
	global_load_b64 v[59:60], v[40:41], off
	v_lshlrev_b64 v[38:39], 3, v[13:14]
	v_add_nc_u32_e32 v13, 6, v46
	s_delay_alu instid0(VALU_DEP_1) | instskip(SKIP_1) | instid1(VALU_DEP_4)
	v_lshlrev_b64 v[40:41], 3, v[13:14]
	v_add_nc_u32_e32 v13, -7, v12
	v_add_co_u32 v38, vcc_lo, s8, v38
	v_add_co_ci_u32_e32 v39, vcc_lo, s9, v39, vcc_lo
	s_delay_alu instid0(VALU_DEP_3) | instskip(SKIP_3) | instid1(VALU_DEP_4)
	v_lshlrev_b64 v[42:43], 3, v[13:14]
	v_add_co_u32 v40, vcc_lo, s10, v40
	v_add_co_ci_u32_e32 v41, vcc_lo, s11, v41, vcc_lo
	v_subrev_nc_u32_e32 v13, 20, v12
	v_add_co_u32 v42, vcc_lo, s8, v42
	v_add_co_ci_u32_e32 v43, vcc_lo, s9, v43, vcc_lo
	global_load_b64 v[61:62], v[38:39], off
	global_load_b128 v[38:41], v[40:41], off
	global_load_b64 v[63:64], v[42:43], off
	v_lshlrev_b64 v[42:43], 3, v[13:14]
	v_add_nc_u32_e32 v13, -6, v12
	s_delay_alu instid0(VALU_DEP_1) | instskip(NEXT) | instid1(VALU_DEP_3)
	v_lshlrev_b64 v[44:45], 3, v[13:14]
	v_add_co_u32 v42, vcc_lo, s8, v42
	s_delay_alu instid0(VALU_DEP_4) | instskip(SKIP_1) | instid1(VALU_DEP_4)
	v_add_co_ci_u32_e32 v43, vcc_lo, s9, v43, vcc_lo
	v_subrev_nc_u32_e32 v13, 19, v12
	v_add_co_u32 v44, vcc_lo, s8, v44
	v_add_co_ci_u32_e32 v45, vcc_lo, s9, v45, vcc_lo
	s_clause 0x1
	global_load_b64 v[65:66], v[42:43], off
	global_load_b64 v[67:68], v[44:45], off
	v_lshlrev_b64 v[42:43], 3, v[13:14]
	v_add_nc_u32_e32 v13, 8, v46
	s_delay_alu instid0(VALU_DEP_1) | instskip(SKIP_1) | instid1(VALU_DEP_4)
	v_lshlrev_b64 v[44:45], 3, v[13:14]
	v_add_nc_u32_e32 v13, -5, v12
	v_add_co_u32 v42, vcc_lo, s8, v42
	v_add_co_ci_u32_e32 v43, vcc_lo, s9, v43, vcc_lo
	s_delay_alu instid0(VALU_DEP_3) | instskip(SKIP_3) | instid1(VALU_DEP_4)
	v_lshlrev_b64 v[69:70], 3, v[13:14]
	v_add_co_u32 v44, vcc_lo, s10, v44
	v_add_co_ci_u32_e32 v45, vcc_lo, s11, v45, vcc_lo
	v_subrev_nc_u32_e32 v13, 18, v12
	v_add_co_u32 v69, vcc_lo, s8, v69
	v_add_co_ci_u32_e32 v70, vcc_lo, s9, v70, vcc_lo
	global_load_b64 v[71:72], v[42:43], off
	global_load_b128 v[42:45], v[44:45], off
	global_load_b64 v[69:70], v[69:70], off
	s_waitcnt vmcnt(17)
	v_fma_f64 v[7:8], v[22:23], v[26:27], v[8:9]
	v_fma_f64 v[9:10], v[15:16], v[26:27], v[10:11]
	v_lshlrev_b64 v[15:16], 3, v[13:14]
	v_add_nc_u32_e32 v13, -4, v12
	s_delay_alu instid0(VALU_DEP_1) | instskip(NEXT) | instid1(VALU_DEP_3)
	v_lshlrev_b64 v[22:23], 3, v[13:14]
	v_add_co_u32 v15, vcc_lo, s8, v15
	s_delay_alu instid0(VALU_DEP_4) | instskip(SKIP_1) | instid1(VALU_DEP_4)
	v_add_co_ci_u32_e32 v16, vcc_lo, s9, v16, vcc_lo
	v_subrev_nc_u32_e32 v13, 17, v12
	v_add_co_u32 v22, vcc_lo, s8, v22
	v_add_co_ci_u32_e32 v23, vcc_lo, s9, v23, vcc_lo
	s_clause 0x1
	global_load_b64 v[15:16], v[15:16], off
	global_load_b64 v[22:23], v[22:23], off
	v_lshlrev_b64 v[26:27], 3, v[13:14]
	v_add_nc_u32_e32 v13, 10, v46
	v_fma_f64 v[24:25], v[24:25], v[28:29], v[7:8]
	s_waitcnt vmcnt(18)
	v_fma_f64 v[28:29], v[47:48], v[28:29], v[9:10]
	s_delay_alu instid0(VALU_DEP_3) | instskip(SKIP_3) | instid1(VALU_DEP_3)
	v_lshlrev_b64 v[7:8], 3, v[13:14]
	v_add_nc_u32_e32 v13, -3, v12
	v_add_co_u32 v9, vcc_lo, s8, v26
	v_add_co_ci_u32_e32 v10, vcc_lo, s9, v27, vcc_lo
	v_lshlrev_b64 v[26:27], 3, v[13:14]
	v_add_co_u32 v7, vcc_lo, s10, v7
	v_add_co_ci_u32_e32 v8, vcc_lo, s11, v8, vcc_lo
	v_add_nc_u32_e32 v13, -16, v12
	s_delay_alu instid0(VALU_DEP_4)
	v_add_co_u32 v26, vcc_lo, s8, v26
	v_add_co_ci_u32_e32 v27, vcc_lo, s9, v27, vcc_lo
	global_load_b64 v[47:48], v[9:10], off
	global_load_b128 v[7:10], v[7:8], off
	global_load_b64 v[26:27], v[26:27], off
	s_waitcnt vmcnt(20)
	v_fma_f64 v[18:19], v[18:19], v[30:31], v[24:25]
	s_waitcnt vmcnt(19)
	v_fma_f64 v[24:25], v[49:50], v[30:31], v[28:29]
	v_lshlrev_b64 v[28:29], 3, v[13:14]
	v_add_nc_u32_e32 v13, -2, v12
	s_delay_alu instid0(VALU_DEP_1) | instskip(NEXT) | instid1(VALU_DEP_3)
	v_lshlrev_b64 v[30:31], 3, v[13:14]
	v_add_co_u32 v28, vcc_lo, s8, v28
	s_delay_alu instid0(VALU_DEP_4) | instskip(SKIP_1) | instid1(VALU_DEP_4)
	v_add_co_ci_u32_e32 v29, vcc_lo, s9, v29, vcc_lo
	v_add_nc_u32_e32 v13, -15, v12
	v_add_co_u32 v30, vcc_lo, s8, v30
	v_add_co_ci_u32_e32 v31, vcc_lo, s9, v31, vcc_lo
	s_clause 0x1
	global_load_b64 v[28:29], v[28:29], off
	global_load_b64 v[30:31], v[30:31], off
	v_lshlrev_b64 v[49:50], 3, v[13:14]
	v_add_nc_u32_e32 v13, 12, v46
	v_fma_f64 v[73:74], v[20:21], v[32:33], v[18:19]
	s_waitcnt vmcnt(20)
	v_fma_f64 v[24:25], v[51:52], v[32:33], v[24:25]
	s_delay_alu instid0(VALU_DEP_3) | instskip(SKIP_3) | instid1(VALU_DEP_3)
	v_lshlrev_b64 v[18:19], 3, v[13:14]
	v_add_nc_u32_e32 v13, -1, v12
	v_add_co_u32 v20, vcc_lo, s8, v49
	v_add_co_ci_u32_e32 v21, vcc_lo, s9, v50, vcc_lo
	v_lshlrev_b64 v[32:33], 3, v[13:14]
	v_add_co_u32 v18, vcc_lo, s10, v18
	v_add_co_ci_u32_e32 v19, vcc_lo, s11, v19, vcc_lo
	v_mov_b32_e32 v13, v14
	s_delay_alu instid0(VALU_DEP_4)
	v_add_co_u32 v32, vcc_lo, s8, v32
	v_add_co_ci_u32_e32 v33, vcc_lo, s9, v33, vcc_lo
	global_load_b64 v[49:50], v[20:21], off
	global_load_b128 v[18:21], v[18:19], off
	global_load_b64 v[32:33], v[32:33], off
	s_waitcnt vmcnt(21)
	v_fma_f64 v[51:52], v[53:54], v[34:35], v[73:74]
	s_waitcnt vmcnt(20)
	v_fma_f64 v[24:25], v[55:56], v[34:35], v[24:25]
	v_lshlrev_b64 v[34:35], 3, v[12:13]
	v_add_nc_u32_e32 v13, -14, v12
	v_add_nc_u32_e32 v12, 0x380, v12
	s_delay_alu instid0(VALU_DEP_2) | instskip(NEXT) | instid1(VALU_DEP_4)
	v_lshlrev_b64 v[53:54], 3, v[13:14]
	v_add_co_u32 v34, vcc_lo, s8, v34
	v_add_co_ci_u32_e32 v35, vcc_lo, s9, v35, vcc_lo
	s_delay_alu instid0(VALU_DEP_3) | instskip(NEXT) | instid1(VALU_DEP_4)
	v_add_co_u32 v53, vcc_lo, s8, v53
	v_add_co_ci_u32_e32 v54, vcc_lo, s9, v54, vcc_lo
	s_clause 0x1
	global_load_b64 v[53:54], v[53:54], off
	global_load_b64 v[34:35], v[34:35], off
	v_cmp_ge_i32_e32 vcc_lo, v6, v17
	s_or_b32 s2, vcc_lo, s2
	s_waitcnt vmcnt(21)
	v_fma_f64 v[51:52], v[57:58], v[36:37], v[51:52]
	s_waitcnt vmcnt(20)
	v_fma_f64 v[24:25], v[59:60], v[36:37], v[24:25]
	s_waitcnt vmcnt(18)
	s_delay_alu instid0(VALU_DEP_2) | instskip(SKIP_1) | instid1(VALU_DEP_2)
	v_fma_f64 v[36:37], v[61:62], v[38:39], v[51:52]
	s_waitcnt vmcnt(17)
	v_fma_f64 v[24:25], v[63:64], v[38:39], v[24:25]
	s_waitcnt vmcnt(16)
	s_delay_alu instid0(VALU_DEP_2) | instskip(SKIP_1) | instid1(VALU_DEP_2)
	;; [unrolled: 5-line block ×8, first 2 shown]
	v_fma_f64 v[8:9], v[53:54], v[20:21], v[9:10]
	s_waitcnt vmcnt(0)
	v_fma_f64 v[10:11], v[34:35], v[20:21], v[15:16]
	s_and_not1_b32 exec_lo, exec_lo, s2
	s_cbranch_execnz .LBB139_15
; %bb.16:
	s_or_b32 exec_lo, exec_lo, s2
.LBB139_17:
	s_delay_alu instid0(SALU_CYCLE_1)
	s_or_b32 exec_lo, exec_lo, s3
.LBB139_18:
	v_mbcnt_lo_u32_b32 v14, -1, 0
	s_delay_alu instid0(VALU_DEP_1) | instskip(NEXT) | instid1(VALU_DEP_1)
	v_xor_b32_e32 v6, 16, v14
	v_cmp_gt_i32_e32 vcc_lo, 32, v6
	v_cndmask_b32_e32 v6, v14, v6, vcc_lo
	s_delay_alu instid0(VALU_DEP_1)
	v_lshlrev_b32_e32 v13, 2, v6
	ds_bpermute_b32 v6, v13, v8
	ds_bpermute_b32 v7, v13, v9
	;; [unrolled: 1-line block ×4, first 2 shown]
	s_waitcnt lgkmcnt(2)
	v_add_f64 v[6:7], v[8:9], v[6:7]
	s_waitcnt lgkmcnt(0)
	v_add_f64 v[8:9], v[10:11], v[12:13]
	v_xor_b32_e32 v10, 8, v14
	s_delay_alu instid0(VALU_DEP_1) | instskip(SKIP_1) | instid1(VALU_DEP_1)
	v_cmp_gt_i32_e32 vcc_lo, 32, v10
	v_cndmask_b32_e32 v10, v14, v10, vcc_lo
	v_lshlrev_b32_e32 v13, 2, v10
	ds_bpermute_b32 v10, v13, v6
	ds_bpermute_b32 v11, v13, v7
	ds_bpermute_b32 v12, v13, v8
	ds_bpermute_b32 v13, v13, v9
	s_waitcnt lgkmcnt(2)
	v_add_f64 v[6:7], v[6:7], v[10:11]
	v_xor_b32_e32 v10, 4, v14
	s_waitcnt lgkmcnt(0)
	v_add_f64 v[8:9], v[8:9], v[12:13]
	s_delay_alu instid0(VALU_DEP_2) | instskip(SKIP_1) | instid1(VALU_DEP_1)
	v_cmp_gt_i32_e32 vcc_lo, 32, v10
	v_cndmask_b32_e32 v10, v14, v10, vcc_lo
	v_lshlrev_b32_e32 v13, 2, v10
	ds_bpermute_b32 v10, v13, v6
	ds_bpermute_b32 v11, v13, v7
	;; [unrolled: 1-line block ×4, first 2 shown]
	s_waitcnt lgkmcnt(2)
	v_add_f64 v[6:7], v[6:7], v[10:11]
	v_xor_b32_e32 v10, 2, v14
	s_waitcnt lgkmcnt(0)
	v_add_f64 v[8:9], v[8:9], v[12:13]
	s_delay_alu instid0(VALU_DEP_2) | instskip(SKIP_1) | instid1(VALU_DEP_1)
	v_cmp_gt_i32_e32 vcc_lo, 32, v10
	v_cndmask_b32_e32 v10, v14, v10, vcc_lo
	v_lshlrev_b32_e32 v13, 2, v10
	ds_bpermute_b32 v10, v13, v6
	ds_bpermute_b32 v11, v13, v7
	;; [unrolled: 1-line block ×4, first 2 shown]
	s_waitcnt lgkmcnt(2)
	v_add_f64 v[6:7], v[6:7], v[10:11]
	s_waitcnt lgkmcnt(0)
	v_add_f64 v[10:11], v[8:9], v[12:13]
	v_xor_b32_e32 v8, 1, v14
	s_delay_alu instid0(VALU_DEP_1) | instskip(SKIP_2) | instid1(VALU_DEP_2)
	v_cmp_gt_i32_e32 vcc_lo, 32, v8
	v_cndmask_b32_e32 v8, v14, v8, vcc_lo
	v_cmp_eq_u32_e32 vcc_lo, 31, v0
	v_lshlrev_b32_e32 v13, 2, v8
	ds_bpermute_b32 v8, v13, v6
	ds_bpermute_b32 v9, v13, v7
	;; [unrolled: 1-line block ×4, first 2 shown]
	s_and_b32 exec_lo, exec_lo, vcc_lo
	s_cbranch_execz .LBB139_23
; %bb.19:
	s_waitcnt lgkmcnt(2)
	v_add_f64 v[8:9], v[6:7], v[8:9]
	s_waitcnt lgkmcnt(0)
	v_add_f64 v[6:7], v[10:11], v[12:13]
	s_load_b64 s[0:1], s[0:1], 0x38
	s_mov_b32 s2, exec_lo
	v_cmpx_eq_f64_e32 0, v[3:4]
	s_xor_b32 s2, exec_lo, s2
	s_cbranch_execz .LBB139_21
; %bb.20:
	s_delay_alu instid0(VALU_DEP_3) | instskip(NEXT) | instid1(VALU_DEP_3)
	v_mul_f64 v[8:9], v[1:2], v[8:9]
	v_mul_f64 v[10:11], v[1:2], v[6:7]
	v_lshlrev_b32_e32 v0, 1, v5
                                        ; implicit-def: $vgpr5
                                        ; implicit-def: $vgpr3_vgpr4
                                        ; implicit-def: $vgpr6_vgpr7
	s_delay_alu instid0(VALU_DEP_1) | instskip(NEXT) | instid1(VALU_DEP_1)
	v_ashrrev_i32_e32 v1, 31, v0
	v_lshlrev_b64 v[0:1], 3, v[0:1]
	s_waitcnt lgkmcnt(0)
	s_delay_alu instid0(VALU_DEP_1) | instskip(NEXT) | instid1(VALU_DEP_2)
	v_add_co_u32 v0, vcc_lo, s0, v0
	v_add_co_ci_u32_e32 v1, vcc_lo, s1, v1, vcc_lo
	global_store_b128 v[0:1], v[8:11], off
                                        ; implicit-def: $vgpr1_vgpr2
                                        ; implicit-def: $vgpr8_vgpr9
.LBB139_21:
	s_and_not1_saveexec_b32 s2, s2
	s_cbranch_execz .LBB139_23
; %bb.22:
	v_lshlrev_b32_e32 v10, 1, v5
	s_delay_alu instid0(VALU_DEP_4) | instskip(NEXT) | instid1(VALU_DEP_4)
	v_mul_f64 v[8:9], v[1:2], v[8:9]
	v_mul_f64 v[5:6], v[1:2], v[6:7]
	s_delay_alu instid0(VALU_DEP_3) | instskip(NEXT) | instid1(VALU_DEP_1)
	v_ashrrev_i32_e32 v11, 31, v10
	v_lshlrev_b64 v[10:11], 3, v[10:11]
	s_waitcnt lgkmcnt(0)
	s_delay_alu instid0(VALU_DEP_1) | instskip(NEXT) | instid1(VALU_DEP_2)
	v_add_co_u32 v14, vcc_lo, s0, v10
	v_add_co_ci_u32_e32 v15, vcc_lo, s1, v11, vcc_lo
	global_load_b128 v[10:13], v[14:15], off
	s_waitcnt vmcnt(0)
	v_fma_f64 v[0:1], v[3:4], v[10:11], v[8:9]
	v_fma_f64 v[2:3], v[3:4], v[12:13], v[5:6]
	global_store_b128 v[14:15], v[0:3], off
.LBB139_23:
	s_nop 0
	s_sendmsg sendmsg(MSG_DEALLOC_VGPRS)
	s_endpgm
	.section	.rodata,"a",@progbits
	.p2align	6, 0x0
	.amdhsa_kernel _ZN9rocsparseL19gebsrmvn_2xn_kernelILj128ELj14ELj32EdEEvi20rocsparse_direction_NS_24const_host_device_scalarIT2_EEPKiS6_PKS3_S8_S4_PS3_21rocsparse_index_base_b
		.amdhsa_group_segment_fixed_size 0
		.amdhsa_private_segment_fixed_size 0
		.amdhsa_kernarg_size 72
		.amdhsa_user_sgpr_count 15
		.amdhsa_user_sgpr_dispatch_ptr 0
		.amdhsa_user_sgpr_queue_ptr 0
		.amdhsa_user_sgpr_kernarg_segment_ptr 1
		.amdhsa_user_sgpr_dispatch_id 0
		.amdhsa_user_sgpr_private_segment_size 0
		.amdhsa_wavefront_size32 1
		.amdhsa_uses_dynamic_stack 0
		.amdhsa_enable_private_segment 0
		.amdhsa_system_sgpr_workgroup_id_x 1
		.amdhsa_system_sgpr_workgroup_id_y 0
		.amdhsa_system_sgpr_workgroup_id_z 0
		.amdhsa_system_sgpr_workgroup_info 0
		.amdhsa_system_vgpr_workitem_id 0
		.amdhsa_next_free_vgpr 76
		.amdhsa_next_free_sgpr 16
		.amdhsa_reserve_vcc 1
		.amdhsa_float_round_mode_32 0
		.amdhsa_float_round_mode_16_64 0
		.amdhsa_float_denorm_mode_32 3
		.amdhsa_float_denorm_mode_16_64 3
		.amdhsa_dx10_clamp 1
		.amdhsa_ieee_mode 1
		.amdhsa_fp16_overflow 0
		.amdhsa_workgroup_processor_mode 1
		.amdhsa_memory_ordered 1
		.amdhsa_forward_progress 0
		.amdhsa_shared_vgpr_count 0
		.amdhsa_exception_fp_ieee_invalid_op 0
		.amdhsa_exception_fp_denorm_src 0
		.amdhsa_exception_fp_ieee_div_zero 0
		.amdhsa_exception_fp_ieee_overflow 0
		.amdhsa_exception_fp_ieee_underflow 0
		.amdhsa_exception_fp_ieee_inexact 0
		.amdhsa_exception_int_div_zero 0
	.end_amdhsa_kernel
	.section	.text._ZN9rocsparseL19gebsrmvn_2xn_kernelILj128ELj14ELj32EdEEvi20rocsparse_direction_NS_24const_host_device_scalarIT2_EEPKiS6_PKS3_S8_S4_PS3_21rocsparse_index_base_b,"axG",@progbits,_ZN9rocsparseL19gebsrmvn_2xn_kernelILj128ELj14ELj32EdEEvi20rocsparse_direction_NS_24const_host_device_scalarIT2_EEPKiS6_PKS3_S8_S4_PS3_21rocsparse_index_base_b,comdat
.Lfunc_end139:
	.size	_ZN9rocsparseL19gebsrmvn_2xn_kernelILj128ELj14ELj32EdEEvi20rocsparse_direction_NS_24const_host_device_scalarIT2_EEPKiS6_PKS3_S8_S4_PS3_21rocsparse_index_base_b, .Lfunc_end139-_ZN9rocsparseL19gebsrmvn_2xn_kernelILj128ELj14ELj32EdEEvi20rocsparse_direction_NS_24const_host_device_scalarIT2_EEPKiS6_PKS3_S8_S4_PS3_21rocsparse_index_base_b
                                        ; -- End function
	.section	.AMDGPU.csdata,"",@progbits
; Kernel info:
; codeLenInByte = 3788
; NumSgprs: 18
; NumVgprs: 76
; ScratchSize: 0
; MemoryBound: 1
; FloatMode: 240
; IeeeMode: 1
; LDSByteSize: 0 bytes/workgroup (compile time only)
; SGPRBlocks: 2
; VGPRBlocks: 9
; NumSGPRsForWavesPerEU: 18
; NumVGPRsForWavesPerEU: 76
; Occupancy: 16
; WaveLimiterHint : 1
; COMPUTE_PGM_RSRC2:SCRATCH_EN: 0
; COMPUTE_PGM_RSRC2:USER_SGPR: 15
; COMPUTE_PGM_RSRC2:TRAP_HANDLER: 0
; COMPUTE_PGM_RSRC2:TGID_X_EN: 1
; COMPUTE_PGM_RSRC2:TGID_Y_EN: 0
; COMPUTE_PGM_RSRC2:TGID_Z_EN: 0
; COMPUTE_PGM_RSRC2:TIDIG_COMP_CNT: 0
	.section	.text._ZN9rocsparseL19gebsrmvn_2xn_kernelILj128ELj14ELj64EdEEvi20rocsparse_direction_NS_24const_host_device_scalarIT2_EEPKiS6_PKS3_S8_S4_PS3_21rocsparse_index_base_b,"axG",@progbits,_ZN9rocsparseL19gebsrmvn_2xn_kernelILj128ELj14ELj64EdEEvi20rocsparse_direction_NS_24const_host_device_scalarIT2_EEPKiS6_PKS3_S8_S4_PS3_21rocsparse_index_base_b,comdat
	.globl	_ZN9rocsparseL19gebsrmvn_2xn_kernelILj128ELj14ELj64EdEEvi20rocsparse_direction_NS_24const_host_device_scalarIT2_EEPKiS6_PKS3_S8_S4_PS3_21rocsparse_index_base_b ; -- Begin function _ZN9rocsparseL19gebsrmvn_2xn_kernelILj128ELj14ELj64EdEEvi20rocsparse_direction_NS_24const_host_device_scalarIT2_EEPKiS6_PKS3_S8_S4_PS3_21rocsparse_index_base_b
	.p2align	8
	.type	_ZN9rocsparseL19gebsrmvn_2xn_kernelILj128ELj14ELj64EdEEvi20rocsparse_direction_NS_24const_host_device_scalarIT2_EEPKiS6_PKS3_S8_S4_PS3_21rocsparse_index_base_b,@function
_ZN9rocsparseL19gebsrmvn_2xn_kernelILj128ELj14ELj64EdEEvi20rocsparse_direction_NS_24const_host_device_scalarIT2_EEPKiS6_PKS3_S8_S4_PS3_21rocsparse_index_base_b: ; @_ZN9rocsparseL19gebsrmvn_2xn_kernelILj128ELj14ELj64EdEEvi20rocsparse_direction_NS_24const_host_device_scalarIT2_EEPKiS6_PKS3_S8_S4_PS3_21rocsparse_index_base_b
; %bb.0:
	s_clause 0x2
	s_load_b64 s[12:13], s[0:1], 0x40
	s_load_b64 s[4:5], s[0:1], 0x8
	s_load_b64 s[2:3], s[0:1], 0x30
	s_waitcnt lgkmcnt(0)
	s_bitcmp1_b32 s13, 0
	v_dual_mov_b32 v1, s4 :: v_dual_mov_b32 v2, s5
	s_cselect_b32 s6, -1, 0
	s_delay_alu instid0(SALU_CYCLE_1)
	s_and_b32 vcc_lo, exec_lo, s6
	s_xor_b32 s6, s6, -1
	s_cbranch_vccnz .LBB140_2
; %bb.1:
	v_dual_mov_b32 v1, s4 :: v_dual_mov_b32 v2, s5
	flat_load_b64 v[1:2], v[1:2]
.LBB140_2:
	v_dual_mov_b32 v4, s3 :: v_dual_mov_b32 v3, s2
	s_and_not1_b32 vcc_lo, exec_lo, s6
	s_cbranch_vccnz .LBB140_4
; %bb.3:
	v_dual_mov_b32 v4, s3 :: v_dual_mov_b32 v3, s2
	flat_load_b64 v[3:4], v[3:4]
.LBB140_4:
	s_waitcnt vmcnt(0) lgkmcnt(0)
	v_cmp_neq_f64_e32 vcc_lo, 0, v[1:2]
	v_cmp_neq_f64_e64 s2, 1.0, v[3:4]
	s_delay_alu instid0(VALU_DEP_1) | instskip(NEXT) | instid1(SALU_CYCLE_1)
	s_or_b32 s2, vcc_lo, s2
	s_and_saveexec_b32 s3, s2
	s_cbranch_execz .LBB140_23
; %bb.5:
	s_load_b64 s[2:3], s[0:1], 0x0
	v_lshrrev_b32_e32 v5, 6, v0
	s_delay_alu instid0(VALU_DEP_1) | instskip(SKIP_1) | instid1(VALU_DEP_1)
	v_lshl_or_b32 v5, s15, 1, v5
	s_waitcnt lgkmcnt(0)
	v_cmp_gt_i32_e32 vcc_lo, s2, v5
	s_and_b32 exec_lo, exec_lo, vcc_lo
	s_cbranch_execz .LBB140_23
; %bb.6:
	s_load_b256 s[4:11], s[0:1], 0x10
	v_ashrrev_i32_e32 v6, 31, v5
	v_and_b32_e32 v0, 63, v0
	s_cmp_lg_u32 s3, 0
	s_delay_alu instid0(VALU_DEP_2) | instskip(SKIP_1) | instid1(VALU_DEP_1)
	v_lshlrev_b64 v[6:7], 2, v[5:6]
	s_waitcnt lgkmcnt(0)
	v_add_co_u32 v6, vcc_lo, s4, v6
	s_delay_alu instid0(VALU_DEP_2) | instskip(SKIP_4) | instid1(VALU_DEP_2)
	v_add_co_ci_u32_e32 v7, vcc_lo, s5, v7, vcc_lo
	global_load_b64 v[6:7], v[6:7], off
	s_waitcnt vmcnt(0)
	v_subrev_nc_u32_e32 v6, s12, v6
	v_subrev_nc_u32_e32 v17, s12, v7
	v_add_nc_u32_e32 v6, v6, v0
	s_delay_alu instid0(VALU_DEP_1)
	v_cmp_lt_i32_e64 s2, v6, v17
	s_cbranch_scc0 .LBB140_12
; %bb.7:
	v_mov_b32_e32 v8, 0
	v_mov_b32_e32 v9, 0
	s_delay_alu instid0(VALU_DEP_1)
	v_dual_mov_b32 v11, v9 :: v_dual_mov_b32 v10, v8
	s_and_saveexec_b32 s3, s2
	s_cbranch_execz .LBB140_11
; %bb.8:
	v_dual_mov_b32 v8, 0 :: v_dual_mov_b32 v15, v6
	v_dual_mov_b32 v9, 0 :: v_dual_mov_b32 v14, 0
	v_mad_u64_u32 v[12:13], null, v6, 28, 26
	s_mov_b32 s4, 0
	s_delay_alu instid0(VALU_DEP_2)
	v_dual_mov_b32 v11, v9 :: v_dual_mov_b32 v10, v8
.LBB140_9:                              ; =>This Inner Loop Header: Depth=1
	v_ashrrev_i32_e32 v16, 31, v15
	s_delay_alu instid0(VALU_DEP_3) | instskip(SKIP_1) | instid1(VALU_DEP_3)
	v_subrev_nc_u32_e32 v13, 26, v12
	v_mov_b32_e32 v75, v14
	v_lshlrev_b64 v[18:19], 2, v[15:16]
	v_add_nc_u32_e32 v15, 64, v15
	s_delay_alu instid0(VALU_DEP_2) | instskip(NEXT) | instid1(VALU_DEP_3)
	v_add_co_u32 v18, vcc_lo, s6, v18
	v_add_co_ci_u32_e32 v19, vcc_lo, s7, v19, vcc_lo
	global_load_b32 v7, v[18:19], off
	v_lshlrev_b64 v[18:19], 3, v[13:14]
	v_subrev_nc_u32_e32 v13, 22, v12
	s_delay_alu instid0(VALU_DEP_1) | instskip(NEXT) | instid1(VALU_DEP_3)
	v_lshlrev_b64 v[30:31], 3, v[13:14]
	v_add_co_u32 v22, vcc_lo, s8, v18
	s_delay_alu instid0(VALU_DEP_4)
	v_add_co_ci_u32_e32 v23, vcc_lo, s9, v19, vcc_lo
	s_clause 0x1
	global_load_b128 v[18:21], v[22:23], off offset:16
	global_load_b128 v[22:25], v[22:23], off
	s_waitcnt vmcnt(2)
	v_subrev_nc_u32_e32 v7, s12, v7
	s_delay_alu instid0(VALU_DEP_1) | instskip(NEXT) | instid1(VALU_DEP_1)
	v_mul_lo_u32 v74, v7, 14
	v_lshlrev_b64 v[26:27], 3, v[74:75]
	v_add_nc_u32_e32 v13, 2, v74
	s_delay_alu instid0(VALU_DEP_1) | instskip(NEXT) | instid1(VALU_DEP_3)
	v_lshlrev_b64 v[34:35], 3, v[13:14]
	v_add_co_u32 v26, vcc_lo, s10, v26
	s_delay_alu instid0(VALU_DEP_4)
	v_add_co_ci_u32_e32 v27, vcc_lo, s11, v27, vcc_lo
	v_add_co_u32 v30, vcc_lo, s8, v30
	v_add_co_ci_u32_e32 v31, vcc_lo, s9, v31, vcc_lo
	global_load_b128 v[26:29], v[26:27], off
	v_add_co_u32 v34, vcc_lo, s10, v34
	v_add_co_ci_u32_e32 v35, vcc_lo, s11, v35, vcc_lo
	global_load_b128 v[30:33], v[30:31], off
	v_subrev_nc_u32_e32 v13, 20, v12
	global_load_b128 v[34:37], v[34:35], off
	v_lshlrev_b64 v[38:39], 3, v[13:14]
	v_subrev_nc_u32_e32 v13, 18, v12
	s_delay_alu instid0(VALU_DEP_2) | instskip(NEXT) | instid1(VALU_DEP_3)
	v_add_co_u32 v38, vcc_lo, s8, v38
	v_add_co_ci_u32_e32 v39, vcc_lo, s9, v39, vcc_lo
	s_delay_alu instid0(VALU_DEP_3)
	v_lshlrev_b64 v[42:43], 3, v[13:14]
	v_add_nc_u32_e32 v13, 4, v74
	global_load_b128 v[38:41], v[38:39], off
	v_lshlrev_b64 v[44:45], 3, v[13:14]
	v_add_co_u32 v42, vcc_lo, s8, v42
	v_add_co_ci_u32_e32 v43, vcc_lo, s9, v43, vcc_lo
	v_add_nc_u32_e32 v13, -16, v12
	s_delay_alu instid0(VALU_DEP_4)
	v_add_co_u32 v46, vcc_lo, s10, v44
	v_add_co_ci_u32_e32 v47, vcc_lo, s11, v45, vcc_lo
	global_load_b128 v[42:45], v[42:43], off
	global_load_b128 v[46:49], v[46:47], off
	v_lshlrev_b64 v[50:51], 3, v[13:14]
	v_add_nc_u32_e32 v13, -14, v12
	s_delay_alu instid0(VALU_DEP_2) | instskip(NEXT) | instid1(VALU_DEP_3)
	v_add_co_u32 v50, vcc_lo, s8, v50
	v_add_co_ci_u32_e32 v51, vcc_lo, s9, v51, vcc_lo
	s_delay_alu instid0(VALU_DEP_3)
	v_lshlrev_b64 v[54:55], 3, v[13:14]
	v_add_nc_u32_e32 v13, 6, v74
	global_load_b128 v[50:53], v[50:51], off
	v_lshlrev_b64 v[56:57], 3, v[13:14]
	v_add_co_u32 v54, vcc_lo, s8, v54
	v_add_co_ci_u32_e32 v55, vcc_lo, s9, v55, vcc_lo
	v_add_nc_u32_e32 v13, -12, v12
	s_delay_alu instid0(VALU_DEP_4)
	v_add_co_u32 v58, vcc_lo, s10, v56
	v_add_co_ci_u32_e32 v59, vcc_lo, s11, v57, vcc_lo
	global_load_b128 v[54:57], v[54:55], off
	global_load_b128 v[58:61], v[58:59], off
	v_lshlrev_b64 v[62:63], 3, v[13:14]
	v_add_nc_u32_e32 v13, -10, v12
	s_delay_alu instid0(VALU_DEP_2) | instskip(NEXT) | instid1(VALU_DEP_3)
	v_add_co_u32 v62, vcc_lo, s8, v62
	v_add_co_ci_u32_e32 v63, vcc_lo, s9, v63, vcc_lo
	s_delay_alu instid0(VALU_DEP_3)
	v_lshlrev_b64 v[66:67], 3, v[13:14]
	v_add_nc_u32_e32 v13, 8, v74
	global_load_b128 v[62:65], v[62:63], off
	v_lshlrev_b64 v[68:69], 3, v[13:14]
	v_add_co_u32 v66, vcc_lo, s8, v66
	v_add_co_ci_u32_e32 v67, vcc_lo, s9, v67, vcc_lo
	v_add_nc_u32_e32 v13, -8, v12
	s_delay_alu instid0(VALU_DEP_4)
	v_add_co_u32 v70, vcc_lo, s10, v68
	v_add_co_ci_u32_e32 v71, vcc_lo, s11, v69, vcc_lo
	global_load_b128 v[66:69], v[66:67], off
	global_load_b128 v[70:73], v[70:71], off
	s_waitcnt vmcnt(11)
	v_fma_f64 v[22:23], v[22:23], v[26:27], v[8:9]
	v_fma_f64 v[24:25], v[24:25], v[26:27], v[10:11]
	v_lshlrev_b64 v[7:8], 3, v[13:14]
	v_add_nc_u32_e32 v13, -6, v12
	s_delay_alu instid0(VALU_DEP_2) | instskip(NEXT) | instid1(VALU_DEP_3)
	v_add_co_u32 v7, vcc_lo, s8, v7
	v_add_co_ci_u32_e32 v8, vcc_lo, s9, v8, vcc_lo
	global_load_b128 v[7:10], v[7:8], off
	v_fma_f64 v[26:27], v[18:19], v[28:29], v[22:23]
	v_fma_f64 v[28:29], v[20:21], v[28:29], v[24:25]
	v_lshlrev_b64 v[18:19], 3, v[13:14]
	v_add_nc_u32_e32 v13, 10, v74
	s_delay_alu instid0(VALU_DEP_1) | instskip(NEXT) | instid1(VALU_DEP_3)
	v_lshlrev_b64 v[20:21], 3, v[13:14]
	v_add_co_u32 v18, vcc_lo, s8, v18
	s_delay_alu instid0(VALU_DEP_4) | instskip(SKIP_1) | instid1(VALU_DEP_4)
	v_add_co_ci_u32_e32 v19, vcc_lo, s9, v19, vcc_lo
	v_add_nc_u32_e32 v13, -4, v12
	v_add_co_u32 v22, vcc_lo, s10, v20
	v_add_co_ci_u32_e32 v23, vcc_lo, s11, v21, vcc_lo
	global_load_b128 v[18:21], v[18:19], off
	global_load_b128 v[22:25], v[22:23], off
	s_waitcnt vmcnt(12)
	v_fma_f64 v[30:31], v[30:31], v[34:35], v[26:27]
	v_fma_f64 v[32:33], v[32:33], v[34:35], v[28:29]
	v_lshlrev_b64 v[26:27], 3, v[13:14]
	v_add_nc_u32_e32 v13, -2, v12
	s_delay_alu instid0(VALU_DEP_2) | instskip(NEXT) | instid1(VALU_DEP_3)
	v_add_co_u32 v26, vcc_lo, s8, v26
	v_add_co_ci_u32_e32 v27, vcc_lo, s9, v27, vcc_lo
	global_load_b128 v[26:29], v[26:27], off
	s_waitcnt vmcnt(12)
	v_fma_f64 v[38:39], v[38:39], v[36:37], v[30:31]
	v_fma_f64 v[40:41], v[40:41], v[36:37], v[32:33]
	v_lshlrev_b64 v[30:31], 3, v[13:14]
	v_add_nc_u32_e32 v13, 12, v74
	s_delay_alu instid0(VALU_DEP_1) | instskip(NEXT) | instid1(VALU_DEP_3)
	v_lshlrev_b64 v[32:33], 3, v[13:14]
	v_add_co_u32 v30, vcc_lo, s8, v30
	s_delay_alu instid0(VALU_DEP_4) | instskip(SKIP_1) | instid1(VALU_DEP_4)
	v_add_co_ci_u32_e32 v31, vcc_lo, s9, v31, vcc_lo
	v_mov_b32_e32 v13, v14
	v_add_co_u32 v34, vcc_lo, s10, v32
	v_add_co_ci_u32_e32 v35, vcc_lo, s11, v33, vcc_lo
	global_load_b128 v[30:33], v[30:31], off
	global_load_b128 v[34:37], v[34:35], off
	s_waitcnt vmcnt(12)
	v_fma_f64 v[42:43], v[42:43], v[46:47], v[38:39]
	v_fma_f64 v[44:45], v[44:45], v[46:47], v[40:41]
	v_lshlrev_b64 v[38:39], 3, v[12:13]
	v_add_nc_u32_e32 v12, 0x700, v12
	s_delay_alu instid0(VALU_DEP_2) | instskip(NEXT) | instid1(VALU_DEP_3)
	v_add_co_u32 v38, vcc_lo, s8, v38
	v_add_co_ci_u32_e32 v39, vcc_lo, s9, v39, vcc_lo
	v_cmp_ge_i32_e32 vcc_lo, v15, v17
	global_load_b128 v[38:41], v[38:39], off
	s_or_b32 s4, vcc_lo, s4
	s_waitcnt vmcnt(12)
	v_fma_f64 v[42:43], v[50:51], v[48:49], v[42:43]
	v_fma_f64 v[44:45], v[52:53], v[48:49], v[44:45]
	s_waitcnt vmcnt(10)
	s_delay_alu instid0(VALU_DEP_2) | instskip(NEXT) | instid1(VALU_DEP_2)
	v_fma_f64 v[42:43], v[54:55], v[58:59], v[42:43]
	v_fma_f64 v[44:45], v[56:57], v[58:59], v[44:45]
	s_waitcnt vmcnt(9)
	s_delay_alu instid0(VALU_DEP_2) | instskip(NEXT) | instid1(VALU_DEP_2)
	;; [unrolled: 4-line block ×8, first 2 shown]
	v_fma_f64 v[8:9], v[38:39], v[36:37], v[7:8]
	v_fma_f64 v[10:11], v[40:41], v[36:37], v[10:11]
	s_and_not1_b32 exec_lo, exec_lo, s4
	s_cbranch_execnz .LBB140_9
; %bb.10:
	s_or_b32 exec_lo, exec_lo, s4
.LBB140_11:
	s_delay_alu instid0(SALU_CYCLE_1)
	s_or_b32 exec_lo, exec_lo, s3
	s_cbranch_execz .LBB140_13
	s_branch .LBB140_18
.LBB140_12:
                                        ; implicit-def: $vgpr8_vgpr9
                                        ; implicit-def: $vgpr10_vgpr11
.LBB140_13:
	v_mov_b32_e32 v8, 0
	v_mov_b32_e32 v9, 0
	s_delay_alu instid0(VALU_DEP_1)
	v_dual_mov_b32 v11, v9 :: v_dual_mov_b32 v10, v8
	s_and_saveexec_b32 s3, s2
	s_cbranch_execz .LBB140_17
; %bb.14:
	v_mov_b32_e32 v8, 0
	v_dual_mov_b32 v9, 0 :: v_dual_mov_b32 v14, 0
	v_mad_u64_u32 v[12:13], null, v6, 28, 27
	s_mov_b32 s2, 0
	s_delay_alu instid0(VALU_DEP_2)
	v_dual_mov_b32 v11, v9 :: v_dual_mov_b32 v10, v8
.LBB140_15:                             ; =>This Inner Loop Header: Depth=1
	v_ashrrev_i32_e32 v7, 31, v6
	s_delay_alu instid0(VALU_DEP_3) | instskip(SKIP_1) | instid1(VALU_DEP_3)
	v_subrev_nc_u32_e32 v13, 27, v12
	v_mov_b32_e32 v47, v14
	v_lshlrev_b64 v[15:16], 2, v[6:7]
	v_add_nc_u32_e32 v6, 64, v6
	s_delay_alu instid0(VALU_DEP_4) | instskip(SKIP_1) | instid1(VALU_DEP_4)
	v_lshlrev_b64 v[18:19], 3, v[13:14]
	v_add_nc_u32_e32 v13, -12, v12
	v_add_co_u32 v15, vcc_lo, s6, v15
	v_add_co_ci_u32_e32 v16, vcc_lo, s7, v16, vcc_lo
	s_delay_alu instid0(VALU_DEP_4)
	v_add_co_u32 v22, vcc_lo, s8, v18
	v_add_co_ci_u32_e32 v23, vcc_lo, s9, v19, vcc_lo
	global_load_b32 v7, v[15:16], off
	v_dual_mov_b32 v16, v14 :: v_dual_add_nc_u32 v15, -13, v12
	s_clause 0x1
	global_load_b128 v[18:21], v[22:23], off offset:16
	global_load_b128 v[22:25], v[22:23], off
	v_lshlrev_b64 v[30:31], 3, v[13:14]
	v_lshlrev_b64 v[15:16], 3, v[15:16]
	s_delay_alu instid0(VALU_DEP_1) | instskip(NEXT) | instid1(VALU_DEP_2)
	v_add_co_u32 v15, vcc_lo, s8, v15
	v_add_co_ci_u32_e32 v16, vcc_lo, s9, v16, vcc_lo
	global_load_b64 v[15:16], v[15:16], off
	s_waitcnt vmcnt(3)
	v_subrev_nc_u32_e32 v7, s12, v7
	s_delay_alu instid0(VALU_DEP_1) | instskip(NEXT) | instid1(VALU_DEP_1)
	v_mul_lo_u32 v46, v7, 14
	v_lshlrev_b64 v[26:27], 3, v[46:47]
	v_add_nc_u32_e32 v13, 2, v46
	s_delay_alu instid0(VALU_DEP_2) | instskip(NEXT) | instid1(VALU_DEP_3)
	v_add_co_u32 v26, vcc_lo, s10, v26
	v_add_co_ci_u32_e32 v27, vcc_lo, s11, v27, vcc_lo
	v_add_co_u32 v30, vcc_lo, s8, v30
	v_add_co_ci_u32_e32 v31, vcc_lo, s9, v31, vcc_lo
	global_load_b128 v[26:29], v[26:27], off
	global_load_b64 v[47:48], v[30:31], off
	v_lshlrev_b64 v[30:31], 3, v[13:14]
	v_add_nc_u32_e32 v13, -11, v12
	s_delay_alu instid0(VALU_DEP_1) | instskip(NEXT) | instid1(VALU_DEP_3)
	v_lshlrev_b64 v[32:33], 3, v[13:14]
	v_add_co_u32 v30, vcc_lo, s10, v30
	s_delay_alu instid0(VALU_DEP_4) | instskip(SKIP_1) | instid1(VALU_DEP_4)
	v_add_co_ci_u32_e32 v31, vcc_lo, s11, v31, vcc_lo
	v_add_nc_u32_e32 v13, -10, v12
	v_add_co_u32 v34, vcc_lo, s8, v32
	v_add_co_ci_u32_e32 v35, vcc_lo, s9, v33, vcc_lo
	global_load_b128 v[30:33], v[30:31], off
	global_load_b64 v[49:50], v[34:35], off
	v_lshlrev_b64 v[34:35], 3, v[13:14]
	v_subrev_nc_u32_e32 v13, 23, v12
	s_delay_alu instid0(VALU_DEP_2) | instskip(NEXT) | instid1(VALU_DEP_3)
	v_add_co_u32 v34, vcc_lo, s8, v34
	v_add_co_ci_u32_e32 v35, vcc_lo, s9, v35, vcc_lo
	global_load_b64 v[51:52], v[34:35], off
	v_lshlrev_b64 v[34:35], 3, v[13:14]
	v_add_nc_u32_e32 v13, 4, v46
	s_delay_alu instid0(VALU_DEP_1) | instskip(SKIP_1) | instid1(VALU_DEP_4)
	v_lshlrev_b64 v[36:37], 3, v[13:14]
	v_add_nc_u32_e32 v13, -9, v12
	v_add_co_u32 v34, vcc_lo, s8, v34
	v_add_co_ci_u32_e32 v35, vcc_lo, s9, v35, vcc_lo
	s_delay_alu instid0(VALU_DEP_3) | instskip(SKIP_3) | instid1(VALU_DEP_4)
	v_lshlrev_b64 v[38:39], 3, v[13:14]
	v_add_co_u32 v36, vcc_lo, s10, v36
	v_add_co_ci_u32_e32 v37, vcc_lo, s11, v37, vcc_lo
	v_subrev_nc_u32_e32 v13, 22, v12
	v_add_co_u32 v38, vcc_lo, s8, v38
	v_add_co_ci_u32_e32 v39, vcc_lo, s9, v39, vcc_lo
	global_load_b64 v[53:54], v[34:35], off
	global_load_b128 v[34:37], v[36:37], off
	global_load_b64 v[55:56], v[38:39], off
	v_lshlrev_b64 v[38:39], 3, v[13:14]
	v_add_nc_u32_e32 v13, -8, v12
	s_delay_alu instid0(VALU_DEP_1) | instskip(NEXT) | instid1(VALU_DEP_3)
	v_lshlrev_b64 v[40:41], 3, v[13:14]
	v_add_co_u32 v38, vcc_lo, s8, v38
	s_delay_alu instid0(VALU_DEP_4) | instskip(SKIP_1) | instid1(VALU_DEP_4)
	v_add_co_ci_u32_e32 v39, vcc_lo, s9, v39, vcc_lo
	v_subrev_nc_u32_e32 v13, 21, v12
	v_add_co_u32 v40, vcc_lo, s8, v40
	v_add_co_ci_u32_e32 v41, vcc_lo, s9, v41, vcc_lo
	s_clause 0x1
	global_load_b64 v[57:58], v[38:39], off
	global_load_b64 v[59:60], v[40:41], off
	v_lshlrev_b64 v[38:39], 3, v[13:14]
	v_add_nc_u32_e32 v13, 6, v46
	s_delay_alu instid0(VALU_DEP_1) | instskip(SKIP_1) | instid1(VALU_DEP_4)
	v_lshlrev_b64 v[40:41], 3, v[13:14]
	v_add_nc_u32_e32 v13, -7, v12
	v_add_co_u32 v38, vcc_lo, s8, v38
	v_add_co_ci_u32_e32 v39, vcc_lo, s9, v39, vcc_lo
	s_delay_alu instid0(VALU_DEP_3) | instskip(SKIP_3) | instid1(VALU_DEP_4)
	v_lshlrev_b64 v[42:43], 3, v[13:14]
	v_add_co_u32 v40, vcc_lo, s10, v40
	v_add_co_ci_u32_e32 v41, vcc_lo, s11, v41, vcc_lo
	v_subrev_nc_u32_e32 v13, 20, v12
	v_add_co_u32 v42, vcc_lo, s8, v42
	v_add_co_ci_u32_e32 v43, vcc_lo, s9, v43, vcc_lo
	global_load_b64 v[61:62], v[38:39], off
	global_load_b128 v[38:41], v[40:41], off
	global_load_b64 v[63:64], v[42:43], off
	v_lshlrev_b64 v[42:43], 3, v[13:14]
	v_add_nc_u32_e32 v13, -6, v12
	s_delay_alu instid0(VALU_DEP_1) | instskip(NEXT) | instid1(VALU_DEP_3)
	v_lshlrev_b64 v[44:45], 3, v[13:14]
	v_add_co_u32 v42, vcc_lo, s8, v42
	s_delay_alu instid0(VALU_DEP_4) | instskip(SKIP_1) | instid1(VALU_DEP_4)
	v_add_co_ci_u32_e32 v43, vcc_lo, s9, v43, vcc_lo
	v_subrev_nc_u32_e32 v13, 19, v12
	v_add_co_u32 v44, vcc_lo, s8, v44
	v_add_co_ci_u32_e32 v45, vcc_lo, s9, v45, vcc_lo
	s_clause 0x1
	global_load_b64 v[65:66], v[42:43], off
	global_load_b64 v[67:68], v[44:45], off
	v_lshlrev_b64 v[42:43], 3, v[13:14]
	v_add_nc_u32_e32 v13, 8, v46
	s_delay_alu instid0(VALU_DEP_1) | instskip(SKIP_1) | instid1(VALU_DEP_4)
	v_lshlrev_b64 v[44:45], 3, v[13:14]
	v_add_nc_u32_e32 v13, -5, v12
	v_add_co_u32 v42, vcc_lo, s8, v42
	v_add_co_ci_u32_e32 v43, vcc_lo, s9, v43, vcc_lo
	s_delay_alu instid0(VALU_DEP_3) | instskip(SKIP_3) | instid1(VALU_DEP_4)
	v_lshlrev_b64 v[69:70], 3, v[13:14]
	v_add_co_u32 v44, vcc_lo, s10, v44
	v_add_co_ci_u32_e32 v45, vcc_lo, s11, v45, vcc_lo
	v_subrev_nc_u32_e32 v13, 18, v12
	v_add_co_u32 v69, vcc_lo, s8, v69
	v_add_co_ci_u32_e32 v70, vcc_lo, s9, v70, vcc_lo
	global_load_b64 v[71:72], v[42:43], off
	global_load_b128 v[42:45], v[44:45], off
	global_load_b64 v[69:70], v[69:70], off
	s_waitcnt vmcnt(17)
	v_fma_f64 v[7:8], v[22:23], v[26:27], v[8:9]
	v_fma_f64 v[9:10], v[15:16], v[26:27], v[10:11]
	v_lshlrev_b64 v[15:16], 3, v[13:14]
	v_add_nc_u32_e32 v13, -4, v12
	s_delay_alu instid0(VALU_DEP_1) | instskip(NEXT) | instid1(VALU_DEP_3)
	v_lshlrev_b64 v[22:23], 3, v[13:14]
	v_add_co_u32 v15, vcc_lo, s8, v15
	s_delay_alu instid0(VALU_DEP_4) | instskip(SKIP_1) | instid1(VALU_DEP_4)
	v_add_co_ci_u32_e32 v16, vcc_lo, s9, v16, vcc_lo
	v_subrev_nc_u32_e32 v13, 17, v12
	v_add_co_u32 v22, vcc_lo, s8, v22
	v_add_co_ci_u32_e32 v23, vcc_lo, s9, v23, vcc_lo
	s_clause 0x1
	global_load_b64 v[15:16], v[15:16], off
	global_load_b64 v[22:23], v[22:23], off
	v_lshlrev_b64 v[26:27], 3, v[13:14]
	v_add_nc_u32_e32 v13, 10, v46
	v_fma_f64 v[24:25], v[24:25], v[28:29], v[7:8]
	s_waitcnt vmcnt(18)
	v_fma_f64 v[28:29], v[47:48], v[28:29], v[9:10]
	s_delay_alu instid0(VALU_DEP_3) | instskip(SKIP_3) | instid1(VALU_DEP_3)
	v_lshlrev_b64 v[7:8], 3, v[13:14]
	v_add_nc_u32_e32 v13, -3, v12
	v_add_co_u32 v9, vcc_lo, s8, v26
	v_add_co_ci_u32_e32 v10, vcc_lo, s9, v27, vcc_lo
	v_lshlrev_b64 v[26:27], 3, v[13:14]
	v_add_co_u32 v7, vcc_lo, s10, v7
	v_add_co_ci_u32_e32 v8, vcc_lo, s11, v8, vcc_lo
	v_add_nc_u32_e32 v13, -16, v12
	s_delay_alu instid0(VALU_DEP_4)
	v_add_co_u32 v26, vcc_lo, s8, v26
	v_add_co_ci_u32_e32 v27, vcc_lo, s9, v27, vcc_lo
	global_load_b64 v[47:48], v[9:10], off
	global_load_b128 v[7:10], v[7:8], off
	global_load_b64 v[26:27], v[26:27], off
	s_waitcnt vmcnt(20)
	v_fma_f64 v[18:19], v[18:19], v[30:31], v[24:25]
	s_waitcnt vmcnt(19)
	v_fma_f64 v[24:25], v[49:50], v[30:31], v[28:29]
	v_lshlrev_b64 v[28:29], 3, v[13:14]
	v_add_nc_u32_e32 v13, -2, v12
	s_delay_alu instid0(VALU_DEP_1) | instskip(NEXT) | instid1(VALU_DEP_3)
	v_lshlrev_b64 v[30:31], 3, v[13:14]
	v_add_co_u32 v28, vcc_lo, s8, v28
	s_delay_alu instid0(VALU_DEP_4) | instskip(SKIP_1) | instid1(VALU_DEP_4)
	v_add_co_ci_u32_e32 v29, vcc_lo, s9, v29, vcc_lo
	v_add_nc_u32_e32 v13, -15, v12
	v_add_co_u32 v30, vcc_lo, s8, v30
	v_add_co_ci_u32_e32 v31, vcc_lo, s9, v31, vcc_lo
	s_clause 0x1
	global_load_b64 v[28:29], v[28:29], off
	global_load_b64 v[30:31], v[30:31], off
	v_lshlrev_b64 v[49:50], 3, v[13:14]
	v_add_nc_u32_e32 v13, 12, v46
	v_fma_f64 v[73:74], v[20:21], v[32:33], v[18:19]
	s_waitcnt vmcnt(20)
	v_fma_f64 v[24:25], v[51:52], v[32:33], v[24:25]
	s_delay_alu instid0(VALU_DEP_3) | instskip(SKIP_3) | instid1(VALU_DEP_3)
	v_lshlrev_b64 v[18:19], 3, v[13:14]
	v_add_nc_u32_e32 v13, -1, v12
	v_add_co_u32 v20, vcc_lo, s8, v49
	v_add_co_ci_u32_e32 v21, vcc_lo, s9, v50, vcc_lo
	v_lshlrev_b64 v[32:33], 3, v[13:14]
	v_add_co_u32 v18, vcc_lo, s10, v18
	v_add_co_ci_u32_e32 v19, vcc_lo, s11, v19, vcc_lo
	v_mov_b32_e32 v13, v14
	s_delay_alu instid0(VALU_DEP_4)
	v_add_co_u32 v32, vcc_lo, s8, v32
	v_add_co_ci_u32_e32 v33, vcc_lo, s9, v33, vcc_lo
	global_load_b64 v[49:50], v[20:21], off
	global_load_b128 v[18:21], v[18:19], off
	global_load_b64 v[32:33], v[32:33], off
	s_waitcnt vmcnt(21)
	v_fma_f64 v[51:52], v[53:54], v[34:35], v[73:74]
	s_waitcnt vmcnt(20)
	v_fma_f64 v[24:25], v[55:56], v[34:35], v[24:25]
	v_lshlrev_b64 v[34:35], 3, v[12:13]
	v_add_nc_u32_e32 v13, -14, v12
	v_add_nc_u32_e32 v12, 0x700, v12
	s_delay_alu instid0(VALU_DEP_2) | instskip(NEXT) | instid1(VALU_DEP_4)
	v_lshlrev_b64 v[53:54], 3, v[13:14]
	v_add_co_u32 v34, vcc_lo, s8, v34
	v_add_co_ci_u32_e32 v35, vcc_lo, s9, v35, vcc_lo
	s_delay_alu instid0(VALU_DEP_3) | instskip(NEXT) | instid1(VALU_DEP_4)
	v_add_co_u32 v53, vcc_lo, s8, v53
	v_add_co_ci_u32_e32 v54, vcc_lo, s9, v54, vcc_lo
	s_clause 0x1
	global_load_b64 v[53:54], v[53:54], off
	global_load_b64 v[34:35], v[34:35], off
	v_cmp_ge_i32_e32 vcc_lo, v6, v17
	s_or_b32 s2, vcc_lo, s2
	s_waitcnt vmcnt(21)
	v_fma_f64 v[51:52], v[57:58], v[36:37], v[51:52]
	s_waitcnt vmcnt(20)
	v_fma_f64 v[24:25], v[59:60], v[36:37], v[24:25]
	s_waitcnt vmcnt(18)
	s_delay_alu instid0(VALU_DEP_2) | instskip(SKIP_1) | instid1(VALU_DEP_2)
	v_fma_f64 v[36:37], v[61:62], v[38:39], v[51:52]
	s_waitcnt vmcnt(17)
	v_fma_f64 v[24:25], v[63:64], v[38:39], v[24:25]
	s_waitcnt vmcnt(16)
	s_delay_alu instid0(VALU_DEP_2) | instskip(SKIP_1) | instid1(VALU_DEP_2)
	;; [unrolled: 5-line block ×8, first 2 shown]
	v_fma_f64 v[8:9], v[53:54], v[20:21], v[9:10]
	s_waitcnt vmcnt(0)
	v_fma_f64 v[10:11], v[34:35], v[20:21], v[15:16]
	s_and_not1_b32 exec_lo, exec_lo, s2
	s_cbranch_execnz .LBB140_15
; %bb.16:
	s_or_b32 exec_lo, exec_lo, s2
.LBB140_17:
	s_delay_alu instid0(SALU_CYCLE_1)
	s_or_b32 exec_lo, exec_lo, s3
.LBB140_18:
	v_mbcnt_lo_u32_b32 v14, -1, 0
	s_delay_alu instid0(VALU_DEP_1) | instskip(NEXT) | instid1(VALU_DEP_1)
	v_or_b32_e32 v6, 32, v14
	v_cmp_gt_i32_e32 vcc_lo, 32, v6
	v_cndmask_b32_e32 v6, v14, v6, vcc_lo
	s_delay_alu instid0(VALU_DEP_1)
	v_lshlrev_b32_e32 v13, 2, v6
	ds_bpermute_b32 v6, v13, v8
	ds_bpermute_b32 v7, v13, v9
	ds_bpermute_b32 v12, v13, v10
	ds_bpermute_b32 v13, v13, v11
	s_waitcnt lgkmcnt(2)
	v_add_f64 v[6:7], v[8:9], v[6:7]
	s_waitcnt lgkmcnt(0)
	v_add_f64 v[8:9], v[10:11], v[12:13]
	v_xor_b32_e32 v10, 16, v14
	s_delay_alu instid0(VALU_DEP_1) | instskip(SKIP_1) | instid1(VALU_DEP_1)
	v_cmp_gt_i32_e32 vcc_lo, 32, v10
	v_cndmask_b32_e32 v10, v14, v10, vcc_lo
	v_lshlrev_b32_e32 v13, 2, v10
	ds_bpermute_b32 v10, v13, v6
	ds_bpermute_b32 v11, v13, v7
	ds_bpermute_b32 v12, v13, v8
	ds_bpermute_b32 v13, v13, v9
	s_waitcnt lgkmcnt(2)
	v_add_f64 v[6:7], v[6:7], v[10:11]
	v_xor_b32_e32 v10, 8, v14
	s_waitcnt lgkmcnt(0)
	v_add_f64 v[8:9], v[8:9], v[12:13]
	s_delay_alu instid0(VALU_DEP_2) | instskip(SKIP_1) | instid1(VALU_DEP_1)
	v_cmp_gt_i32_e32 vcc_lo, 32, v10
	v_cndmask_b32_e32 v10, v14, v10, vcc_lo
	v_lshlrev_b32_e32 v13, 2, v10
	ds_bpermute_b32 v10, v13, v6
	ds_bpermute_b32 v11, v13, v7
	ds_bpermute_b32 v12, v13, v8
	ds_bpermute_b32 v13, v13, v9
	s_waitcnt lgkmcnt(2)
	v_add_f64 v[6:7], v[6:7], v[10:11]
	v_xor_b32_e32 v10, 4, v14
	s_waitcnt lgkmcnt(0)
	v_add_f64 v[8:9], v[8:9], v[12:13]
	s_delay_alu instid0(VALU_DEP_2) | instskip(SKIP_1) | instid1(VALU_DEP_1)
	;; [unrolled: 13-line block ×3, first 2 shown]
	v_cmp_gt_i32_e32 vcc_lo, 32, v10
	v_cndmask_b32_e32 v10, v14, v10, vcc_lo
	v_lshlrev_b32_e32 v13, 2, v10
	ds_bpermute_b32 v10, v13, v6
	ds_bpermute_b32 v11, v13, v7
	;; [unrolled: 1-line block ×4, first 2 shown]
	s_waitcnt lgkmcnt(2)
	v_add_f64 v[6:7], v[6:7], v[10:11]
	s_waitcnt lgkmcnt(0)
	v_add_f64 v[10:11], v[8:9], v[12:13]
	v_xor_b32_e32 v8, 1, v14
	s_delay_alu instid0(VALU_DEP_1) | instskip(SKIP_2) | instid1(VALU_DEP_2)
	v_cmp_gt_i32_e32 vcc_lo, 32, v8
	v_cndmask_b32_e32 v8, v14, v8, vcc_lo
	v_cmp_eq_u32_e32 vcc_lo, 63, v0
	v_lshlrev_b32_e32 v13, 2, v8
	ds_bpermute_b32 v8, v13, v6
	ds_bpermute_b32 v9, v13, v7
	;; [unrolled: 1-line block ×4, first 2 shown]
	s_and_b32 exec_lo, exec_lo, vcc_lo
	s_cbranch_execz .LBB140_23
; %bb.19:
	s_waitcnt lgkmcnt(2)
	v_add_f64 v[8:9], v[6:7], v[8:9]
	s_waitcnt lgkmcnt(0)
	v_add_f64 v[6:7], v[10:11], v[12:13]
	s_load_b64 s[0:1], s[0:1], 0x38
	s_mov_b32 s2, exec_lo
	v_cmpx_eq_f64_e32 0, v[3:4]
	s_xor_b32 s2, exec_lo, s2
	s_cbranch_execz .LBB140_21
; %bb.20:
	s_delay_alu instid0(VALU_DEP_3) | instskip(NEXT) | instid1(VALU_DEP_3)
	v_mul_f64 v[8:9], v[1:2], v[8:9]
	v_mul_f64 v[10:11], v[1:2], v[6:7]
	v_lshlrev_b32_e32 v0, 1, v5
                                        ; implicit-def: $vgpr5
                                        ; implicit-def: $vgpr3_vgpr4
                                        ; implicit-def: $vgpr6_vgpr7
	s_delay_alu instid0(VALU_DEP_1) | instskip(NEXT) | instid1(VALU_DEP_1)
	v_ashrrev_i32_e32 v1, 31, v0
	v_lshlrev_b64 v[0:1], 3, v[0:1]
	s_waitcnt lgkmcnt(0)
	s_delay_alu instid0(VALU_DEP_1) | instskip(NEXT) | instid1(VALU_DEP_2)
	v_add_co_u32 v0, vcc_lo, s0, v0
	v_add_co_ci_u32_e32 v1, vcc_lo, s1, v1, vcc_lo
	global_store_b128 v[0:1], v[8:11], off
                                        ; implicit-def: $vgpr1_vgpr2
                                        ; implicit-def: $vgpr8_vgpr9
.LBB140_21:
	s_and_not1_saveexec_b32 s2, s2
	s_cbranch_execz .LBB140_23
; %bb.22:
	v_lshlrev_b32_e32 v10, 1, v5
	s_delay_alu instid0(VALU_DEP_4) | instskip(NEXT) | instid1(VALU_DEP_4)
	v_mul_f64 v[8:9], v[1:2], v[8:9]
	v_mul_f64 v[5:6], v[1:2], v[6:7]
	s_delay_alu instid0(VALU_DEP_3) | instskip(NEXT) | instid1(VALU_DEP_1)
	v_ashrrev_i32_e32 v11, 31, v10
	v_lshlrev_b64 v[10:11], 3, v[10:11]
	s_waitcnt lgkmcnt(0)
	s_delay_alu instid0(VALU_DEP_1) | instskip(NEXT) | instid1(VALU_DEP_2)
	v_add_co_u32 v14, vcc_lo, s0, v10
	v_add_co_ci_u32_e32 v15, vcc_lo, s1, v11, vcc_lo
	global_load_b128 v[10:13], v[14:15], off
	s_waitcnt vmcnt(0)
	v_fma_f64 v[0:1], v[3:4], v[10:11], v[8:9]
	v_fma_f64 v[2:3], v[3:4], v[12:13], v[5:6]
	global_store_b128 v[14:15], v[0:3], off
.LBB140_23:
	s_nop 0
	s_sendmsg sendmsg(MSG_DEALLOC_VGPRS)
	s_endpgm
	.section	.rodata,"a",@progbits
	.p2align	6, 0x0
	.amdhsa_kernel _ZN9rocsparseL19gebsrmvn_2xn_kernelILj128ELj14ELj64EdEEvi20rocsparse_direction_NS_24const_host_device_scalarIT2_EEPKiS6_PKS3_S8_S4_PS3_21rocsparse_index_base_b
		.amdhsa_group_segment_fixed_size 0
		.amdhsa_private_segment_fixed_size 0
		.amdhsa_kernarg_size 72
		.amdhsa_user_sgpr_count 15
		.amdhsa_user_sgpr_dispatch_ptr 0
		.amdhsa_user_sgpr_queue_ptr 0
		.amdhsa_user_sgpr_kernarg_segment_ptr 1
		.amdhsa_user_sgpr_dispatch_id 0
		.amdhsa_user_sgpr_private_segment_size 0
		.amdhsa_wavefront_size32 1
		.amdhsa_uses_dynamic_stack 0
		.amdhsa_enable_private_segment 0
		.amdhsa_system_sgpr_workgroup_id_x 1
		.amdhsa_system_sgpr_workgroup_id_y 0
		.amdhsa_system_sgpr_workgroup_id_z 0
		.amdhsa_system_sgpr_workgroup_info 0
		.amdhsa_system_vgpr_workitem_id 0
		.amdhsa_next_free_vgpr 76
		.amdhsa_next_free_sgpr 16
		.amdhsa_reserve_vcc 1
		.amdhsa_float_round_mode_32 0
		.amdhsa_float_round_mode_16_64 0
		.amdhsa_float_denorm_mode_32 3
		.amdhsa_float_denorm_mode_16_64 3
		.amdhsa_dx10_clamp 1
		.amdhsa_ieee_mode 1
		.amdhsa_fp16_overflow 0
		.amdhsa_workgroup_processor_mode 1
		.amdhsa_memory_ordered 1
		.amdhsa_forward_progress 0
		.amdhsa_shared_vgpr_count 0
		.amdhsa_exception_fp_ieee_invalid_op 0
		.amdhsa_exception_fp_denorm_src 0
		.amdhsa_exception_fp_ieee_div_zero 0
		.amdhsa_exception_fp_ieee_overflow 0
		.amdhsa_exception_fp_ieee_underflow 0
		.amdhsa_exception_fp_ieee_inexact 0
		.amdhsa_exception_int_div_zero 0
	.end_amdhsa_kernel
	.section	.text._ZN9rocsparseL19gebsrmvn_2xn_kernelILj128ELj14ELj64EdEEvi20rocsparse_direction_NS_24const_host_device_scalarIT2_EEPKiS6_PKS3_S8_S4_PS3_21rocsparse_index_base_b,"axG",@progbits,_ZN9rocsparseL19gebsrmvn_2xn_kernelILj128ELj14ELj64EdEEvi20rocsparse_direction_NS_24const_host_device_scalarIT2_EEPKiS6_PKS3_S8_S4_PS3_21rocsparse_index_base_b,comdat
.Lfunc_end140:
	.size	_ZN9rocsparseL19gebsrmvn_2xn_kernelILj128ELj14ELj64EdEEvi20rocsparse_direction_NS_24const_host_device_scalarIT2_EEPKiS6_PKS3_S8_S4_PS3_21rocsparse_index_base_b, .Lfunc_end140-_ZN9rocsparseL19gebsrmvn_2xn_kernelILj128ELj14ELj64EdEEvi20rocsparse_direction_NS_24const_host_device_scalarIT2_EEPKiS6_PKS3_S8_S4_PS3_21rocsparse_index_base_b
                                        ; -- End function
	.section	.AMDGPU.csdata,"",@progbits
; Kernel info:
; codeLenInByte = 3864
; NumSgprs: 18
; NumVgprs: 76
; ScratchSize: 0
; MemoryBound: 1
; FloatMode: 240
; IeeeMode: 1
; LDSByteSize: 0 bytes/workgroup (compile time only)
; SGPRBlocks: 2
; VGPRBlocks: 9
; NumSGPRsForWavesPerEU: 18
; NumVGPRsForWavesPerEU: 76
; Occupancy: 16
; WaveLimiterHint : 1
; COMPUTE_PGM_RSRC2:SCRATCH_EN: 0
; COMPUTE_PGM_RSRC2:USER_SGPR: 15
; COMPUTE_PGM_RSRC2:TRAP_HANDLER: 0
; COMPUTE_PGM_RSRC2:TGID_X_EN: 1
; COMPUTE_PGM_RSRC2:TGID_Y_EN: 0
; COMPUTE_PGM_RSRC2:TGID_Z_EN: 0
; COMPUTE_PGM_RSRC2:TIDIG_COMP_CNT: 0
	.section	.text._ZN9rocsparseL19gebsrmvn_2xn_kernelILj128ELj15ELj4EdEEvi20rocsparse_direction_NS_24const_host_device_scalarIT2_EEPKiS6_PKS3_S8_S4_PS3_21rocsparse_index_base_b,"axG",@progbits,_ZN9rocsparseL19gebsrmvn_2xn_kernelILj128ELj15ELj4EdEEvi20rocsparse_direction_NS_24const_host_device_scalarIT2_EEPKiS6_PKS3_S8_S4_PS3_21rocsparse_index_base_b,comdat
	.globl	_ZN9rocsparseL19gebsrmvn_2xn_kernelILj128ELj15ELj4EdEEvi20rocsparse_direction_NS_24const_host_device_scalarIT2_EEPKiS6_PKS3_S8_S4_PS3_21rocsparse_index_base_b ; -- Begin function _ZN9rocsparseL19gebsrmvn_2xn_kernelILj128ELj15ELj4EdEEvi20rocsparse_direction_NS_24const_host_device_scalarIT2_EEPKiS6_PKS3_S8_S4_PS3_21rocsparse_index_base_b
	.p2align	8
	.type	_ZN9rocsparseL19gebsrmvn_2xn_kernelILj128ELj15ELj4EdEEvi20rocsparse_direction_NS_24const_host_device_scalarIT2_EEPKiS6_PKS3_S8_S4_PS3_21rocsparse_index_base_b,@function
_ZN9rocsparseL19gebsrmvn_2xn_kernelILj128ELj15ELj4EdEEvi20rocsparse_direction_NS_24const_host_device_scalarIT2_EEPKiS6_PKS3_S8_S4_PS3_21rocsparse_index_base_b: ; @_ZN9rocsparseL19gebsrmvn_2xn_kernelILj128ELj15ELj4EdEEvi20rocsparse_direction_NS_24const_host_device_scalarIT2_EEPKiS6_PKS3_S8_S4_PS3_21rocsparse_index_base_b
; %bb.0:
	s_clause 0x2
	s_load_b64 s[12:13], s[0:1], 0x40
	s_load_b64 s[4:5], s[0:1], 0x8
	;; [unrolled: 1-line block ×3, first 2 shown]
	s_waitcnt lgkmcnt(0)
	s_bitcmp1_b32 s13, 0
	v_dual_mov_b32 v1, s4 :: v_dual_mov_b32 v2, s5
	s_cselect_b32 s6, -1, 0
	s_delay_alu instid0(SALU_CYCLE_1)
	s_and_b32 vcc_lo, exec_lo, s6
	s_xor_b32 s6, s6, -1
	s_cbranch_vccnz .LBB141_2
; %bb.1:
	v_dual_mov_b32 v1, s4 :: v_dual_mov_b32 v2, s5
	flat_load_b64 v[1:2], v[1:2]
.LBB141_2:
	v_dual_mov_b32 v4, s3 :: v_dual_mov_b32 v3, s2
	s_and_not1_b32 vcc_lo, exec_lo, s6
	s_cbranch_vccnz .LBB141_4
; %bb.3:
	v_dual_mov_b32 v4, s3 :: v_dual_mov_b32 v3, s2
	flat_load_b64 v[3:4], v[3:4]
.LBB141_4:
	s_waitcnt vmcnt(0) lgkmcnt(0)
	v_cmp_neq_f64_e32 vcc_lo, 0, v[1:2]
	v_cmp_neq_f64_e64 s2, 1.0, v[3:4]
	s_delay_alu instid0(VALU_DEP_1) | instskip(NEXT) | instid1(SALU_CYCLE_1)
	s_or_b32 s2, vcc_lo, s2
	s_and_saveexec_b32 s3, s2
	s_cbranch_execz .LBB141_23
; %bb.5:
	s_load_b64 s[2:3], s[0:1], 0x0
	v_lshrrev_b32_e32 v5, 2, v0
	s_delay_alu instid0(VALU_DEP_1) | instskip(SKIP_1) | instid1(VALU_DEP_1)
	v_lshl_or_b32 v5, s15, 5, v5
	s_waitcnt lgkmcnt(0)
	v_cmp_gt_i32_e32 vcc_lo, s2, v5
	s_and_b32 exec_lo, exec_lo, vcc_lo
	s_cbranch_execz .LBB141_23
; %bb.6:
	s_load_b256 s[4:11], s[0:1], 0x10
	v_ashrrev_i32_e32 v6, 31, v5
	v_and_b32_e32 v0, 3, v0
	s_cmp_lg_u32 s3, 0
	s_delay_alu instid0(VALU_DEP_2) | instskip(SKIP_1) | instid1(VALU_DEP_1)
	v_lshlrev_b64 v[6:7], 2, v[5:6]
	s_waitcnt lgkmcnt(0)
	v_add_co_u32 v6, vcc_lo, s4, v6
	s_delay_alu instid0(VALU_DEP_2) | instskip(SKIP_4) | instid1(VALU_DEP_2)
	v_add_co_ci_u32_e32 v7, vcc_lo, s5, v7, vcc_lo
	global_load_b64 v[6:7], v[6:7], off
	s_waitcnt vmcnt(0)
	v_subrev_nc_u32_e32 v6, s12, v6
	v_subrev_nc_u32_e32 v17, s12, v7
	v_add_nc_u32_e32 v6, v6, v0
	s_delay_alu instid0(VALU_DEP_1)
	v_cmp_lt_i32_e64 s2, v6, v17
	s_cbranch_scc0 .LBB141_12
; %bb.7:
	v_mov_b32_e32 v8, 0
	v_mov_b32_e32 v9, 0
	s_delay_alu instid0(VALU_DEP_1)
	v_dual_mov_b32 v11, v9 :: v_dual_mov_b32 v10, v8
	s_and_saveexec_b32 s3, s2
	s_cbranch_execz .LBB141_11
; %bb.8:
	v_dual_mov_b32 v8, 0 :: v_dual_mov_b32 v15, v6
	v_dual_mov_b32 v9, 0 :: v_dual_mov_b32 v14, 0
	v_mad_u64_u32 v[12:13], null, v6, 30, 28
	s_mov_b32 s4, 0
	s_delay_alu instid0(VALU_DEP_2)
	v_dual_mov_b32 v11, v9 :: v_dual_mov_b32 v10, v8
.LBB141_9:                              ; =>This Inner Loop Header: Depth=1
	v_ashrrev_i32_e32 v16, 31, v15
	s_delay_alu instid0(VALU_DEP_3) | instskip(SKIP_1) | instid1(VALU_DEP_3)
	v_subrev_nc_u32_e32 v13, 28, v12
	v_mov_b32_e32 v55, v14
	v_lshlrev_b64 v[18:19], 2, v[15:16]
	v_add_nc_u32_e32 v15, 4, v15
	s_delay_alu instid0(VALU_DEP_2) | instskip(NEXT) | instid1(VALU_DEP_3)
	v_add_co_u32 v18, vcc_lo, s6, v18
	v_add_co_ci_u32_e32 v19, vcc_lo, s7, v19, vcc_lo
	global_load_b32 v7, v[18:19], off
	v_lshlrev_b64 v[18:19], 3, v[13:14]
	v_subrev_nc_u32_e32 v13, 26, v12
	s_delay_alu instid0(VALU_DEP_2) | instskip(NEXT) | instid1(VALU_DEP_3)
	v_add_co_u32 v18, vcc_lo, s8, v18
	v_add_co_ci_u32_e32 v19, vcc_lo, s9, v19, vcc_lo
	global_load_b128 v[18:21], v[18:19], off
	s_waitcnt vmcnt(1)
	v_subrev_nc_u32_e32 v7, s12, v7
	s_delay_alu instid0(VALU_DEP_1) | instskip(NEXT) | instid1(VALU_DEP_1)
	v_mul_lo_u32 v54, v7, 15
	v_lshlrev_b64 v[22:23], 3, v[54:55]
	s_delay_alu instid0(VALU_DEP_1) | instskip(NEXT) | instid1(VALU_DEP_2)
	v_add_co_u32 v22, vcc_lo, s10, v22
	v_add_co_ci_u32_e32 v23, vcc_lo, s11, v23, vcc_lo
	global_load_b64 v[55:56], v[22:23], off
	v_lshlrev_b64 v[22:23], 3, v[13:14]
	v_add_nc_u32_e32 v13, 1, v54
	s_delay_alu instid0(VALU_DEP_1) | instskip(NEXT) | instid1(VALU_DEP_3)
	v_lshlrev_b64 v[26:27], 3, v[13:14]
	v_add_co_u32 v22, vcc_lo, s8, v22
	s_delay_alu instid0(VALU_DEP_4) | instskip(SKIP_1) | instid1(VALU_DEP_4)
	v_add_co_ci_u32_e32 v23, vcc_lo, s9, v23, vcc_lo
	v_subrev_nc_u32_e32 v13, 24, v12
	v_add_co_u32 v26, vcc_lo, s10, v26
	v_add_co_ci_u32_e32 v27, vcc_lo, s11, v27, vcc_lo
	global_load_b128 v[22:25], v[22:23], off
	global_load_b64 v[57:58], v[26:27], off
	v_lshlrev_b64 v[26:27], 3, v[13:14]
	v_add_nc_u32_e32 v13, 2, v54
	s_delay_alu instid0(VALU_DEP_1) | instskip(NEXT) | instid1(VALU_DEP_3)
	v_lshlrev_b64 v[28:29], 3, v[13:14]
	v_add_co_u32 v26, vcc_lo, s8, v26
	s_delay_alu instid0(VALU_DEP_4) | instskip(SKIP_1) | instid1(VALU_DEP_4)
	v_add_co_ci_u32_e32 v27, vcc_lo, s9, v27, vcc_lo
	v_subrev_nc_u32_e32 v13, 22, v12
	v_add_co_u32 v30, vcc_lo, s10, v28
	v_add_co_ci_u32_e32 v31, vcc_lo, s11, v29, vcc_lo
	global_load_b128 v[26:29], v[26:27], off
	global_load_b64 v[59:60], v[30:31], off
	v_lshlrev_b64 v[30:31], 3, v[13:14]
	v_add_nc_u32_e32 v13, 3, v54
	s_delay_alu instid0(VALU_DEP_1) | instskip(NEXT) | instid1(VALU_DEP_3)
	v_lshlrev_b64 v[32:33], 3, v[13:14]
	v_add_co_u32 v30, vcc_lo, s8, v30
	s_delay_alu instid0(VALU_DEP_4) | instskip(SKIP_1) | instid1(VALU_DEP_4)
	v_add_co_ci_u32_e32 v31, vcc_lo, s9, v31, vcc_lo
	v_subrev_nc_u32_e32 v13, 20, v12
	v_add_co_u32 v34, vcc_lo, s10, v32
	v_add_co_ci_u32_e32 v35, vcc_lo, s11, v33, vcc_lo
	global_load_b128 v[30:33], v[30:31], off
	global_load_b64 v[61:62], v[34:35], off
	v_lshlrev_b64 v[34:35], 3, v[13:14]
	v_add_nc_u32_e32 v13, 4, v54
	s_delay_alu instid0(VALU_DEP_1) | instskip(NEXT) | instid1(VALU_DEP_3)
	v_lshlrev_b64 v[36:37], 3, v[13:14]
	v_add_co_u32 v34, vcc_lo, s8, v34
	s_delay_alu instid0(VALU_DEP_4) | instskip(SKIP_1) | instid1(VALU_DEP_4)
	v_add_co_ci_u32_e32 v35, vcc_lo, s9, v35, vcc_lo
	v_subrev_nc_u32_e32 v13, 18, v12
	v_add_co_u32 v38, vcc_lo, s10, v36
	v_add_co_ci_u32_e32 v39, vcc_lo, s11, v37, vcc_lo
	global_load_b128 v[34:37], v[34:35], off
	global_load_b64 v[63:64], v[38:39], off
	v_lshlrev_b64 v[38:39], 3, v[13:14]
	v_add_nc_u32_e32 v13, 5, v54
	s_delay_alu instid0(VALU_DEP_1) | instskip(NEXT) | instid1(VALU_DEP_3)
	v_lshlrev_b64 v[40:41], 3, v[13:14]
	v_add_co_u32 v38, vcc_lo, s8, v38
	s_delay_alu instid0(VALU_DEP_4) | instskip(SKIP_1) | instid1(VALU_DEP_4)
	v_add_co_ci_u32_e32 v39, vcc_lo, s9, v39, vcc_lo
	v_add_nc_u32_e32 v13, -16, v12
	v_add_co_u32 v42, vcc_lo, s10, v40
	v_add_co_ci_u32_e32 v43, vcc_lo, s11, v41, vcc_lo
	global_load_b128 v[38:41], v[38:39], off
	global_load_b64 v[65:66], v[42:43], off
	v_lshlrev_b64 v[42:43], 3, v[13:14]
	v_add_nc_u32_e32 v13, 6, v54
	s_delay_alu instid0(VALU_DEP_1) | instskip(NEXT) | instid1(VALU_DEP_3)
	v_lshlrev_b64 v[44:45], 3, v[13:14]
	v_add_co_u32 v42, vcc_lo, s8, v42
	s_delay_alu instid0(VALU_DEP_4) | instskip(SKIP_1) | instid1(VALU_DEP_4)
	v_add_co_ci_u32_e32 v43, vcc_lo, s9, v43, vcc_lo
	v_add_nc_u32_e32 v13, -14, v12
	v_add_co_u32 v46, vcc_lo, s10, v44
	v_add_co_ci_u32_e32 v47, vcc_lo, s11, v45, vcc_lo
	global_load_b128 v[42:45], v[42:43], off
	global_load_b64 v[67:68], v[46:47], off
	v_lshlrev_b64 v[46:47], 3, v[13:14]
	v_add_nc_u32_e32 v13, 7, v54
	s_delay_alu instid0(VALU_DEP_1) | instskip(NEXT) | instid1(VALU_DEP_3)
	v_lshlrev_b64 v[48:49], 3, v[13:14]
	v_add_co_u32 v46, vcc_lo, s8, v46
	s_delay_alu instid0(VALU_DEP_4) | instskip(SKIP_1) | instid1(VALU_DEP_4)
	v_add_co_ci_u32_e32 v47, vcc_lo, s9, v47, vcc_lo
	v_add_nc_u32_e32 v13, -12, v12
	v_add_co_u32 v50, vcc_lo, s10, v48
	v_add_co_ci_u32_e32 v51, vcc_lo, s11, v49, vcc_lo
	global_load_b128 v[46:49], v[46:47], off
	global_load_b64 v[69:70], v[50:51], off
	v_lshlrev_b64 v[50:51], 3, v[13:14]
	v_add_nc_u32_e32 v13, 8, v54
	s_delay_alu instid0(VALU_DEP_1) | instskip(NEXT) | instid1(VALU_DEP_3)
	v_lshlrev_b64 v[52:53], 3, v[13:14]
	v_add_co_u32 v50, vcc_lo, s8, v50
	s_delay_alu instid0(VALU_DEP_4) | instskip(SKIP_1) | instid1(VALU_DEP_4)
	v_add_co_ci_u32_e32 v51, vcc_lo, s9, v51, vcc_lo
	v_add_nc_u32_e32 v13, -10, v12
	v_add_co_u32 v71, vcc_lo, s10, v52
	v_add_co_ci_u32_e32 v72, vcc_lo, s11, v53, vcc_lo
	global_load_b128 v[50:53], v[50:51], off
	global_load_b64 v[71:72], v[71:72], off
	s_waitcnt vmcnt(16)
	v_fma_f64 v[18:19], v[18:19], v[55:56], v[8:9]
	v_fma_f64 v[20:21], v[20:21], v[55:56], v[10:11]
	v_lshlrev_b64 v[7:8], 3, v[13:14]
	v_add_nc_u32_e32 v13, 9, v54
	s_delay_alu instid0(VALU_DEP_1) | instskip(NEXT) | instid1(VALU_DEP_3)
	v_lshlrev_b64 v[9:10], 3, v[13:14]
	v_add_co_u32 v7, vcc_lo, s8, v7
	s_delay_alu instid0(VALU_DEP_4) | instskip(SKIP_1) | instid1(VALU_DEP_4)
	v_add_co_ci_u32_e32 v8, vcc_lo, s9, v8, vcc_lo
	v_add_nc_u32_e32 v13, -8, v12
	v_add_co_u32 v55, vcc_lo, s10, v9
	v_add_co_ci_u32_e32 v56, vcc_lo, s11, v10, vcc_lo
	global_load_b128 v[7:10], v[7:8], off
	global_load_b64 v[55:56], v[55:56], off
	s_waitcnt vmcnt(16)
	v_fma_f64 v[22:23], v[22:23], v[57:58], v[18:19]
	v_fma_f64 v[24:25], v[24:25], v[57:58], v[20:21]
	v_lshlrev_b64 v[18:19], 3, v[13:14]
	v_add_nc_u32_e32 v13, 10, v54
	s_delay_alu instid0(VALU_DEP_1) | instskip(NEXT) | instid1(VALU_DEP_3)
	v_lshlrev_b64 v[20:21], 3, v[13:14]
	v_add_co_u32 v18, vcc_lo, s8, v18
	s_delay_alu instid0(VALU_DEP_4) | instskip(SKIP_1) | instid1(VALU_DEP_4)
	v_add_co_ci_u32_e32 v19, vcc_lo, s9, v19, vcc_lo
	v_add_nc_u32_e32 v13, -6, v12
	v_add_co_u32 v57, vcc_lo, s10, v20
	v_add_co_ci_u32_e32 v58, vcc_lo, s11, v21, vcc_lo
	global_load_b128 v[18:21], v[18:19], off
	;; [unrolled: 15-line block ×4, first 2 shown]
	global_load_b64 v[61:62], v[61:62], off
	s_waitcnt vmcnt(16)
	v_fma_f64 v[34:35], v[34:35], v[63:64], v[30:31]
	v_fma_f64 v[36:37], v[36:37], v[63:64], v[32:33]
	v_lshlrev_b64 v[30:31], 3, v[13:14]
	v_add_nc_u32_e32 v13, 13, v54
	s_delay_alu instid0(VALU_DEP_1) | instskip(NEXT) | instid1(VALU_DEP_3)
	v_lshlrev_b64 v[32:33], 3, v[13:14]
	v_add_co_u32 v30, vcc_lo, s8, v30
	s_delay_alu instid0(VALU_DEP_4) | instskip(SKIP_1) | instid1(VALU_DEP_4)
	v_add_co_ci_u32_e32 v31, vcc_lo, s9, v31, vcc_lo
	v_mov_b32_e32 v13, v14
	v_add_co_u32 v63, vcc_lo, s10, v32
	v_add_co_ci_u32_e32 v64, vcc_lo, s11, v33, vcc_lo
	global_load_b128 v[30:33], v[30:31], off
	global_load_b64 v[63:64], v[63:64], off
	s_waitcnt vmcnt(16)
	v_fma_f64 v[38:39], v[38:39], v[65:66], v[34:35]
	v_fma_f64 v[40:41], v[40:41], v[65:66], v[36:37]
	v_lshlrev_b64 v[34:35], 3, v[12:13]
	v_add_nc_u32_e32 v12, 0x78, v12
	v_add_nc_u32_e32 v13, 14, v54
	s_delay_alu instid0(VALU_DEP_3) | instskip(NEXT) | instid1(VALU_DEP_2)
	v_add_co_u32 v34, vcc_lo, s8, v34
	v_lshlrev_b64 v[36:37], 3, v[13:14]
	v_add_co_ci_u32_e32 v35, vcc_lo, s9, v35, vcc_lo
	s_delay_alu instid0(VALU_DEP_2) | instskip(NEXT) | instid1(VALU_DEP_3)
	v_add_co_u32 v65, vcc_lo, s10, v36
	v_add_co_ci_u32_e32 v66, vcc_lo, s11, v37, vcc_lo
	global_load_b128 v[34:37], v[34:35], off
	global_load_b64 v[65:66], v[65:66], off
	v_cmp_ge_i32_e32 vcc_lo, v15, v17
	s_or_b32 s4, vcc_lo, s4
	s_waitcnt vmcnt(16)
	v_fma_f64 v[38:39], v[42:43], v[67:68], v[38:39]
	v_fma_f64 v[40:41], v[44:45], v[67:68], v[40:41]
	s_waitcnt vmcnt(14)
	s_delay_alu instid0(VALU_DEP_2) | instskip(NEXT) | instid1(VALU_DEP_2)
	v_fma_f64 v[38:39], v[46:47], v[69:70], v[38:39]
	v_fma_f64 v[40:41], v[48:49], v[69:70], v[40:41]
	s_waitcnt vmcnt(12)
	s_delay_alu instid0(VALU_DEP_2) | instskip(NEXT) | instid1(VALU_DEP_2)
	;; [unrolled: 4-line block ×8, first 2 shown]
	v_fma_f64 v[8:9], v[34:35], v[65:66], v[7:8]
	v_fma_f64 v[10:11], v[36:37], v[65:66], v[10:11]
	s_and_not1_b32 exec_lo, exec_lo, s4
	s_cbranch_execnz .LBB141_9
; %bb.10:
	s_or_b32 exec_lo, exec_lo, s4
.LBB141_11:
	s_delay_alu instid0(SALU_CYCLE_1)
	s_or_b32 exec_lo, exec_lo, s3
	s_cbranch_execz .LBB141_13
	s_branch .LBB141_18
.LBB141_12:
                                        ; implicit-def: $vgpr8_vgpr9
                                        ; implicit-def: $vgpr10_vgpr11
.LBB141_13:
	v_mov_b32_e32 v8, 0
	v_mov_b32_e32 v9, 0
	s_delay_alu instid0(VALU_DEP_1)
	v_dual_mov_b32 v11, v9 :: v_dual_mov_b32 v10, v8
	s_and_saveexec_b32 s3, s2
	s_cbranch_execz .LBB141_17
; %bb.14:
	v_mov_b32_e32 v8, 0
	v_dual_mov_b32 v9, 0 :: v_dual_mov_b32 v14, 0
	v_mad_u64_u32 v[12:13], null, v6, 30, 29
	s_mov_b32 s2, 0
	s_delay_alu instid0(VALU_DEP_2)
	v_dual_mov_b32 v11, v9 :: v_dual_mov_b32 v10, v8
.LBB141_15:                             ; =>This Inner Loop Header: Depth=1
	v_ashrrev_i32_e32 v7, 31, v6
	s_delay_alu instid0(VALU_DEP_3) | instskip(SKIP_1) | instid1(VALU_DEP_3)
	v_subrev_nc_u32_e32 v13, 29, v12
	v_mov_b32_e32 v23, v14
	v_lshlrev_b64 v[15:16], 2, v[6:7]
	v_add_nc_u32_e32 v6, 4, v6
	s_delay_alu instid0(VALU_DEP_4) | instskip(NEXT) | instid1(VALU_DEP_3)
	v_lshlrev_b64 v[18:19], 3, v[13:14]
	v_add_co_u32 v15, vcc_lo, s6, v15
	s_delay_alu instid0(VALU_DEP_4) | instskip(NEXT) | instid1(VALU_DEP_3)
	v_add_co_ci_u32_e32 v16, vcc_lo, s7, v16, vcc_lo
	v_add_co_u32 v18, vcc_lo, s8, v18
	s_delay_alu instid0(VALU_DEP_4) | instskip(SKIP_2) | instid1(VALU_DEP_1)
	v_add_co_ci_u32_e32 v19, vcc_lo, s9, v19, vcc_lo
	global_load_b32 v7, v[15:16], off
	v_dual_mov_b32 v16, v14 :: v_dual_add_nc_u32 v15, -14, v12
	v_lshlrev_b64 v[15:16], 3, v[15:16]
	s_delay_alu instid0(VALU_DEP_1) | instskip(NEXT) | instid1(VALU_DEP_2)
	v_add_co_u32 v15, vcc_lo, s8, v15
	v_add_co_ci_u32_e32 v16, vcc_lo, s9, v16, vcc_lo
	s_clause 0x1
	global_load_b128 v[18:21], v[18:19], off
	global_load_b64 v[15:16], v[15:16], off
	s_waitcnt vmcnt(2)
	v_subrev_nc_u32_e32 v7, s12, v7
	s_delay_alu instid0(VALU_DEP_1) | instskip(NEXT) | instid1(VALU_DEP_1)
	v_mul_lo_u32 v22, v7, 15
	v_lshlrev_b64 v[23:24], 3, v[22:23]
	v_add_nc_u32_e32 v13, 1, v22
	s_delay_alu instid0(VALU_DEP_1) | instskip(NEXT) | instid1(VALU_DEP_3)
	v_lshlrev_b64 v[25:26], 3, v[13:14]
	v_add_co_u32 v23, vcc_lo, s10, v23
	s_delay_alu instid0(VALU_DEP_4) | instskip(SKIP_1) | instid1(VALU_DEP_4)
	v_add_co_ci_u32_e32 v24, vcc_lo, s11, v24, vcc_lo
	v_add_nc_u32_e32 v13, -13, v12
	v_add_co_u32 v25, vcc_lo, s10, v25
	global_load_b64 v[23:24], v[23:24], off
	v_add_co_ci_u32_e32 v26, vcc_lo, s11, v26, vcc_lo
	v_lshlrev_b64 v[27:28], 3, v[13:14]
	v_subrev_nc_u32_e32 v13, 27, v12
	s_delay_alu instid0(VALU_DEP_2) | instskip(NEXT) | instid1(VALU_DEP_3)
	v_add_co_u32 v27, vcc_lo, s8, v27
	v_add_co_ci_u32_e32 v28, vcc_lo, s9, v28, vcc_lo
	global_load_b64 v[25:26], v[25:26], off
	global_load_b64 v[27:28], v[27:28], off
	v_lshlrev_b64 v[29:30], 3, v[13:14]
	v_add_nc_u32_e32 v13, 2, v22
	s_delay_alu instid0(VALU_DEP_1) | instskip(SKIP_1) | instid1(VALU_DEP_4)
	v_lshlrev_b64 v[31:32], 3, v[13:14]
	v_add_nc_u32_e32 v13, -12, v12
	v_add_co_u32 v29, vcc_lo, s8, v29
	v_add_co_ci_u32_e32 v30, vcc_lo, s9, v30, vcc_lo
	s_delay_alu instid0(VALU_DEP_3)
	v_lshlrev_b64 v[33:34], 3, v[13:14]
	v_add_co_u32 v31, vcc_lo, s10, v31
	v_add_co_ci_u32_e32 v32, vcc_lo, s11, v32, vcc_lo
	global_load_b64 v[29:30], v[29:30], off
	v_add_co_u32 v33, vcc_lo, s8, v33
	v_add_co_ci_u32_e32 v34, vcc_lo, s9, v34, vcc_lo
	global_load_b64 v[31:32], v[31:32], off
	global_load_b64 v[33:34], v[33:34], off
	v_subrev_nc_u32_e32 v13, 26, v12
	s_delay_alu instid0(VALU_DEP_1) | instskip(SKIP_1) | instid1(VALU_DEP_1)
	v_lshlrev_b64 v[35:36], 3, v[13:14]
	v_add_nc_u32_e32 v13, 3, v22
	v_lshlrev_b64 v[37:38], 3, v[13:14]
	v_add_nc_u32_e32 v13, -11, v12
	s_delay_alu instid0(VALU_DEP_4) | instskip(SKIP_1) | instid1(VALU_DEP_3)
	v_add_co_u32 v35, vcc_lo, s8, v35
	v_add_co_ci_u32_e32 v36, vcc_lo, s9, v36, vcc_lo
	v_lshlrev_b64 v[39:40], 3, v[13:14]
	v_add_co_u32 v37, vcc_lo, s10, v37
	v_add_co_ci_u32_e32 v38, vcc_lo, s11, v38, vcc_lo
	global_load_b64 v[35:36], v[35:36], off
	v_add_co_u32 v39, vcc_lo, s8, v39
	v_add_co_ci_u32_e32 v40, vcc_lo, s9, v40, vcc_lo
	global_load_b64 v[37:38], v[37:38], off
	global_load_b64 v[39:40], v[39:40], off
	v_subrev_nc_u32_e32 v13, 25, v12
	s_delay_alu instid0(VALU_DEP_1) | instskip(SKIP_1) | instid1(VALU_DEP_1)
	v_lshlrev_b64 v[41:42], 3, v[13:14]
	v_add_nc_u32_e32 v13, 4, v22
	v_lshlrev_b64 v[43:44], 3, v[13:14]
	v_add_nc_u32_e32 v13, -10, v12
	s_delay_alu instid0(VALU_DEP_4) | instskip(SKIP_1) | instid1(VALU_DEP_3)
	v_add_co_u32 v41, vcc_lo, s8, v41
	v_add_co_ci_u32_e32 v42, vcc_lo, s9, v42, vcc_lo
	;; [unrolled: 17-line block ×4, first 2 shown]
	v_lshlrev_b64 v[57:58], 3, v[13:14]
	v_add_co_u32 v55, vcc_lo, s10, v55
	v_add_co_ci_u32_e32 v56, vcc_lo, s11, v56, vcc_lo
	v_subrev_nc_u32_e32 v13, 22, v12
	s_delay_alu instid0(VALU_DEP_4)
	v_add_co_u32 v57, vcc_lo, s8, v57
	v_add_co_ci_u32_e32 v58, vcc_lo, s9, v58, vcc_lo
	global_load_b64 v[53:54], v[53:54], off
	global_load_b64 v[55:56], v[55:56], off
	;; [unrolled: 1-line block ×3, first 2 shown]
	v_lshlrev_b64 v[59:60], 3, v[13:14]
	v_add_nc_u32_e32 v13, 7, v22
	s_delay_alu instid0(VALU_DEP_1) | instskip(SKIP_1) | instid1(VALU_DEP_4)
	v_lshlrev_b64 v[61:62], 3, v[13:14]
	v_add_nc_u32_e32 v13, -7, v12
	v_add_co_u32 v59, vcc_lo, s8, v59
	v_add_co_ci_u32_e32 v60, vcc_lo, s9, v60, vcc_lo
	s_delay_alu instid0(VALU_DEP_3) | instskip(SKIP_3) | instid1(VALU_DEP_4)
	v_lshlrev_b64 v[63:64], 3, v[13:14]
	v_add_co_u32 v61, vcc_lo, s10, v61
	v_add_co_ci_u32_e32 v62, vcc_lo, s11, v62, vcc_lo
	v_subrev_nc_u32_e32 v13, 21, v12
	v_add_co_u32 v63, vcc_lo, s8, v63
	v_add_co_ci_u32_e32 v64, vcc_lo, s9, v64, vcc_lo
	global_load_b64 v[59:60], v[59:60], off
	global_load_b64 v[61:62], v[61:62], off
	global_load_b64 v[63:64], v[63:64], off
	v_lshlrev_b64 v[65:66], 3, v[13:14]
	v_add_nc_u32_e32 v13, 8, v22
	s_delay_alu instid0(VALU_DEP_1) | instskip(SKIP_1) | instid1(VALU_DEP_4)
	v_lshlrev_b64 v[67:68], 3, v[13:14]
	v_add_nc_u32_e32 v13, -6, v12
	v_add_co_u32 v65, vcc_lo, s8, v65
	v_add_co_ci_u32_e32 v66, vcc_lo, s9, v66, vcc_lo
	s_delay_alu instid0(VALU_DEP_3) | instskip(SKIP_3) | instid1(VALU_DEP_4)
	v_lshlrev_b64 v[69:70], 3, v[13:14]
	v_add_co_u32 v67, vcc_lo, s10, v67
	v_add_co_ci_u32_e32 v68, vcc_lo, s11, v68, vcc_lo
	v_subrev_nc_u32_e32 v13, 20, v12
	v_add_co_u32 v69, vcc_lo, s8, v69
	v_add_co_ci_u32_e32 v70, vcc_lo, s9, v70, vcc_lo
	global_load_b64 v[65:66], v[65:66], off
	global_load_b64 v[67:68], v[67:68], off
	;; [unrolled: 1-line block ×3, first 2 shown]
	v_lshlrev_b64 v[71:72], 3, v[13:14]
	v_add_nc_u32_e32 v13, 9, v22
	s_waitcnt vmcnt(23)
	v_fma_f64 v[7:8], v[18:19], v[23:24], v[8:9]
	v_fma_f64 v[9:10], v[15:16], v[23:24], v[10:11]
	s_delay_alu instid0(VALU_DEP_3) | instskip(SKIP_3) | instid1(VALU_DEP_3)
	v_lshlrev_b64 v[15:16], 3, v[13:14]
	v_add_nc_u32_e32 v13, -5, v12
	v_add_co_u32 v18, vcc_lo, s8, v71
	v_add_co_ci_u32_e32 v19, vcc_lo, s9, v72, vcc_lo
	v_lshlrev_b64 v[23:24], 3, v[13:14]
	v_add_co_u32 v15, vcc_lo, s10, v15
	v_add_co_ci_u32_e32 v16, vcc_lo, s11, v16, vcc_lo
	v_subrev_nc_u32_e32 v13, 19, v12
	s_delay_alu instid0(VALU_DEP_4)
	v_add_co_u32 v23, vcc_lo, s8, v23
	v_add_co_ci_u32_e32 v24, vcc_lo, s9, v24, vcc_lo
	global_load_b64 v[18:19], v[18:19], off
	global_load_b64 v[15:16], v[15:16], off
	;; [unrolled: 1-line block ×3, first 2 shown]
	v_lshlrev_b64 v[71:72], 3, v[13:14]
	v_add_nc_u32_e32 v13, 10, v22
	s_waitcnt vmcnt(25)
	v_fma_f64 v[7:8], v[20:21], v[25:26], v[7:8]
	s_waitcnt vmcnt(24)
	v_fma_f64 v[9:10], v[27:28], v[25:26], v[9:10]
	v_lshlrev_b64 v[20:21], 3, v[13:14]
	v_add_nc_u32_e32 v13, -4, v12
	v_add_co_u32 v25, vcc_lo, s8, v71
	v_add_co_ci_u32_e32 v26, vcc_lo, s9, v72, vcc_lo
	s_delay_alu instid0(VALU_DEP_3) | instskip(SKIP_3) | instid1(VALU_DEP_4)
	v_lshlrev_b64 v[27:28], 3, v[13:14]
	v_add_co_u32 v20, vcc_lo, s10, v20
	v_add_co_ci_u32_e32 v21, vcc_lo, s11, v21, vcc_lo
	v_subrev_nc_u32_e32 v13, 18, v12
	v_add_co_u32 v27, vcc_lo, s8, v27
	v_add_co_ci_u32_e32 v28, vcc_lo, s9, v28, vcc_lo
	global_load_b64 v[25:26], v[25:26], off
	global_load_b64 v[20:21], v[20:21], off
	;; [unrolled: 1-line block ×3, first 2 shown]
	v_lshlrev_b64 v[71:72], 3, v[13:14]
	v_add_nc_u32_e32 v13, 11, v22
	s_waitcnt vmcnt(25)
	v_fma_f64 v[7:8], v[29:30], v[31:32], v[7:8]
	s_waitcnt vmcnt(24)
	v_fma_f64 v[9:10], v[33:34], v[31:32], v[9:10]
	v_lshlrev_b64 v[29:30], 3, v[13:14]
	v_add_nc_u32_e32 v13, -3, v12
	v_add_co_u32 v31, vcc_lo, s8, v71
	v_add_co_ci_u32_e32 v32, vcc_lo, s9, v72, vcc_lo
	s_delay_alu instid0(VALU_DEP_3) | instskip(SKIP_3) | instid1(VALU_DEP_4)
	v_lshlrev_b64 v[33:34], 3, v[13:14]
	v_add_co_u32 v29, vcc_lo, s10, v29
	v_add_co_ci_u32_e32 v30, vcc_lo, s11, v30, vcc_lo
	v_subrev_nc_u32_e32 v13, 17, v12
	v_add_co_u32 v33, vcc_lo, s8, v33
	v_add_co_ci_u32_e32 v34, vcc_lo, s9, v34, vcc_lo
	global_load_b64 v[31:32], v[31:32], off
	global_load_b64 v[29:30], v[29:30], off
	;; [unrolled: 1-line block ×3, first 2 shown]
	v_lshlrev_b64 v[71:72], 3, v[13:14]
	v_add_nc_u32_e32 v13, 12, v22
	s_waitcnt vmcnt(25)
	v_fma_f64 v[7:8], v[35:36], v[37:38], v[7:8]
	s_waitcnt vmcnt(24)
	v_fma_f64 v[9:10], v[39:40], v[37:38], v[9:10]
	v_lshlrev_b64 v[35:36], 3, v[13:14]
	v_add_nc_u32_e32 v13, -2, v12
	v_add_co_u32 v37, vcc_lo, s8, v71
	v_add_co_ci_u32_e32 v38, vcc_lo, s9, v72, vcc_lo
	s_delay_alu instid0(VALU_DEP_3) | instskip(SKIP_3) | instid1(VALU_DEP_4)
	v_lshlrev_b64 v[39:40], 3, v[13:14]
	v_add_co_u32 v35, vcc_lo, s10, v35
	v_add_co_ci_u32_e32 v36, vcc_lo, s11, v36, vcc_lo
	v_add_nc_u32_e32 v13, -16, v12
	v_add_co_u32 v39, vcc_lo, s8, v39
	v_add_co_ci_u32_e32 v40, vcc_lo, s9, v40, vcc_lo
	global_load_b64 v[37:38], v[37:38], off
	global_load_b64 v[35:36], v[35:36], off
	;; [unrolled: 1-line block ×3, first 2 shown]
	v_lshlrev_b64 v[71:72], 3, v[13:14]
	v_add_nc_u32_e32 v13, 13, v22
	s_waitcnt vmcnt(25)
	v_fma_f64 v[7:8], v[41:42], v[43:44], v[7:8]
	s_waitcnt vmcnt(24)
	v_fma_f64 v[9:10], v[45:46], v[43:44], v[9:10]
	v_lshlrev_b64 v[41:42], 3, v[13:14]
	v_add_nc_u32_e32 v13, -1, v12
	v_add_co_u32 v43, vcc_lo, s8, v71
	v_add_co_ci_u32_e32 v44, vcc_lo, s9, v72, vcc_lo
	s_delay_alu instid0(VALU_DEP_3) | instskip(SKIP_3) | instid1(VALU_DEP_4)
	v_lshlrev_b64 v[45:46], 3, v[13:14]
	v_add_co_u32 v41, vcc_lo, s10, v41
	v_add_co_ci_u32_e32 v42, vcc_lo, s11, v42, vcc_lo
	v_mov_b32_e32 v13, v14
	v_add_co_u32 v45, vcc_lo, s8, v45
	v_add_co_ci_u32_e32 v46, vcc_lo, s9, v46, vcc_lo
	global_load_b64 v[43:44], v[43:44], off
	global_load_b64 v[41:42], v[41:42], off
	;; [unrolled: 1-line block ×3, first 2 shown]
	v_lshlrev_b64 v[71:72], 3, v[12:13]
	v_add_nc_u32_e32 v13, -15, v12
	v_add_nc_u32_e32 v12, 0x78, v12
	s_delay_alu instid0(VALU_DEP_3) | instskip(NEXT) | instid1(VALU_DEP_4)
	v_add_co_u32 v71, vcc_lo, s8, v71
	v_add_co_ci_u32_e32 v72, vcc_lo, s9, v72, vcc_lo
	s_waitcnt vmcnt(25)
	v_fma_f64 v[7:8], v[47:48], v[49:50], v[7:8]
	s_waitcnt vmcnt(24)
	v_fma_f64 v[9:10], v[51:52], v[49:50], v[9:10]
	v_lshlrev_b64 v[47:48], 3, v[13:14]
	v_add_nc_u32_e32 v13, 14, v22
	s_delay_alu instid0(VALU_DEP_1) | instskip(NEXT) | instid1(VALU_DEP_3)
	v_lshlrev_b64 v[49:50], 3, v[13:14]
	v_add_co_u32 v47, vcc_lo, s8, v47
	s_delay_alu instid0(VALU_DEP_4) | instskip(NEXT) | instid1(VALU_DEP_3)
	v_add_co_ci_u32_e32 v48, vcc_lo, s9, v48, vcc_lo
	v_add_co_u32 v49, vcc_lo, s10, v49
	s_delay_alu instid0(VALU_DEP_4)
	v_add_co_ci_u32_e32 v50, vcc_lo, s11, v50, vcc_lo
	s_clause 0x1
	global_load_b64 v[51:52], v[71:72], off
	global_load_b64 v[47:48], v[47:48], off
	;; [unrolled: 1-line block ×3, first 2 shown]
	v_cmp_ge_i32_e32 vcc_lo, v6, v17
	s_or_b32 s2, vcc_lo, s2
	s_waitcnt vmcnt(25)
	v_fma_f64 v[7:8], v[53:54], v[55:56], v[7:8]
	s_waitcnt vmcnt(24)
	v_fma_f64 v[9:10], v[57:58], v[55:56], v[9:10]
	s_waitcnt vmcnt(22)
	s_delay_alu instid0(VALU_DEP_2) | instskip(SKIP_1) | instid1(VALU_DEP_2)
	v_fma_f64 v[7:8], v[59:60], v[61:62], v[7:8]
	s_waitcnt vmcnt(21)
	v_fma_f64 v[9:10], v[63:64], v[61:62], v[9:10]
	s_waitcnt vmcnt(19)
	s_delay_alu instid0(VALU_DEP_2) | instskip(SKIP_1) | instid1(VALU_DEP_2)
	;; [unrolled: 5-line block ×7, first 2 shown]
	v_fma_f64 v[7:8], v[43:44], v[41:42], v[7:8]
	s_waitcnt vmcnt(3)
	v_fma_f64 v[10:11], v[45:46], v[41:42], v[9:10]
	s_waitcnt vmcnt(0)
	s_delay_alu instid0(VALU_DEP_2) | instskip(NEXT) | instid1(VALU_DEP_2)
	v_fma_f64 v[8:9], v[47:48], v[49:50], v[7:8]
	v_fma_f64 v[10:11], v[51:52], v[49:50], v[10:11]
	s_and_not1_b32 exec_lo, exec_lo, s2
	s_cbranch_execnz .LBB141_15
; %bb.16:
	s_or_b32 exec_lo, exec_lo, s2
.LBB141_17:
	s_delay_alu instid0(SALU_CYCLE_1)
	s_or_b32 exec_lo, exec_lo, s3
.LBB141_18:
	v_mbcnt_lo_u32_b32 v14, -1, 0
	s_delay_alu instid0(VALU_DEP_1) | instskip(NEXT) | instid1(VALU_DEP_1)
	v_xor_b32_e32 v6, 2, v14
	v_cmp_gt_i32_e32 vcc_lo, 32, v6
	v_cndmask_b32_e32 v6, v14, v6, vcc_lo
	s_delay_alu instid0(VALU_DEP_1)
	v_lshlrev_b32_e32 v13, 2, v6
	ds_bpermute_b32 v6, v13, v8
	ds_bpermute_b32 v7, v13, v9
	s_waitcnt lgkmcnt(0)
	v_add_f64 v[6:7], v[8:9], v[6:7]
	v_xor_b32_e32 v8, 1, v14
	s_delay_alu instid0(VALU_DEP_1)
	v_cmp_gt_i32_e32 vcc_lo, 32, v8
	v_cndmask_b32_e32 v8, v14, v8, vcc_lo
	ds_bpermute_b32 v12, v13, v10
	ds_bpermute_b32 v13, v13, v11
	v_cmp_eq_u32_e32 vcc_lo, 3, v0
	s_waitcnt lgkmcnt(0)
	v_add_f64 v[10:11], v[10:11], v[12:13]
	v_lshlrev_b32_e32 v13, 2, v8
	ds_bpermute_b32 v8, v13, v6
	ds_bpermute_b32 v9, v13, v7
	;; [unrolled: 1-line block ×4, first 2 shown]
	s_and_b32 exec_lo, exec_lo, vcc_lo
	s_cbranch_execz .LBB141_23
; %bb.19:
	s_waitcnt lgkmcnt(2)
	v_add_f64 v[8:9], v[6:7], v[8:9]
	s_waitcnt lgkmcnt(0)
	v_add_f64 v[6:7], v[10:11], v[12:13]
	s_load_b64 s[0:1], s[0:1], 0x38
	s_mov_b32 s2, exec_lo
	v_cmpx_eq_f64_e32 0, v[3:4]
	s_xor_b32 s2, exec_lo, s2
	s_cbranch_execz .LBB141_21
; %bb.20:
	s_delay_alu instid0(VALU_DEP_3) | instskip(NEXT) | instid1(VALU_DEP_3)
	v_mul_f64 v[8:9], v[1:2], v[8:9]
	v_mul_f64 v[10:11], v[1:2], v[6:7]
	v_lshlrev_b32_e32 v0, 1, v5
                                        ; implicit-def: $vgpr5
                                        ; implicit-def: $vgpr3_vgpr4
                                        ; implicit-def: $vgpr6_vgpr7
	s_delay_alu instid0(VALU_DEP_1) | instskip(NEXT) | instid1(VALU_DEP_1)
	v_ashrrev_i32_e32 v1, 31, v0
	v_lshlrev_b64 v[0:1], 3, v[0:1]
	s_waitcnt lgkmcnt(0)
	s_delay_alu instid0(VALU_DEP_1) | instskip(NEXT) | instid1(VALU_DEP_2)
	v_add_co_u32 v0, vcc_lo, s0, v0
	v_add_co_ci_u32_e32 v1, vcc_lo, s1, v1, vcc_lo
	global_store_b128 v[0:1], v[8:11], off
                                        ; implicit-def: $vgpr1_vgpr2
                                        ; implicit-def: $vgpr8_vgpr9
.LBB141_21:
	s_and_not1_saveexec_b32 s2, s2
	s_cbranch_execz .LBB141_23
; %bb.22:
	v_lshlrev_b32_e32 v10, 1, v5
	s_delay_alu instid0(VALU_DEP_4) | instskip(NEXT) | instid1(VALU_DEP_4)
	v_mul_f64 v[8:9], v[1:2], v[8:9]
	v_mul_f64 v[5:6], v[1:2], v[6:7]
	s_delay_alu instid0(VALU_DEP_3) | instskip(NEXT) | instid1(VALU_DEP_1)
	v_ashrrev_i32_e32 v11, 31, v10
	v_lshlrev_b64 v[10:11], 3, v[10:11]
	s_waitcnt lgkmcnt(0)
	s_delay_alu instid0(VALU_DEP_1) | instskip(NEXT) | instid1(VALU_DEP_2)
	v_add_co_u32 v14, vcc_lo, s0, v10
	v_add_co_ci_u32_e32 v15, vcc_lo, s1, v11, vcc_lo
	global_load_b128 v[10:13], v[14:15], off
	s_waitcnt vmcnt(0)
	v_fma_f64 v[0:1], v[3:4], v[10:11], v[8:9]
	v_fma_f64 v[2:3], v[3:4], v[12:13], v[5:6]
	global_store_b128 v[14:15], v[0:3], off
.LBB141_23:
	s_nop 0
	s_sendmsg sendmsg(MSG_DEALLOC_VGPRS)
	s_endpgm
	.section	.rodata,"a",@progbits
	.p2align	6, 0x0
	.amdhsa_kernel _ZN9rocsparseL19gebsrmvn_2xn_kernelILj128ELj15ELj4EdEEvi20rocsparse_direction_NS_24const_host_device_scalarIT2_EEPKiS6_PKS3_S8_S4_PS3_21rocsparse_index_base_b
		.amdhsa_group_segment_fixed_size 0
		.amdhsa_private_segment_fixed_size 0
		.amdhsa_kernarg_size 72
		.amdhsa_user_sgpr_count 15
		.amdhsa_user_sgpr_dispatch_ptr 0
		.amdhsa_user_sgpr_queue_ptr 0
		.amdhsa_user_sgpr_kernarg_segment_ptr 1
		.amdhsa_user_sgpr_dispatch_id 0
		.amdhsa_user_sgpr_private_segment_size 0
		.amdhsa_wavefront_size32 1
		.amdhsa_uses_dynamic_stack 0
		.amdhsa_enable_private_segment 0
		.amdhsa_system_sgpr_workgroup_id_x 1
		.amdhsa_system_sgpr_workgroup_id_y 0
		.amdhsa_system_sgpr_workgroup_id_z 0
		.amdhsa_system_sgpr_workgroup_info 0
		.amdhsa_system_vgpr_workitem_id 0
		.amdhsa_next_free_vgpr 73
		.amdhsa_next_free_sgpr 16
		.amdhsa_reserve_vcc 1
		.amdhsa_float_round_mode_32 0
		.amdhsa_float_round_mode_16_64 0
		.amdhsa_float_denorm_mode_32 3
		.amdhsa_float_denorm_mode_16_64 3
		.amdhsa_dx10_clamp 1
		.amdhsa_ieee_mode 1
		.amdhsa_fp16_overflow 0
		.amdhsa_workgroup_processor_mode 1
		.amdhsa_memory_ordered 1
		.amdhsa_forward_progress 0
		.amdhsa_shared_vgpr_count 0
		.amdhsa_exception_fp_ieee_invalid_op 0
		.amdhsa_exception_fp_denorm_src 0
		.amdhsa_exception_fp_ieee_div_zero 0
		.amdhsa_exception_fp_ieee_overflow 0
		.amdhsa_exception_fp_ieee_underflow 0
		.amdhsa_exception_fp_ieee_inexact 0
		.amdhsa_exception_int_div_zero 0
	.end_amdhsa_kernel
	.section	.text._ZN9rocsparseL19gebsrmvn_2xn_kernelILj128ELj15ELj4EdEEvi20rocsparse_direction_NS_24const_host_device_scalarIT2_EEPKiS6_PKS3_S8_S4_PS3_21rocsparse_index_base_b,"axG",@progbits,_ZN9rocsparseL19gebsrmvn_2xn_kernelILj128ELj15ELj4EdEEvi20rocsparse_direction_NS_24const_host_device_scalarIT2_EEPKiS6_PKS3_S8_S4_PS3_21rocsparse_index_base_b,comdat
.Lfunc_end141:
	.size	_ZN9rocsparseL19gebsrmvn_2xn_kernelILj128ELj15ELj4EdEEvi20rocsparse_direction_NS_24const_host_device_scalarIT2_EEPKiS6_PKS3_S8_S4_PS3_21rocsparse_index_base_b, .Lfunc_end141-_ZN9rocsparseL19gebsrmvn_2xn_kernelILj128ELj15ELj4EdEEvi20rocsparse_direction_NS_24const_host_device_scalarIT2_EEPKiS6_PKS3_S8_S4_PS3_21rocsparse_index_base_b
                                        ; -- End function
	.section	.AMDGPU.csdata,"",@progbits
; Kernel info:
; codeLenInByte = 4340
; NumSgprs: 18
; NumVgprs: 73
; ScratchSize: 0
; MemoryBound: 0
; FloatMode: 240
; IeeeMode: 1
; LDSByteSize: 0 bytes/workgroup (compile time only)
; SGPRBlocks: 2
; VGPRBlocks: 9
; NumSGPRsForWavesPerEU: 18
; NumVGPRsForWavesPerEU: 73
; Occupancy: 16
; WaveLimiterHint : 1
; COMPUTE_PGM_RSRC2:SCRATCH_EN: 0
; COMPUTE_PGM_RSRC2:USER_SGPR: 15
; COMPUTE_PGM_RSRC2:TRAP_HANDLER: 0
; COMPUTE_PGM_RSRC2:TGID_X_EN: 1
; COMPUTE_PGM_RSRC2:TGID_Y_EN: 0
; COMPUTE_PGM_RSRC2:TGID_Z_EN: 0
; COMPUTE_PGM_RSRC2:TIDIG_COMP_CNT: 0
	.section	.text._ZN9rocsparseL19gebsrmvn_2xn_kernelILj128ELj15ELj8EdEEvi20rocsparse_direction_NS_24const_host_device_scalarIT2_EEPKiS6_PKS3_S8_S4_PS3_21rocsparse_index_base_b,"axG",@progbits,_ZN9rocsparseL19gebsrmvn_2xn_kernelILj128ELj15ELj8EdEEvi20rocsparse_direction_NS_24const_host_device_scalarIT2_EEPKiS6_PKS3_S8_S4_PS3_21rocsparse_index_base_b,comdat
	.globl	_ZN9rocsparseL19gebsrmvn_2xn_kernelILj128ELj15ELj8EdEEvi20rocsparse_direction_NS_24const_host_device_scalarIT2_EEPKiS6_PKS3_S8_S4_PS3_21rocsparse_index_base_b ; -- Begin function _ZN9rocsparseL19gebsrmvn_2xn_kernelILj128ELj15ELj8EdEEvi20rocsparse_direction_NS_24const_host_device_scalarIT2_EEPKiS6_PKS3_S8_S4_PS3_21rocsparse_index_base_b
	.p2align	8
	.type	_ZN9rocsparseL19gebsrmvn_2xn_kernelILj128ELj15ELj8EdEEvi20rocsparse_direction_NS_24const_host_device_scalarIT2_EEPKiS6_PKS3_S8_S4_PS3_21rocsparse_index_base_b,@function
_ZN9rocsparseL19gebsrmvn_2xn_kernelILj128ELj15ELj8EdEEvi20rocsparse_direction_NS_24const_host_device_scalarIT2_EEPKiS6_PKS3_S8_S4_PS3_21rocsparse_index_base_b: ; @_ZN9rocsparseL19gebsrmvn_2xn_kernelILj128ELj15ELj8EdEEvi20rocsparse_direction_NS_24const_host_device_scalarIT2_EEPKiS6_PKS3_S8_S4_PS3_21rocsparse_index_base_b
; %bb.0:
	s_clause 0x2
	s_load_b64 s[12:13], s[0:1], 0x40
	s_load_b64 s[4:5], s[0:1], 0x8
	;; [unrolled: 1-line block ×3, first 2 shown]
	s_waitcnt lgkmcnt(0)
	s_bitcmp1_b32 s13, 0
	v_dual_mov_b32 v1, s4 :: v_dual_mov_b32 v2, s5
	s_cselect_b32 s6, -1, 0
	s_delay_alu instid0(SALU_CYCLE_1)
	s_and_b32 vcc_lo, exec_lo, s6
	s_xor_b32 s6, s6, -1
	s_cbranch_vccnz .LBB142_2
; %bb.1:
	v_dual_mov_b32 v1, s4 :: v_dual_mov_b32 v2, s5
	flat_load_b64 v[1:2], v[1:2]
.LBB142_2:
	v_dual_mov_b32 v4, s3 :: v_dual_mov_b32 v3, s2
	s_and_not1_b32 vcc_lo, exec_lo, s6
	s_cbranch_vccnz .LBB142_4
; %bb.3:
	v_dual_mov_b32 v4, s3 :: v_dual_mov_b32 v3, s2
	flat_load_b64 v[3:4], v[3:4]
.LBB142_4:
	s_waitcnt vmcnt(0) lgkmcnt(0)
	v_cmp_neq_f64_e32 vcc_lo, 0, v[1:2]
	v_cmp_neq_f64_e64 s2, 1.0, v[3:4]
	s_delay_alu instid0(VALU_DEP_1) | instskip(NEXT) | instid1(SALU_CYCLE_1)
	s_or_b32 s2, vcc_lo, s2
	s_and_saveexec_b32 s3, s2
	s_cbranch_execz .LBB142_23
; %bb.5:
	s_load_b64 s[2:3], s[0:1], 0x0
	v_lshrrev_b32_e32 v5, 3, v0
	s_delay_alu instid0(VALU_DEP_1) | instskip(SKIP_1) | instid1(VALU_DEP_1)
	v_lshl_or_b32 v5, s15, 4, v5
	s_waitcnt lgkmcnt(0)
	v_cmp_gt_i32_e32 vcc_lo, s2, v5
	s_and_b32 exec_lo, exec_lo, vcc_lo
	s_cbranch_execz .LBB142_23
; %bb.6:
	s_load_b256 s[4:11], s[0:1], 0x10
	v_ashrrev_i32_e32 v6, 31, v5
	v_and_b32_e32 v0, 7, v0
	s_cmp_lg_u32 s3, 0
	s_delay_alu instid0(VALU_DEP_2) | instskip(SKIP_1) | instid1(VALU_DEP_1)
	v_lshlrev_b64 v[6:7], 2, v[5:6]
	s_waitcnt lgkmcnt(0)
	v_add_co_u32 v6, vcc_lo, s4, v6
	s_delay_alu instid0(VALU_DEP_2) | instskip(SKIP_4) | instid1(VALU_DEP_2)
	v_add_co_ci_u32_e32 v7, vcc_lo, s5, v7, vcc_lo
	global_load_b64 v[6:7], v[6:7], off
	s_waitcnt vmcnt(0)
	v_subrev_nc_u32_e32 v6, s12, v6
	v_subrev_nc_u32_e32 v17, s12, v7
	v_add_nc_u32_e32 v6, v6, v0
	s_delay_alu instid0(VALU_DEP_1)
	v_cmp_lt_i32_e64 s2, v6, v17
	s_cbranch_scc0 .LBB142_12
; %bb.7:
	v_mov_b32_e32 v8, 0
	v_mov_b32_e32 v9, 0
	s_delay_alu instid0(VALU_DEP_1)
	v_dual_mov_b32 v11, v9 :: v_dual_mov_b32 v10, v8
	s_and_saveexec_b32 s3, s2
	s_cbranch_execz .LBB142_11
; %bb.8:
	v_dual_mov_b32 v8, 0 :: v_dual_mov_b32 v15, v6
	v_dual_mov_b32 v9, 0 :: v_dual_mov_b32 v14, 0
	v_mad_u64_u32 v[12:13], null, v6, 30, 28
	s_mov_b32 s4, 0
	s_delay_alu instid0(VALU_DEP_2)
	v_dual_mov_b32 v11, v9 :: v_dual_mov_b32 v10, v8
.LBB142_9:                              ; =>This Inner Loop Header: Depth=1
	v_ashrrev_i32_e32 v16, 31, v15
	s_delay_alu instid0(VALU_DEP_3) | instskip(SKIP_1) | instid1(VALU_DEP_3)
	v_subrev_nc_u32_e32 v13, 28, v12
	v_mov_b32_e32 v55, v14
	v_lshlrev_b64 v[18:19], 2, v[15:16]
	v_add_nc_u32_e32 v15, 8, v15
	s_delay_alu instid0(VALU_DEP_2) | instskip(NEXT) | instid1(VALU_DEP_3)
	v_add_co_u32 v18, vcc_lo, s6, v18
	v_add_co_ci_u32_e32 v19, vcc_lo, s7, v19, vcc_lo
	global_load_b32 v7, v[18:19], off
	v_lshlrev_b64 v[18:19], 3, v[13:14]
	v_subrev_nc_u32_e32 v13, 26, v12
	s_delay_alu instid0(VALU_DEP_2) | instskip(NEXT) | instid1(VALU_DEP_3)
	v_add_co_u32 v18, vcc_lo, s8, v18
	v_add_co_ci_u32_e32 v19, vcc_lo, s9, v19, vcc_lo
	global_load_b128 v[18:21], v[18:19], off
	s_waitcnt vmcnt(1)
	v_subrev_nc_u32_e32 v7, s12, v7
	s_delay_alu instid0(VALU_DEP_1) | instskip(NEXT) | instid1(VALU_DEP_1)
	v_mul_lo_u32 v54, v7, 15
	v_lshlrev_b64 v[22:23], 3, v[54:55]
	s_delay_alu instid0(VALU_DEP_1) | instskip(NEXT) | instid1(VALU_DEP_2)
	v_add_co_u32 v22, vcc_lo, s10, v22
	v_add_co_ci_u32_e32 v23, vcc_lo, s11, v23, vcc_lo
	global_load_b64 v[55:56], v[22:23], off
	v_lshlrev_b64 v[22:23], 3, v[13:14]
	v_add_nc_u32_e32 v13, 1, v54
	s_delay_alu instid0(VALU_DEP_1) | instskip(NEXT) | instid1(VALU_DEP_3)
	v_lshlrev_b64 v[26:27], 3, v[13:14]
	v_add_co_u32 v22, vcc_lo, s8, v22
	s_delay_alu instid0(VALU_DEP_4) | instskip(SKIP_1) | instid1(VALU_DEP_4)
	v_add_co_ci_u32_e32 v23, vcc_lo, s9, v23, vcc_lo
	v_subrev_nc_u32_e32 v13, 24, v12
	v_add_co_u32 v26, vcc_lo, s10, v26
	v_add_co_ci_u32_e32 v27, vcc_lo, s11, v27, vcc_lo
	global_load_b128 v[22:25], v[22:23], off
	global_load_b64 v[57:58], v[26:27], off
	v_lshlrev_b64 v[26:27], 3, v[13:14]
	v_add_nc_u32_e32 v13, 2, v54
	s_delay_alu instid0(VALU_DEP_1) | instskip(NEXT) | instid1(VALU_DEP_3)
	v_lshlrev_b64 v[28:29], 3, v[13:14]
	v_add_co_u32 v26, vcc_lo, s8, v26
	s_delay_alu instid0(VALU_DEP_4) | instskip(SKIP_1) | instid1(VALU_DEP_4)
	v_add_co_ci_u32_e32 v27, vcc_lo, s9, v27, vcc_lo
	v_subrev_nc_u32_e32 v13, 22, v12
	v_add_co_u32 v30, vcc_lo, s10, v28
	v_add_co_ci_u32_e32 v31, vcc_lo, s11, v29, vcc_lo
	global_load_b128 v[26:29], v[26:27], off
	;; [unrolled: 12-line block ×4, first 2 shown]
	global_load_b64 v[63:64], v[38:39], off
	v_lshlrev_b64 v[38:39], 3, v[13:14]
	v_add_nc_u32_e32 v13, 5, v54
	s_delay_alu instid0(VALU_DEP_1) | instskip(NEXT) | instid1(VALU_DEP_3)
	v_lshlrev_b64 v[40:41], 3, v[13:14]
	v_add_co_u32 v38, vcc_lo, s8, v38
	s_delay_alu instid0(VALU_DEP_4) | instskip(SKIP_1) | instid1(VALU_DEP_4)
	v_add_co_ci_u32_e32 v39, vcc_lo, s9, v39, vcc_lo
	v_add_nc_u32_e32 v13, -16, v12
	v_add_co_u32 v42, vcc_lo, s10, v40
	v_add_co_ci_u32_e32 v43, vcc_lo, s11, v41, vcc_lo
	global_load_b128 v[38:41], v[38:39], off
	global_load_b64 v[65:66], v[42:43], off
	v_lshlrev_b64 v[42:43], 3, v[13:14]
	v_add_nc_u32_e32 v13, 6, v54
	s_delay_alu instid0(VALU_DEP_1) | instskip(NEXT) | instid1(VALU_DEP_3)
	v_lshlrev_b64 v[44:45], 3, v[13:14]
	v_add_co_u32 v42, vcc_lo, s8, v42
	s_delay_alu instid0(VALU_DEP_4) | instskip(SKIP_1) | instid1(VALU_DEP_4)
	v_add_co_ci_u32_e32 v43, vcc_lo, s9, v43, vcc_lo
	v_add_nc_u32_e32 v13, -14, v12
	v_add_co_u32 v46, vcc_lo, s10, v44
	v_add_co_ci_u32_e32 v47, vcc_lo, s11, v45, vcc_lo
	global_load_b128 v[42:45], v[42:43], off
	;; [unrolled: 12-line block ×4, first 2 shown]
	global_load_b64 v[71:72], v[71:72], off
	s_waitcnt vmcnt(16)
	v_fma_f64 v[18:19], v[18:19], v[55:56], v[8:9]
	v_fma_f64 v[20:21], v[20:21], v[55:56], v[10:11]
	v_lshlrev_b64 v[7:8], 3, v[13:14]
	v_add_nc_u32_e32 v13, 9, v54
	s_delay_alu instid0(VALU_DEP_1) | instskip(NEXT) | instid1(VALU_DEP_3)
	v_lshlrev_b64 v[9:10], 3, v[13:14]
	v_add_co_u32 v7, vcc_lo, s8, v7
	s_delay_alu instid0(VALU_DEP_4) | instskip(SKIP_1) | instid1(VALU_DEP_4)
	v_add_co_ci_u32_e32 v8, vcc_lo, s9, v8, vcc_lo
	v_add_nc_u32_e32 v13, -8, v12
	v_add_co_u32 v55, vcc_lo, s10, v9
	v_add_co_ci_u32_e32 v56, vcc_lo, s11, v10, vcc_lo
	global_load_b128 v[7:10], v[7:8], off
	global_load_b64 v[55:56], v[55:56], off
	s_waitcnt vmcnt(16)
	v_fma_f64 v[22:23], v[22:23], v[57:58], v[18:19]
	v_fma_f64 v[24:25], v[24:25], v[57:58], v[20:21]
	v_lshlrev_b64 v[18:19], 3, v[13:14]
	v_add_nc_u32_e32 v13, 10, v54
	s_delay_alu instid0(VALU_DEP_1) | instskip(NEXT) | instid1(VALU_DEP_3)
	v_lshlrev_b64 v[20:21], 3, v[13:14]
	v_add_co_u32 v18, vcc_lo, s8, v18
	s_delay_alu instid0(VALU_DEP_4) | instskip(SKIP_1) | instid1(VALU_DEP_4)
	v_add_co_ci_u32_e32 v19, vcc_lo, s9, v19, vcc_lo
	v_add_nc_u32_e32 v13, -6, v12
	v_add_co_u32 v57, vcc_lo, s10, v20
	v_add_co_ci_u32_e32 v58, vcc_lo, s11, v21, vcc_lo
	global_load_b128 v[18:21], v[18:19], off
	global_load_b64 v[57:58], v[57:58], off
	s_waitcnt vmcnt(16)
	v_fma_f64 v[26:27], v[26:27], v[59:60], v[22:23]
	v_fma_f64 v[28:29], v[28:29], v[59:60], v[24:25]
	v_lshlrev_b64 v[22:23], 3, v[13:14]
	v_add_nc_u32_e32 v13, 11, v54
	s_delay_alu instid0(VALU_DEP_1) | instskip(NEXT) | instid1(VALU_DEP_3)
	v_lshlrev_b64 v[24:25], 3, v[13:14]
	v_add_co_u32 v22, vcc_lo, s8, v22
	s_delay_alu instid0(VALU_DEP_4) | instskip(SKIP_1) | instid1(VALU_DEP_4)
	v_add_co_ci_u32_e32 v23, vcc_lo, s9, v23, vcc_lo
	v_add_nc_u32_e32 v13, -4, v12
	v_add_co_u32 v59, vcc_lo, s10, v24
	v_add_co_ci_u32_e32 v60, vcc_lo, s11, v25, vcc_lo
	global_load_b128 v[22:25], v[22:23], off
	global_load_b64 v[59:60], v[59:60], off
	s_waitcnt vmcnt(16)
	v_fma_f64 v[30:31], v[30:31], v[61:62], v[26:27]
	v_fma_f64 v[32:33], v[32:33], v[61:62], v[28:29]
	v_lshlrev_b64 v[26:27], 3, v[13:14]
	v_add_nc_u32_e32 v13, 12, v54
	s_delay_alu instid0(VALU_DEP_1) | instskip(NEXT) | instid1(VALU_DEP_3)
	v_lshlrev_b64 v[28:29], 3, v[13:14]
	v_add_co_u32 v26, vcc_lo, s8, v26
	s_delay_alu instid0(VALU_DEP_4) | instskip(SKIP_1) | instid1(VALU_DEP_4)
	v_add_co_ci_u32_e32 v27, vcc_lo, s9, v27, vcc_lo
	v_add_nc_u32_e32 v13, -2, v12
	v_add_co_u32 v61, vcc_lo, s10, v28
	v_add_co_ci_u32_e32 v62, vcc_lo, s11, v29, vcc_lo
	global_load_b128 v[26:29], v[26:27], off
	global_load_b64 v[61:62], v[61:62], off
	s_waitcnt vmcnt(16)
	v_fma_f64 v[34:35], v[34:35], v[63:64], v[30:31]
	v_fma_f64 v[36:37], v[36:37], v[63:64], v[32:33]
	v_lshlrev_b64 v[30:31], 3, v[13:14]
	v_add_nc_u32_e32 v13, 13, v54
	s_delay_alu instid0(VALU_DEP_1) | instskip(NEXT) | instid1(VALU_DEP_3)
	v_lshlrev_b64 v[32:33], 3, v[13:14]
	v_add_co_u32 v30, vcc_lo, s8, v30
	s_delay_alu instid0(VALU_DEP_4) | instskip(SKIP_1) | instid1(VALU_DEP_4)
	v_add_co_ci_u32_e32 v31, vcc_lo, s9, v31, vcc_lo
	v_mov_b32_e32 v13, v14
	v_add_co_u32 v63, vcc_lo, s10, v32
	v_add_co_ci_u32_e32 v64, vcc_lo, s11, v33, vcc_lo
	global_load_b128 v[30:33], v[30:31], off
	global_load_b64 v[63:64], v[63:64], off
	s_waitcnt vmcnt(16)
	v_fma_f64 v[38:39], v[38:39], v[65:66], v[34:35]
	v_fma_f64 v[40:41], v[40:41], v[65:66], v[36:37]
	v_lshlrev_b64 v[34:35], 3, v[12:13]
	v_add_nc_u32_e32 v12, 0xf0, v12
	v_add_nc_u32_e32 v13, 14, v54
	s_delay_alu instid0(VALU_DEP_3) | instskip(NEXT) | instid1(VALU_DEP_2)
	v_add_co_u32 v34, vcc_lo, s8, v34
	v_lshlrev_b64 v[36:37], 3, v[13:14]
	v_add_co_ci_u32_e32 v35, vcc_lo, s9, v35, vcc_lo
	s_delay_alu instid0(VALU_DEP_2) | instskip(NEXT) | instid1(VALU_DEP_3)
	v_add_co_u32 v65, vcc_lo, s10, v36
	v_add_co_ci_u32_e32 v66, vcc_lo, s11, v37, vcc_lo
	global_load_b128 v[34:37], v[34:35], off
	global_load_b64 v[65:66], v[65:66], off
	v_cmp_ge_i32_e32 vcc_lo, v15, v17
	s_or_b32 s4, vcc_lo, s4
	s_waitcnt vmcnt(16)
	v_fma_f64 v[38:39], v[42:43], v[67:68], v[38:39]
	v_fma_f64 v[40:41], v[44:45], v[67:68], v[40:41]
	s_waitcnt vmcnt(14)
	s_delay_alu instid0(VALU_DEP_2) | instskip(NEXT) | instid1(VALU_DEP_2)
	v_fma_f64 v[38:39], v[46:47], v[69:70], v[38:39]
	v_fma_f64 v[40:41], v[48:49], v[69:70], v[40:41]
	s_waitcnt vmcnt(12)
	s_delay_alu instid0(VALU_DEP_2) | instskip(NEXT) | instid1(VALU_DEP_2)
	v_fma_f64 v[38:39], v[50:51], v[71:72], v[38:39]
	v_fma_f64 v[40:41], v[52:53], v[71:72], v[40:41]
	s_waitcnt vmcnt(10)
	s_delay_alu instid0(VALU_DEP_2) | instskip(NEXT) | instid1(VALU_DEP_2)
	v_fma_f64 v[7:8], v[7:8], v[55:56], v[38:39]
	v_fma_f64 v[9:10], v[9:10], v[55:56], v[40:41]
	s_waitcnt vmcnt(8)
	s_delay_alu instid0(VALU_DEP_2) | instskip(NEXT) | instid1(VALU_DEP_2)
	v_fma_f64 v[7:8], v[18:19], v[57:58], v[7:8]
	v_fma_f64 v[9:10], v[20:21], v[57:58], v[9:10]
	s_waitcnt vmcnt(6)
	s_delay_alu instid0(VALU_DEP_2) | instskip(NEXT) | instid1(VALU_DEP_2)
	v_fma_f64 v[7:8], v[22:23], v[59:60], v[7:8]
	v_fma_f64 v[9:10], v[24:25], v[59:60], v[9:10]
	s_waitcnt vmcnt(4)
	s_delay_alu instid0(VALU_DEP_2) | instskip(NEXT) | instid1(VALU_DEP_2)
	v_fma_f64 v[7:8], v[26:27], v[61:62], v[7:8]
	v_fma_f64 v[9:10], v[28:29], v[61:62], v[9:10]
	s_waitcnt vmcnt(2)
	s_delay_alu instid0(VALU_DEP_2) | instskip(NEXT) | instid1(VALU_DEP_2)
	v_fma_f64 v[7:8], v[30:31], v[63:64], v[7:8]
	v_fma_f64 v[10:11], v[32:33], v[63:64], v[9:10]
	s_waitcnt vmcnt(0)
	s_delay_alu instid0(VALU_DEP_2) | instskip(NEXT) | instid1(VALU_DEP_2)
	v_fma_f64 v[8:9], v[34:35], v[65:66], v[7:8]
	v_fma_f64 v[10:11], v[36:37], v[65:66], v[10:11]
	s_and_not1_b32 exec_lo, exec_lo, s4
	s_cbranch_execnz .LBB142_9
; %bb.10:
	s_or_b32 exec_lo, exec_lo, s4
.LBB142_11:
	s_delay_alu instid0(SALU_CYCLE_1)
	s_or_b32 exec_lo, exec_lo, s3
	s_cbranch_execz .LBB142_13
	s_branch .LBB142_18
.LBB142_12:
                                        ; implicit-def: $vgpr8_vgpr9
                                        ; implicit-def: $vgpr10_vgpr11
.LBB142_13:
	v_mov_b32_e32 v8, 0
	v_mov_b32_e32 v9, 0
	s_delay_alu instid0(VALU_DEP_1)
	v_dual_mov_b32 v11, v9 :: v_dual_mov_b32 v10, v8
	s_and_saveexec_b32 s3, s2
	s_cbranch_execz .LBB142_17
; %bb.14:
	v_mov_b32_e32 v8, 0
	v_dual_mov_b32 v9, 0 :: v_dual_mov_b32 v14, 0
	v_mad_u64_u32 v[12:13], null, v6, 30, 29
	s_mov_b32 s2, 0
	s_delay_alu instid0(VALU_DEP_2)
	v_dual_mov_b32 v11, v9 :: v_dual_mov_b32 v10, v8
.LBB142_15:                             ; =>This Inner Loop Header: Depth=1
	v_ashrrev_i32_e32 v7, 31, v6
	s_delay_alu instid0(VALU_DEP_3) | instskip(SKIP_1) | instid1(VALU_DEP_3)
	v_subrev_nc_u32_e32 v13, 29, v12
	v_mov_b32_e32 v23, v14
	v_lshlrev_b64 v[15:16], 2, v[6:7]
	v_add_nc_u32_e32 v6, 8, v6
	s_delay_alu instid0(VALU_DEP_4) | instskip(NEXT) | instid1(VALU_DEP_3)
	v_lshlrev_b64 v[18:19], 3, v[13:14]
	v_add_co_u32 v15, vcc_lo, s6, v15
	s_delay_alu instid0(VALU_DEP_4) | instskip(NEXT) | instid1(VALU_DEP_3)
	v_add_co_ci_u32_e32 v16, vcc_lo, s7, v16, vcc_lo
	v_add_co_u32 v18, vcc_lo, s8, v18
	s_delay_alu instid0(VALU_DEP_4) | instskip(SKIP_2) | instid1(VALU_DEP_1)
	v_add_co_ci_u32_e32 v19, vcc_lo, s9, v19, vcc_lo
	global_load_b32 v7, v[15:16], off
	v_dual_mov_b32 v16, v14 :: v_dual_add_nc_u32 v15, -14, v12
	v_lshlrev_b64 v[15:16], 3, v[15:16]
	s_delay_alu instid0(VALU_DEP_1) | instskip(NEXT) | instid1(VALU_DEP_2)
	v_add_co_u32 v15, vcc_lo, s8, v15
	v_add_co_ci_u32_e32 v16, vcc_lo, s9, v16, vcc_lo
	s_clause 0x1
	global_load_b128 v[18:21], v[18:19], off
	global_load_b64 v[15:16], v[15:16], off
	s_waitcnt vmcnt(2)
	v_subrev_nc_u32_e32 v7, s12, v7
	s_delay_alu instid0(VALU_DEP_1) | instskip(NEXT) | instid1(VALU_DEP_1)
	v_mul_lo_u32 v22, v7, 15
	v_lshlrev_b64 v[23:24], 3, v[22:23]
	v_add_nc_u32_e32 v13, 1, v22
	s_delay_alu instid0(VALU_DEP_1) | instskip(NEXT) | instid1(VALU_DEP_3)
	v_lshlrev_b64 v[25:26], 3, v[13:14]
	v_add_co_u32 v23, vcc_lo, s10, v23
	s_delay_alu instid0(VALU_DEP_4) | instskip(SKIP_1) | instid1(VALU_DEP_4)
	v_add_co_ci_u32_e32 v24, vcc_lo, s11, v24, vcc_lo
	v_add_nc_u32_e32 v13, -13, v12
	v_add_co_u32 v25, vcc_lo, s10, v25
	global_load_b64 v[23:24], v[23:24], off
	v_add_co_ci_u32_e32 v26, vcc_lo, s11, v26, vcc_lo
	v_lshlrev_b64 v[27:28], 3, v[13:14]
	v_subrev_nc_u32_e32 v13, 27, v12
	s_delay_alu instid0(VALU_DEP_2) | instskip(NEXT) | instid1(VALU_DEP_3)
	v_add_co_u32 v27, vcc_lo, s8, v27
	v_add_co_ci_u32_e32 v28, vcc_lo, s9, v28, vcc_lo
	global_load_b64 v[25:26], v[25:26], off
	global_load_b64 v[27:28], v[27:28], off
	v_lshlrev_b64 v[29:30], 3, v[13:14]
	v_add_nc_u32_e32 v13, 2, v22
	s_delay_alu instid0(VALU_DEP_1) | instskip(SKIP_1) | instid1(VALU_DEP_4)
	v_lshlrev_b64 v[31:32], 3, v[13:14]
	v_add_nc_u32_e32 v13, -12, v12
	v_add_co_u32 v29, vcc_lo, s8, v29
	v_add_co_ci_u32_e32 v30, vcc_lo, s9, v30, vcc_lo
	s_delay_alu instid0(VALU_DEP_3)
	v_lshlrev_b64 v[33:34], 3, v[13:14]
	v_add_co_u32 v31, vcc_lo, s10, v31
	v_add_co_ci_u32_e32 v32, vcc_lo, s11, v32, vcc_lo
	global_load_b64 v[29:30], v[29:30], off
	v_add_co_u32 v33, vcc_lo, s8, v33
	v_add_co_ci_u32_e32 v34, vcc_lo, s9, v34, vcc_lo
	global_load_b64 v[31:32], v[31:32], off
	global_load_b64 v[33:34], v[33:34], off
	v_subrev_nc_u32_e32 v13, 26, v12
	s_delay_alu instid0(VALU_DEP_1) | instskip(SKIP_1) | instid1(VALU_DEP_1)
	v_lshlrev_b64 v[35:36], 3, v[13:14]
	v_add_nc_u32_e32 v13, 3, v22
	v_lshlrev_b64 v[37:38], 3, v[13:14]
	v_add_nc_u32_e32 v13, -11, v12
	s_delay_alu instid0(VALU_DEP_4) | instskip(SKIP_1) | instid1(VALU_DEP_3)
	v_add_co_u32 v35, vcc_lo, s8, v35
	v_add_co_ci_u32_e32 v36, vcc_lo, s9, v36, vcc_lo
	v_lshlrev_b64 v[39:40], 3, v[13:14]
	v_add_co_u32 v37, vcc_lo, s10, v37
	v_add_co_ci_u32_e32 v38, vcc_lo, s11, v38, vcc_lo
	global_load_b64 v[35:36], v[35:36], off
	v_add_co_u32 v39, vcc_lo, s8, v39
	v_add_co_ci_u32_e32 v40, vcc_lo, s9, v40, vcc_lo
	global_load_b64 v[37:38], v[37:38], off
	global_load_b64 v[39:40], v[39:40], off
	v_subrev_nc_u32_e32 v13, 25, v12
	s_delay_alu instid0(VALU_DEP_1) | instskip(SKIP_1) | instid1(VALU_DEP_1)
	v_lshlrev_b64 v[41:42], 3, v[13:14]
	v_add_nc_u32_e32 v13, 4, v22
	v_lshlrev_b64 v[43:44], 3, v[13:14]
	v_add_nc_u32_e32 v13, -10, v12
	s_delay_alu instid0(VALU_DEP_4) | instskip(SKIP_1) | instid1(VALU_DEP_3)
	v_add_co_u32 v41, vcc_lo, s8, v41
	v_add_co_ci_u32_e32 v42, vcc_lo, s9, v42, vcc_lo
	;; [unrolled: 17-line block ×4, first 2 shown]
	v_lshlrev_b64 v[57:58], 3, v[13:14]
	v_add_co_u32 v55, vcc_lo, s10, v55
	v_add_co_ci_u32_e32 v56, vcc_lo, s11, v56, vcc_lo
	v_subrev_nc_u32_e32 v13, 22, v12
	s_delay_alu instid0(VALU_DEP_4)
	v_add_co_u32 v57, vcc_lo, s8, v57
	v_add_co_ci_u32_e32 v58, vcc_lo, s9, v58, vcc_lo
	global_load_b64 v[53:54], v[53:54], off
	global_load_b64 v[55:56], v[55:56], off
	global_load_b64 v[57:58], v[57:58], off
	v_lshlrev_b64 v[59:60], 3, v[13:14]
	v_add_nc_u32_e32 v13, 7, v22
	s_delay_alu instid0(VALU_DEP_1) | instskip(SKIP_1) | instid1(VALU_DEP_4)
	v_lshlrev_b64 v[61:62], 3, v[13:14]
	v_add_nc_u32_e32 v13, -7, v12
	v_add_co_u32 v59, vcc_lo, s8, v59
	v_add_co_ci_u32_e32 v60, vcc_lo, s9, v60, vcc_lo
	s_delay_alu instid0(VALU_DEP_3) | instskip(SKIP_3) | instid1(VALU_DEP_4)
	v_lshlrev_b64 v[63:64], 3, v[13:14]
	v_add_co_u32 v61, vcc_lo, s10, v61
	v_add_co_ci_u32_e32 v62, vcc_lo, s11, v62, vcc_lo
	v_subrev_nc_u32_e32 v13, 21, v12
	v_add_co_u32 v63, vcc_lo, s8, v63
	v_add_co_ci_u32_e32 v64, vcc_lo, s9, v64, vcc_lo
	global_load_b64 v[59:60], v[59:60], off
	global_load_b64 v[61:62], v[61:62], off
	;; [unrolled: 1-line block ×3, first 2 shown]
	v_lshlrev_b64 v[65:66], 3, v[13:14]
	v_add_nc_u32_e32 v13, 8, v22
	s_delay_alu instid0(VALU_DEP_1) | instskip(SKIP_1) | instid1(VALU_DEP_4)
	v_lshlrev_b64 v[67:68], 3, v[13:14]
	v_add_nc_u32_e32 v13, -6, v12
	v_add_co_u32 v65, vcc_lo, s8, v65
	v_add_co_ci_u32_e32 v66, vcc_lo, s9, v66, vcc_lo
	s_delay_alu instid0(VALU_DEP_3) | instskip(SKIP_3) | instid1(VALU_DEP_4)
	v_lshlrev_b64 v[69:70], 3, v[13:14]
	v_add_co_u32 v67, vcc_lo, s10, v67
	v_add_co_ci_u32_e32 v68, vcc_lo, s11, v68, vcc_lo
	v_subrev_nc_u32_e32 v13, 20, v12
	v_add_co_u32 v69, vcc_lo, s8, v69
	v_add_co_ci_u32_e32 v70, vcc_lo, s9, v70, vcc_lo
	global_load_b64 v[65:66], v[65:66], off
	global_load_b64 v[67:68], v[67:68], off
	;; [unrolled: 1-line block ×3, first 2 shown]
	v_lshlrev_b64 v[71:72], 3, v[13:14]
	v_add_nc_u32_e32 v13, 9, v22
	s_waitcnt vmcnt(23)
	v_fma_f64 v[7:8], v[18:19], v[23:24], v[8:9]
	v_fma_f64 v[9:10], v[15:16], v[23:24], v[10:11]
	s_delay_alu instid0(VALU_DEP_3) | instskip(SKIP_3) | instid1(VALU_DEP_3)
	v_lshlrev_b64 v[15:16], 3, v[13:14]
	v_add_nc_u32_e32 v13, -5, v12
	v_add_co_u32 v18, vcc_lo, s8, v71
	v_add_co_ci_u32_e32 v19, vcc_lo, s9, v72, vcc_lo
	v_lshlrev_b64 v[23:24], 3, v[13:14]
	v_add_co_u32 v15, vcc_lo, s10, v15
	v_add_co_ci_u32_e32 v16, vcc_lo, s11, v16, vcc_lo
	v_subrev_nc_u32_e32 v13, 19, v12
	s_delay_alu instid0(VALU_DEP_4)
	v_add_co_u32 v23, vcc_lo, s8, v23
	v_add_co_ci_u32_e32 v24, vcc_lo, s9, v24, vcc_lo
	global_load_b64 v[18:19], v[18:19], off
	global_load_b64 v[15:16], v[15:16], off
	;; [unrolled: 1-line block ×3, first 2 shown]
	v_lshlrev_b64 v[71:72], 3, v[13:14]
	v_add_nc_u32_e32 v13, 10, v22
	s_waitcnt vmcnt(25)
	v_fma_f64 v[7:8], v[20:21], v[25:26], v[7:8]
	s_waitcnt vmcnt(24)
	v_fma_f64 v[9:10], v[27:28], v[25:26], v[9:10]
	v_lshlrev_b64 v[20:21], 3, v[13:14]
	v_add_nc_u32_e32 v13, -4, v12
	v_add_co_u32 v25, vcc_lo, s8, v71
	v_add_co_ci_u32_e32 v26, vcc_lo, s9, v72, vcc_lo
	s_delay_alu instid0(VALU_DEP_3) | instskip(SKIP_3) | instid1(VALU_DEP_4)
	v_lshlrev_b64 v[27:28], 3, v[13:14]
	v_add_co_u32 v20, vcc_lo, s10, v20
	v_add_co_ci_u32_e32 v21, vcc_lo, s11, v21, vcc_lo
	v_subrev_nc_u32_e32 v13, 18, v12
	v_add_co_u32 v27, vcc_lo, s8, v27
	v_add_co_ci_u32_e32 v28, vcc_lo, s9, v28, vcc_lo
	global_load_b64 v[25:26], v[25:26], off
	global_load_b64 v[20:21], v[20:21], off
	global_load_b64 v[27:28], v[27:28], off
	v_lshlrev_b64 v[71:72], 3, v[13:14]
	v_add_nc_u32_e32 v13, 11, v22
	s_waitcnt vmcnt(25)
	v_fma_f64 v[7:8], v[29:30], v[31:32], v[7:8]
	s_waitcnt vmcnt(24)
	v_fma_f64 v[9:10], v[33:34], v[31:32], v[9:10]
	v_lshlrev_b64 v[29:30], 3, v[13:14]
	v_add_nc_u32_e32 v13, -3, v12
	v_add_co_u32 v31, vcc_lo, s8, v71
	v_add_co_ci_u32_e32 v32, vcc_lo, s9, v72, vcc_lo
	s_delay_alu instid0(VALU_DEP_3) | instskip(SKIP_3) | instid1(VALU_DEP_4)
	v_lshlrev_b64 v[33:34], 3, v[13:14]
	v_add_co_u32 v29, vcc_lo, s10, v29
	v_add_co_ci_u32_e32 v30, vcc_lo, s11, v30, vcc_lo
	v_subrev_nc_u32_e32 v13, 17, v12
	v_add_co_u32 v33, vcc_lo, s8, v33
	v_add_co_ci_u32_e32 v34, vcc_lo, s9, v34, vcc_lo
	global_load_b64 v[31:32], v[31:32], off
	global_load_b64 v[29:30], v[29:30], off
	;; [unrolled: 1-line block ×3, first 2 shown]
	v_lshlrev_b64 v[71:72], 3, v[13:14]
	v_add_nc_u32_e32 v13, 12, v22
	s_waitcnt vmcnt(25)
	v_fma_f64 v[7:8], v[35:36], v[37:38], v[7:8]
	s_waitcnt vmcnt(24)
	v_fma_f64 v[9:10], v[39:40], v[37:38], v[9:10]
	v_lshlrev_b64 v[35:36], 3, v[13:14]
	v_add_nc_u32_e32 v13, -2, v12
	v_add_co_u32 v37, vcc_lo, s8, v71
	v_add_co_ci_u32_e32 v38, vcc_lo, s9, v72, vcc_lo
	s_delay_alu instid0(VALU_DEP_3) | instskip(SKIP_3) | instid1(VALU_DEP_4)
	v_lshlrev_b64 v[39:40], 3, v[13:14]
	v_add_co_u32 v35, vcc_lo, s10, v35
	v_add_co_ci_u32_e32 v36, vcc_lo, s11, v36, vcc_lo
	v_add_nc_u32_e32 v13, -16, v12
	v_add_co_u32 v39, vcc_lo, s8, v39
	v_add_co_ci_u32_e32 v40, vcc_lo, s9, v40, vcc_lo
	global_load_b64 v[37:38], v[37:38], off
	global_load_b64 v[35:36], v[35:36], off
	;; [unrolled: 1-line block ×3, first 2 shown]
	v_lshlrev_b64 v[71:72], 3, v[13:14]
	v_add_nc_u32_e32 v13, 13, v22
	s_waitcnt vmcnt(25)
	v_fma_f64 v[7:8], v[41:42], v[43:44], v[7:8]
	s_waitcnt vmcnt(24)
	v_fma_f64 v[9:10], v[45:46], v[43:44], v[9:10]
	v_lshlrev_b64 v[41:42], 3, v[13:14]
	v_add_nc_u32_e32 v13, -1, v12
	v_add_co_u32 v43, vcc_lo, s8, v71
	v_add_co_ci_u32_e32 v44, vcc_lo, s9, v72, vcc_lo
	s_delay_alu instid0(VALU_DEP_3) | instskip(SKIP_3) | instid1(VALU_DEP_4)
	v_lshlrev_b64 v[45:46], 3, v[13:14]
	v_add_co_u32 v41, vcc_lo, s10, v41
	v_add_co_ci_u32_e32 v42, vcc_lo, s11, v42, vcc_lo
	v_mov_b32_e32 v13, v14
	v_add_co_u32 v45, vcc_lo, s8, v45
	v_add_co_ci_u32_e32 v46, vcc_lo, s9, v46, vcc_lo
	global_load_b64 v[43:44], v[43:44], off
	global_load_b64 v[41:42], v[41:42], off
	;; [unrolled: 1-line block ×3, first 2 shown]
	v_lshlrev_b64 v[71:72], 3, v[12:13]
	v_add_nc_u32_e32 v13, -15, v12
	v_add_nc_u32_e32 v12, 0xf0, v12
	s_delay_alu instid0(VALU_DEP_3) | instskip(NEXT) | instid1(VALU_DEP_4)
	v_add_co_u32 v71, vcc_lo, s8, v71
	v_add_co_ci_u32_e32 v72, vcc_lo, s9, v72, vcc_lo
	s_waitcnt vmcnt(25)
	v_fma_f64 v[7:8], v[47:48], v[49:50], v[7:8]
	s_waitcnt vmcnt(24)
	v_fma_f64 v[9:10], v[51:52], v[49:50], v[9:10]
	v_lshlrev_b64 v[47:48], 3, v[13:14]
	v_add_nc_u32_e32 v13, 14, v22
	s_delay_alu instid0(VALU_DEP_1) | instskip(NEXT) | instid1(VALU_DEP_3)
	v_lshlrev_b64 v[49:50], 3, v[13:14]
	v_add_co_u32 v47, vcc_lo, s8, v47
	s_delay_alu instid0(VALU_DEP_4) | instskip(NEXT) | instid1(VALU_DEP_3)
	v_add_co_ci_u32_e32 v48, vcc_lo, s9, v48, vcc_lo
	v_add_co_u32 v49, vcc_lo, s10, v49
	s_delay_alu instid0(VALU_DEP_4)
	v_add_co_ci_u32_e32 v50, vcc_lo, s11, v50, vcc_lo
	s_clause 0x1
	global_load_b64 v[51:52], v[71:72], off
	global_load_b64 v[47:48], v[47:48], off
	;; [unrolled: 1-line block ×3, first 2 shown]
	v_cmp_ge_i32_e32 vcc_lo, v6, v17
	s_or_b32 s2, vcc_lo, s2
	s_waitcnt vmcnt(25)
	v_fma_f64 v[7:8], v[53:54], v[55:56], v[7:8]
	s_waitcnt vmcnt(24)
	v_fma_f64 v[9:10], v[57:58], v[55:56], v[9:10]
	s_waitcnt vmcnt(22)
	s_delay_alu instid0(VALU_DEP_2) | instskip(SKIP_1) | instid1(VALU_DEP_2)
	v_fma_f64 v[7:8], v[59:60], v[61:62], v[7:8]
	s_waitcnt vmcnt(21)
	v_fma_f64 v[9:10], v[63:64], v[61:62], v[9:10]
	s_waitcnt vmcnt(19)
	s_delay_alu instid0(VALU_DEP_2) | instskip(SKIP_1) | instid1(VALU_DEP_2)
	;; [unrolled: 5-line block ×7, first 2 shown]
	v_fma_f64 v[7:8], v[43:44], v[41:42], v[7:8]
	s_waitcnt vmcnt(3)
	v_fma_f64 v[10:11], v[45:46], v[41:42], v[9:10]
	s_waitcnt vmcnt(0)
	s_delay_alu instid0(VALU_DEP_2) | instskip(NEXT) | instid1(VALU_DEP_2)
	v_fma_f64 v[8:9], v[47:48], v[49:50], v[7:8]
	v_fma_f64 v[10:11], v[51:52], v[49:50], v[10:11]
	s_and_not1_b32 exec_lo, exec_lo, s2
	s_cbranch_execnz .LBB142_15
; %bb.16:
	s_or_b32 exec_lo, exec_lo, s2
.LBB142_17:
	s_delay_alu instid0(SALU_CYCLE_1)
	s_or_b32 exec_lo, exec_lo, s3
.LBB142_18:
	v_mbcnt_lo_u32_b32 v14, -1, 0
	s_delay_alu instid0(VALU_DEP_1) | instskip(NEXT) | instid1(VALU_DEP_1)
	v_xor_b32_e32 v6, 4, v14
	v_cmp_gt_i32_e32 vcc_lo, 32, v6
	v_cndmask_b32_e32 v6, v14, v6, vcc_lo
	s_delay_alu instid0(VALU_DEP_1)
	v_lshlrev_b32_e32 v13, 2, v6
	ds_bpermute_b32 v6, v13, v8
	ds_bpermute_b32 v7, v13, v9
	;; [unrolled: 1-line block ×4, first 2 shown]
	s_waitcnt lgkmcnt(2)
	v_add_f64 v[6:7], v[8:9], v[6:7]
	s_waitcnt lgkmcnt(0)
	v_add_f64 v[8:9], v[10:11], v[12:13]
	v_xor_b32_e32 v10, 2, v14
	s_delay_alu instid0(VALU_DEP_1) | instskip(SKIP_1) | instid1(VALU_DEP_1)
	v_cmp_gt_i32_e32 vcc_lo, 32, v10
	v_cndmask_b32_e32 v10, v14, v10, vcc_lo
	v_lshlrev_b32_e32 v13, 2, v10
	ds_bpermute_b32 v10, v13, v6
	ds_bpermute_b32 v11, v13, v7
	;; [unrolled: 1-line block ×4, first 2 shown]
	s_waitcnt lgkmcnt(2)
	v_add_f64 v[6:7], v[6:7], v[10:11]
	s_waitcnt lgkmcnt(0)
	v_add_f64 v[10:11], v[8:9], v[12:13]
	v_xor_b32_e32 v8, 1, v14
	s_delay_alu instid0(VALU_DEP_1) | instskip(SKIP_2) | instid1(VALU_DEP_2)
	v_cmp_gt_i32_e32 vcc_lo, 32, v8
	v_cndmask_b32_e32 v8, v14, v8, vcc_lo
	v_cmp_eq_u32_e32 vcc_lo, 7, v0
	v_lshlrev_b32_e32 v13, 2, v8
	ds_bpermute_b32 v8, v13, v6
	ds_bpermute_b32 v9, v13, v7
	;; [unrolled: 1-line block ×4, first 2 shown]
	s_and_b32 exec_lo, exec_lo, vcc_lo
	s_cbranch_execz .LBB142_23
; %bb.19:
	s_waitcnt lgkmcnt(2)
	v_add_f64 v[8:9], v[6:7], v[8:9]
	s_waitcnt lgkmcnt(0)
	v_add_f64 v[6:7], v[10:11], v[12:13]
	s_load_b64 s[0:1], s[0:1], 0x38
	s_mov_b32 s2, exec_lo
	v_cmpx_eq_f64_e32 0, v[3:4]
	s_xor_b32 s2, exec_lo, s2
	s_cbranch_execz .LBB142_21
; %bb.20:
	s_delay_alu instid0(VALU_DEP_3) | instskip(NEXT) | instid1(VALU_DEP_3)
	v_mul_f64 v[8:9], v[1:2], v[8:9]
	v_mul_f64 v[10:11], v[1:2], v[6:7]
	v_lshlrev_b32_e32 v0, 1, v5
                                        ; implicit-def: $vgpr5
                                        ; implicit-def: $vgpr3_vgpr4
                                        ; implicit-def: $vgpr6_vgpr7
	s_delay_alu instid0(VALU_DEP_1) | instskip(NEXT) | instid1(VALU_DEP_1)
	v_ashrrev_i32_e32 v1, 31, v0
	v_lshlrev_b64 v[0:1], 3, v[0:1]
	s_waitcnt lgkmcnt(0)
	s_delay_alu instid0(VALU_DEP_1) | instskip(NEXT) | instid1(VALU_DEP_2)
	v_add_co_u32 v0, vcc_lo, s0, v0
	v_add_co_ci_u32_e32 v1, vcc_lo, s1, v1, vcc_lo
	global_store_b128 v[0:1], v[8:11], off
                                        ; implicit-def: $vgpr1_vgpr2
                                        ; implicit-def: $vgpr8_vgpr9
.LBB142_21:
	s_and_not1_saveexec_b32 s2, s2
	s_cbranch_execz .LBB142_23
; %bb.22:
	v_lshlrev_b32_e32 v10, 1, v5
	s_delay_alu instid0(VALU_DEP_4) | instskip(NEXT) | instid1(VALU_DEP_4)
	v_mul_f64 v[8:9], v[1:2], v[8:9]
	v_mul_f64 v[5:6], v[1:2], v[6:7]
	s_delay_alu instid0(VALU_DEP_3) | instskip(NEXT) | instid1(VALU_DEP_1)
	v_ashrrev_i32_e32 v11, 31, v10
	v_lshlrev_b64 v[10:11], 3, v[10:11]
	s_waitcnt lgkmcnt(0)
	s_delay_alu instid0(VALU_DEP_1) | instskip(NEXT) | instid1(VALU_DEP_2)
	v_add_co_u32 v14, vcc_lo, s0, v10
	v_add_co_ci_u32_e32 v15, vcc_lo, s1, v11, vcc_lo
	global_load_b128 v[10:13], v[14:15], off
	s_waitcnt vmcnt(0)
	v_fma_f64 v[0:1], v[3:4], v[10:11], v[8:9]
	v_fma_f64 v[2:3], v[3:4], v[12:13], v[5:6]
	global_store_b128 v[14:15], v[0:3], off
.LBB142_23:
	s_nop 0
	s_sendmsg sendmsg(MSG_DEALLOC_VGPRS)
	s_endpgm
	.section	.rodata,"a",@progbits
	.p2align	6, 0x0
	.amdhsa_kernel _ZN9rocsparseL19gebsrmvn_2xn_kernelILj128ELj15ELj8EdEEvi20rocsparse_direction_NS_24const_host_device_scalarIT2_EEPKiS6_PKS3_S8_S4_PS3_21rocsparse_index_base_b
		.amdhsa_group_segment_fixed_size 0
		.amdhsa_private_segment_fixed_size 0
		.amdhsa_kernarg_size 72
		.amdhsa_user_sgpr_count 15
		.amdhsa_user_sgpr_dispatch_ptr 0
		.amdhsa_user_sgpr_queue_ptr 0
		.amdhsa_user_sgpr_kernarg_segment_ptr 1
		.amdhsa_user_sgpr_dispatch_id 0
		.amdhsa_user_sgpr_private_segment_size 0
		.amdhsa_wavefront_size32 1
		.amdhsa_uses_dynamic_stack 0
		.amdhsa_enable_private_segment 0
		.amdhsa_system_sgpr_workgroup_id_x 1
		.amdhsa_system_sgpr_workgroup_id_y 0
		.amdhsa_system_sgpr_workgroup_id_z 0
		.amdhsa_system_sgpr_workgroup_info 0
		.amdhsa_system_vgpr_workitem_id 0
		.amdhsa_next_free_vgpr 73
		.amdhsa_next_free_sgpr 16
		.amdhsa_reserve_vcc 1
		.amdhsa_float_round_mode_32 0
		.amdhsa_float_round_mode_16_64 0
		.amdhsa_float_denorm_mode_32 3
		.amdhsa_float_denorm_mode_16_64 3
		.amdhsa_dx10_clamp 1
		.amdhsa_ieee_mode 1
		.amdhsa_fp16_overflow 0
		.amdhsa_workgroup_processor_mode 1
		.amdhsa_memory_ordered 1
		.amdhsa_forward_progress 0
		.amdhsa_shared_vgpr_count 0
		.amdhsa_exception_fp_ieee_invalid_op 0
		.amdhsa_exception_fp_denorm_src 0
		.amdhsa_exception_fp_ieee_div_zero 0
		.amdhsa_exception_fp_ieee_overflow 0
		.amdhsa_exception_fp_ieee_underflow 0
		.amdhsa_exception_fp_ieee_inexact 0
		.amdhsa_exception_int_div_zero 0
	.end_amdhsa_kernel
	.section	.text._ZN9rocsparseL19gebsrmvn_2xn_kernelILj128ELj15ELj8EdEEvi20rocsparse_direction_NS_24const_host_device_scalarIT2_EEPKiS6_PKS3_S8_S4_PS3_21rocsparse_index_base_b,"axG",@progbits,_ZN9rocsparseL19gebsrmvn_2xn_kernelILj128ELj15ELj8EdEEvi20rocsparse_direction_NS_24const_host_device_scalarIT2_EEPKiS6_PKS3_S8_S4_PS3_21rocsparse_index_base_b,comdat
.Lfunc_end142:
	.size	_ZN9rocsparseL19gebsrmvn_2xn_kernelILj128ELj15ELj8EdEEvi20rocsparse_direction_NS_24const_host_device_scalarIT2_EEPKiS6_PKS3_S8_S4_PS3_21rocsparse_index_base_b, .Lfunc_end142-_ZN9rocsparseL19gebsrmvn_2xn_kernelILj128ELj15ELj8EdEEvi20rocsparse_direction_NS_24const_host_device_scalarIT2_EEPKiS6_PKS3_S8_S4_PS3_21rocsparse_index_base_b
                                        ; -- End function
	.section	.AMDGPU.csdata,"",@progbits
; Kernel info:
; codeLenInByte = 4416
; NumSgprs: 18
; NumVgprs: 73
; ScratchSize: 0
; MemoryBound: 0
; FloatMode: 240
; IeeeMode: 1
; LDSByteSize: 0 bytes/workgroup (compile time only)
; SGPRBlocks: 2
; VGPRBlocks: 9
; NumSGPRsForWavesPerEU: 18
; NumVGPRsForWavesPerEU: 73
; Occupancy: 16
; WaveLimiterHint : 1
; COMPUTE_PGM_RSRC2:SCRATCH_EN: 0
; COMPUTE_PGM_RSRC2:USER_SGPR: 15
; COMPUTE_PGM_RSRC2:TRAP_HANDLER: 0
; COMPUTE_PGM_RSRC2:TGID_X_EN: 1
; COMPUTE_PGM_RSRC2:TGID_Y_EN: 0
; COMPUTE_PGM_RSRC2:TGID_Z_EN: 0
; COMPUTE_PGM_RSRC2:TIDIG_COMP_CNT: 0
	.section	.text._ZN9rocsparseL19gebsrmvn_2xn_kernelILj128ELj15ELj16EdEEvi20rocsparse_direction_NS_24const_host_device_scalarIT2_EEPKiS6_PKS3_S8_S4_PS3_21rocsparse_index_base_b,"axG",@progbits,_ZN9rocsparseL19gebsrmvn_2xn_kernelILj128ELj15ELj16EdEEvi20rocsparse_direction_NS_24const_host_device_scalarIT2_EEPKiS6_PKS3_S8_S4_PS3_21rocsparse_index_base_b,comdat
	.globl	_ZN9rocsparseL19gebsrmvn_2xn_kernelILj128ELj15ELj16EdEEvi20rocsparse_direction_NS_24const_host_device_scalarIT2_EEPKiS6_PKS3_S8_S4_PS3_21rocsparse_index_base_b ; -- Begin function _ZN9rocsparseL19gebsrmvn_2xn_kernelILj128ELj15ELj16EdEEvi20rocsparse_direction_NS_24const_host_device_scalarIT2_EEPKiS6_PKS3_S8_S4_PS3_21rocsparse_index_base_b
	.p2align	8
	.type	_ZN9rocsparseL19gebsrmvn_2xn_kernelILj128ELj15ELj16EdEEvi20rocsparse_direction_NS_24const_host_device_scalarIT2_EEPKiS6_PKS3_S8_S4_PS3_21rocsparse_index_base_b,@function
_ZN9rocsparseL19gebsrmvn_2xn_kernelILj128ELj15ELj16EdEEvi20rocsparse_direction_NS_24const_host_device_scalarIT2_EEPKiS6_PKS3_S8_S4_PS3_21rocsparse_index_base_b: ; @_ZN9rocsparseL19gebsrmvn_2xn_kernelILj128ELj15ELj16EdEEvi20rocsparse_direction_NS_24const_host_device_scalarIT2_EEPKiS6_PKS3_S8_S4_PS3_21rocsparse_index_base_b
; %bb.0:
	s_clause 0x2
	s_load_b64 s[12:13], s[0:1], 0x40
	s_load_b64 s[4:5], s[0:1], 0x8
	;; [unrolled: 1-line block ×3, first 2 shown]
	s_waitcnt lgkmcnt(0)
	s_bitcmp1_b32 s13, 0
	v_dual_mov_b32 v1, s4 :: v_dual_mov_b32 v2, s5
	s_cselect_b32 s6, -1, 0
	s_delay_alu instid0(SALU_CYCLE_1)
	s_and_b32 vcc_lo, exec_lo, s6
	s_xor_b32 s6, s6, -1
	s_cbranch_vccnz .LBB143_2
; %bb.1:
	v_dual_mov_b32 v1, s4 :: v_dual_mov_b32 v2, s5
	flat_load_b64 v[1:2], v[1:2]
.LBB143_2:
	v_dual_mov_b32 v4, s3 :: v_dual_mov_b32 v3, s2
	s_and_not1_b32 vcc_lo, exec_lo, s6
	s_cbranch_vccnz .LBB143_4
; %bb.3:
	v_dual_mov_b32 v4, s3 :: v_dual_mov_b32 v3, s2
	flat_load_b64 v[3:4], v[3:4]
.LBB143_4:
	s_waitcnt vmcnt(0) lgkmcnt(0)
	v_cmp_neq_f64_e32 vcc_lo, 0, v[1:2]
	v_cmp_neq_f64_e64 s2, 1.0, v[3:4]
	s_delay_alu instid0(VALU_DEP_1) | instskip(NEXT) | instid1(SALU_CYCLE_1)
	s_or_b32 s2, vcc_lo, s2
	s_and_saveexec_b32 s3, s2
	s_cbranch_execz .LBB143_23
; %bb.5:
	s_load_b64 s[2:3], s[0:1], 0x0
	v_lshrrev_b32_e32 v5, 4, v0
	s_delay_alu instid0(VALU_DEP_1) | instskip(SKIP_1) | instid1(VALU_DEP_1)
	v_lshl_or_b32 v5, s15, 3, v5
	s_waitcnt lgkmcnt(0)
	v_cmp_gt_i32_e32 vcc_lo, s2, v5
	s_and_b32 exec_lo, exec_lo, vcc_lo
	s_cbranch_execz .LBB143_23
; %bb.6:
	s_load_b256 s[4:11], s[0:1], 0x10
	v_ashrrev_i32_e32 v6, 31, v5
	v_and_b32_e32 v0, 15, v0
	s_cmp_lg_u32 s3, 0
	s_delay_alu instid0(VALU_DEP_2) | instskip(SKIP_1) | instid1(VALU_DEP_1)
	v_lshlrev_b64 v[6:7], 2, v[5:6]
	s_waitcnt lgkmcnt(0)
	v_add_co_u32 v6, vcc_lo, s4, v6
	s_delay_alu instid0(VALU_DEP_2) | instskip(SKIP_4) | instid1(VALU_DEP_2)
	v_add_co_ci_u32_e32 v7, vcc_lo, s5, v7, vcc_lo
	global_load_b64 v[6:7], v[6:7], off
	s_waitcnt vmcnt(0)
	v_subrev_nc_u32_e32 v6, s12, v6
	v_subrev_nc_u32_e32 v17, s12, v7
	v_add_nc_u32_e32 v6, v6, v0
	s_delay_alu instid0(VALU_DEP_1)
	v_cmp_lt_i32_e64 s2, v6, v17
	s_cbranch_scc0 .LBB143_12
; %bb.7:
	v_mov_b32_e32 v8, 0
	v_mov_b32_e32 v9, 0
	s_delay_alu instid0(VALU_DEP_1)
	v_dual_mov_b32 v11, v9 :: v_dual_mov_b32 v10, v8
	s_and_saveexec_b32 s3, s2
	s_cbranch_execz .LBB143_11
; %bb.8:
	v_dual_mov_b32 v8, 0 :: v_dual_mov_b32 v15, v6
	v_dual_mov_b32 v9, 0 :: v_dual_mov_b32 v14, 0
	v_mad_u64_u32 v[12:13], null, v6, 30, 28
	s_mov_b32 s4, 0
	s_delay_alu instid0(VALU_DEP_2)
	v_dual_mov_b32 v11, v9 :: v_dual_mov_b32 v10, v8
.LBB143_9:                              ; =>This Inner Loop Header: Depth=1
	v_ashrrev_i32_e32 v16, 31, v15
	s_delay_alu instid0(VALU_DEP_3) | instskip(SKIP_1) | instid1(VALU_DEP_3)
	v_subrev_nc_u32_e32 v13, 28, v12
	v_mov_b32_e32 v55, v14
	v_lshlrev_b64 v[18:19], 2, v[15:16]
	v_add_nc_u32_e32 v15, 16, v15
	s_delay_alu instid0(VALU_DEP_2) | instskip(NEXT) | instid1(VALU_DEP_3)
	v_add_co_u32 v18, vcc_lo, s6, v18
	v_add_co_ci_u32_e32 v19, vcc_lo, s7, v19, vcc_lo
	global_load_b32 v7, v[18:19], off
	v_lshlrev_b64 v[18:19], 3, v[13:14]
	v_subrev_nc_u32_e32 v13, 26, v12
	s_delay_alu instid0(VALU_DEP_2) | instskip(NEXT) | instid1(VALU_DEP_3)
	v_add_co_u32 v18, vcc_lo, s8, v18
	v_add_co_ci_u32_e32 v19, vcc_lo, s9, v19, vcc_lo
	global_load_b128 v[18:21], v[18:19], off
	s_waitcnt vmcnt(1)
	v_subrev_nc_u32_e32 v7, s12, v7
	s_delay_alu instid0(VALU_DEP_1) | instskip(NEXT) | instid1(VALU_DEP_1)
	v_mul_lo_u32 v54, v7, 15
	v_lshlrev_b64 v[22:23], 3, v[54:55]
	s_delay_alu instid0(VALU_DEP_1) | instskip(NEXT) | instid1(VALU_DEP_2)
	v_add_co_u32 v22, vcc_lo, s10, v22
	v_add_co_ci_u32_e32 v23, vcc_lo, s11, v23, vcc_lo
	global_load_b64 v[55:56], v[22:23], off
	v_lshlrev_b64 v[22:23], 3, v[13:14]
	v_add_nc_u32_e32 v13, 1, v54
	s_delay_alu instid0(VALU_DEP_1) | instskip(NEXT) | instid1(VALU_DEP_3)
	v_lshlrev_b64 v[26:27], 3, v[13:14]
	v_add_co_u32 v22, vcc_lo, s8, v22
	s_delay_alu instid0(VALU_DEP_4) | instskip(SKIP_1) | instid1(VALU_DEP_4)
	v_add_co_ci_u32_e32 v23, vcc_lo, s9, v23, vcc_lo
	v_subrev_nc_u32_e32 v13, 24, v12
	v_add_co_u32 v26, vcc_lo, s10, v26
	v_add_co_ci_u32_e32 v27, vcc_lo, s11, v27, vcc_lo
	global_load_b128 v[22:25], v[22:23], off
	global_load_b64 v[57:58], v[26:27], off
	v_lshlrev_b64 v[26:27], 3, v[13:14]
	v_add_nc_u32_e32 v13, 2, v54
	s_delay_alu instid0(VALU_DEP_1) | instskip(NEXT) | instid1(VALU_DEP_3)
	v_lshlrev_b64 v[28:29], 3, v[13:14]
	v_add_co_u32 v26, vcc_lo, s8, v26
	s_delay_alu instid0(VALU_DEP_4) | instskip(SKIP_1) | instid1(VALU_DEP_4)
	v_add_co_ci_u32_e32 v27, vcc_lo, s9, v27, vcc_lo
	v_subrev_nc_u32_e32 v13, 22, v12
	v_add_co_u32 v30, vcc_lo, s10, v28
	v_add_co_ci_u32_e32 v31, vcc_lo, s11, v29, vcc_lo
	global_load_b128 v[26:29], v[26:27], off
	;; [unrolled: 12-line block ×4, first 2 shown]
	global_load_b64 v[63:64], v[38:39], off
	v_lshlrev_b64 v[38:39], 3, v[13:14]
	v_add_nc_u32_e32 v13, 5, v54
	s_delay_alu instid0(VALU_DEP_1) | instskip(NEXT) | instid1(VALU_DEP_3)
	v_lshlrev_b64 v[40:41], 3, v[13:14]
	v_add_co_u32 v38, vcc_lo, s8, v38
	s_delay_alu instid0(VALU_DEP_4) | instskip(SKIP_1) | instid1(VALU_DEP_4)
	v_add_co_ci_u32_e32 v39, vcc_lo, s9, v39, vcc_lo
	v_add_nc_u32_e32 v13, -16, v12
	v_add_co_u32 v42, vcc_lo, s10, v40
	v_add_co_ci_u32_e32 v43, vcc_lo, s11, v41, vcc_lo
	global_load_b128 v[38:41], v[38:39], off
	global_load_b64 v[65:66], v[42:43], off
	v_lshlrev_b64 v[42:43], 3, v[13:14]
	v_add_nc_u32_e32 v13, 6, v54
	s_delay_alu instid0(VALU_DEP_1) | instskip(NEXT) | instid1(VALU_DEP_3)
	v_lshlrev_b64 v[44:45], 3, v[13:14]
	v_add_co_u32 v42, vcc_lo, s8, v42
	s_delay_alu instid0(VALU_DEP_4) | instskip(SKIP_1) | instid1(VALU_DEP_4)
	v_add_co_ci_u32_e32 v43, vcc_lo, s9, v43, vcc_lo
	v_add_nc_u32_e32 v13, -14, v12
	v_add_co_u32 v46, vcc_lo, s10, v44
	v_add_co_ci_u32_e32 v47, vcc_lo, s11, v45, vcc_lo
	global_load_b128 v[42:45], v[42:43], off
	;; [unrolled: 12-line block ×4, first 2 shown]
	global_load_b64 v[71:72], v[71:72], off
	s_waitcnt vmcnt(16)
	v_fma_f64 v[18:19], v[18:19], v[55:56], v[8:9]
	v_fma_f64 v[20:21], v[20:21], v[55:56], v[10:11]
	v_lshlrev_b64 v[7:8], 3, v[13:14]
	v_add_nc_u32_e32 v13, 9, v54
	s_delay_alu instid0(VALU_DEP_1) | instskip(NEXT) | instid1(VALU_DEP_3)
	v_lshlrev_b64 v[9:10], 3, v[13:14]
	v_add_co_u32 v7, vcc_lo, s8, v7
	s_delay_alu instid0(VALU_DEP_4) | instskip(SKIP_1) | instid1(VALU_DEP_4)
	v_add_co_ci_u32_e32 v8, vcc_lo, s9, v8, vcc_lo
	v_add_nc_u32_e32 v13, -8, v12
	v_add_co_u32 v55, vcc_lo, s10, v9
	v_add_co_ci_u32_e32 v56, vcc_lo, s11, v10, vcc_lo
	global_load_b128 v[7:10], v[7:8], off
	global_load_b64 v[55:56], v[55:56], off
	s_waitcnt vmcnt(16)
	v_fma_f64 v[22:23], v[22:23], v[57:58], v[18:19]
	v_fma_f64 v[24:25], v[24:25], v[57:58], v[20:21]
	v_lshlrev_b64 v[18:19], 3, v[13:14]
	v_add_nc_u32_e32 v13, 10, v54
	s_delay_alu instid0(VALU_DEP_1) | instskip(NEXT) | instid1(VALU_DEP_3)
	v_lshlrev_b64 v[20:21], 3, v[13:14]
	v_add_co_u32 v18, vcc_lo, s8, v18
	s_delay_alu instid0(VALU_DEP_4) | instskip(SKIP_1) | instid1(VALU_DEP_4)
	v_add_co_ci_u32_e32 v19, vcc_lo, s9, v19, vcc_lo
	v_add_nc_u32_e32 v13, -6, v12
	v_add_co_u32 v57, vcc_lo, s10, v20
	v_add_co_ci_u32_e32 v58, vcc_lo, s11, v21, vcc_lo
	global_load_b128 v[18:21], v[18:19], off
	;; [unrolled: 15-line block ×4, first 2 shown]
	global_load_b64 v[61:62], v[61:62], off
	s_waitcnt vmcnt(16)
	v_fma_f64 v[34:35], v[34:35], v[63:64], v[30:31]
	v_fma_f64 v[36:37], v[36:37], v[63:64], v[32:33]
	v_lshlrev_b64 v[30:31], 3, v[13:14]
	v_add_nc_u32_e32 v13, 13, v54
	s_delay_alu instid0(VALU_DEP_1) | instskip(NEXT) | instid1(VALU_DEP_3)
	v_lshlrev_b64 v[32:33], 3, v[13:14]
	v_add_co_u32 v30, vcc_lo, s8, v30
	s_delay_alu instid0(VALU_DEP_4) | instskip(SKIP_1) | instid1(VALU_DEP_4)
	v_add_co_ci_u32_e32 v31, vcc_lo, s9, v31, vcc_lo
	v_mov_b32_e32 v13, v14
	v_add_co_u32 v63, vcc_lo, s10, v32
	v_add_co_ci_u32_e32 v64, vcc_lo, s11, v33, vcc_lo
	global_load_b128 v[30:33], v[30:31], off
	global_load_b64 v[63:64], v[63:64], off
	s_waitcnt vmcnt(16)
	v_fma_f64 v[38:39], v[38:39], v[65:66], v[34:35]
	v_fma_f64 v[40:41], v[40:41], v[65:66], v[36:37]
	v_lshlrev_b64 v[34:35], 3, v[12:13]
	v_add_nc_u32_e32 v12, 0x1e0, v12
	v_add_nc_u32_e32 v13, 14, v54
	s_delay_alu instid0(VALU_DEP_3) | instskip(NEXT) | instid1(VALU_DEP_2)
	v_add_co_u32 v34, vcc_lo, s8, v34
	v_lshlrev_b64 v[36:37], 3, v[13:14]
	v_add_co_ci_u32_e32 v35, vcc_lo, s9, v35, vcc_lo
	s_delay_alu instid0(VALU_DEP_2) | instskip(NEXT) | instid1(VALU_DEP_3)
	v_add_co_u32 v65, vcc_lo, s10, v36
	v_add_co_ci_u32_e32 v66, vcc_lo, s11, v37, vcc_lo
	global_load_b128 v[34:37], v[34:35], off
	global_load_b64 v[65:66], v[65:66], off
	v_cmp_ge_i32_e32 vcc_lo, v15, v17
	s_or_b32 s4, vcc_lo, s4
	s_waitcnt vmcnt(16)
	v_fma_f64 v[38:39], v[42:43], v[67:68], v[38:39]
	v_fma_f64 v[40:41], v[44:45], v[67:68], v[40:41]
	s_waitcnt vmcnt(14)
	s_delay_alu instid0(VALU_DEP_2) | instskip(NEXT) | instid1(VALU_DEP_2)
	v_fma_f64 v[38:39], v[46:47], v[69:70], v[38:39]
	v_fma_f64 v[40:41], v[48:49], v[69:70], v[40:41]
	s_waitcnt vmcnt(12)
	s_delay_alu instid0(VALU_DEP_2) | instskip(NEXT) | instid1(VALU_DEP_2)
	;; [unrolled: 4-line block ×8, first 2 shown]
	v_fma_f64 v[8:9], v[34:35], v[65:66], v[7:8]
	v_fma_f64 v[10:11], v[36:37], v[65:66], v[10:11]
	s_and_not1_b32 exec_lo, exec_lo, s4
	s_cbranch_execnz .LBB143_9
; %bb.10:
	s_or_b32 exec_lo, exec_lo, s4
.LBB143_11:
	s_delay_alu instid0(SALU_CYCLE_1)
	s_or_b32 exec_lo, exec_lo, s3
	s_cbranch_execz .LBB143_13
	s_branch .LBB143_18
.LBB143_12:
                                        ; implicit-def: $vgpr8_vgpr9
                                        ; implicit-def: $vgpr10_vgpr11
.LBB143_13:
	v_mov_b32_e32 v8, 0
	v_mov_b32_e32 v9, 0
	s_delay_alu instid0(VALU_DEP_1)
	v_dual_mov_b32 v11, v9 :: v_dual_mov_b32 v10, v8
	s_and_saveexec_b32 s3, s2
	s_cbranch_execz .LBB143_17
; %bb.14:
	v_mov_b32_e32 v8, 0
	v_dual_mov_b32 v9, 0 :: v_dual_mov_b32 v14, 0
	v_mad_u64_u32 v[12:13], null, v6, 30, 29
	s_mov_b32 s2, 0
	s_delay_alu instid0(VALU_DEP_2)
	v_dual_mov_b32 v11, v9 :: v_dual_mov_b32 v10, v8
.LBB143_15:                             ; =>This Inner Loop Header: Depth=1
	v_ashrrev_i32_e32 v7, 31, v6
	s_delay_alu instid0(VALU_DEP_3) | instskip(SKIP_1) | instid1(VALU_DEP_3)
	v_subrev_nc_u32_e32 v13, 29, v12
	v_mov_b32_e32 v23, v14
	v_lshlrev_b64 v[15:16], 2, v[6:7]
	v_add_nc_u32_e32 v6, 16, v6
	s_delay_alu instid0(VALU_DEP_4) | instskip(NEXT) | instid1(VALU_DEP_3)
	v_lshlrev_b64 v[18:19], 3, v[13:14]
	v_add_co_u32 v15, vcc_lo, s6, v15
	s_delay_alu instid0(VALU_DEP_4) | instskip(NEXT) | instid1(VALU_DEP_3)
	v_add_co_ci_u32_e32 v16, vcc_lo, s7, v16, vcc_lo
	v_add_co_u32 v18, vcc_lo, s8, v18
	s_delay_alu instid0(VALU_DEP_4) | instskip(SKIP_2) | instid1(VALU_DEP_1)
	v_add_co_ci_u32_e32 v19, vcc_lo, s9, v19, vcc_lo
	global_load_b32 v7, v[15:16], off
	v_dual_mov_b32 v16, v14 :: v_dual_add_nc_u32 v15, -14, v12
	v_lshlrev_b64 v[15:16], 3, v[15:16]
	s_delay_alu instid0(VALU_DEP_1) | instskip(NEXT) | instid1(VALU_DEP_2)
	v_add_co_u32 v15, vcc_lo, s8, v15
	v_add_co_ci_u32_e32 v16, vcc_lo, s9, v16, vcc_lo
	s_clause 0x1
	global_load_b128 v[18:21], v[18:19], off
	global_load_b64 v[15:16], v[15:16], off
	s_waitcnt vmcnt(2)
	v_subrev_nc_u32_e32 v7, s12, v7
	s_delay_alu instid0(VALU_DEP_1) | instskip(NEXT) | instid1(VALU_DEP_1)
	v_mul_lo_u32 v22, v7, 15
	v_lshlrev_b64 v[23:24], 3, v[22:23]
	v_add_nc_u32_e32 v13, 1, v22
	s_delay_alu instid0(VALU_DEP_1) | instskip(NEXT) | instid1(VALU_DEP_3)
	v_lshlrev_b64 v[25:26], 3, v[13:14]
	v_add_co_u32 v23, vcc_lo, s10, v23
	s_delay_alu instid0(VALU_DEP_4) | instskip(SKIP_1) | instid1(VALU_DEP_4)
	v_add_co_ci_u32_e32 v24, vcc_lo, s11, v24, vcc_lo
	v_add_nc_u32_e32 v13, -13, v12
	v_add_co_u32 v25, vcc_lo, s10, v25
	global_load_b64 v[23:24], v[23:24], off
	v_add_co_ci_u32_e32 v26, vcc_lo, s11, v26, vcc_lo
	v_lshlrev_b64 v[27:28], 3, v[13:14]
	v_subrev_nc_u32_e32 v13, 27, v12
	s_delay_alu instid0(VALU_DEP_2) | instskip(NEXT) | instid1(VALU_DEP_3)
	v_add_co_u32 v27, vcc_lo, s8, v27
	v_add_co_ci_u32_e32 v28, vcc_lo, s9, v28, vcc_lo
	global_load_b64 v[25:26], v[25:26], off
	global_load_b64 v[27:28], v[27:28], off
	v_lshlrev_b64 v[29:30], 3, v[13:14]
	v_add_nc_u32_e32 v13, 2, v22
	s_delay_alu instid0(VALU_DEP_1) | instskip(SKIP_1) | instid1(VALU_DEP_4)
	v_lshlrev_b64 v[31:32], 3, v[13:14]
	v_add_nc_u32_e32 v13, -12, v12
	v_add_co_u32 v29, vcc_lo, s8, v29
	v_add_co_ci_u32_e32 v30, vcc_lo, s9, v30, vcc_lo
	s_delay_alu instid0(VALU_DEP_3)
	v_lshlrev_b64 v[33:34], 3, v[13:14]
	v_add_co_u32 v31, vcc_lo, s10, v31
	v_add_co_ci_u32_e32 v32, vcc_lo, s11, v32, vcc_lo
	global_load_b64 v[29:30], v[29:30], off
	v_add_co_u32 v33, vcc_lo, s8, v33
	v_add_co_ci_u32_e32 v34, vcc_lo, s9, v34, vcc_lo
	global_load_b64 v[31:32], v[31:32], off
	global_load_b64 v[33:34], v[33:34], off
	v_subrev_nc_u32_e32 v13, 26, v12
	s_delay_alu instid0(VALU_DEP_1) | instskip(SKIP_1) | instid1(VALU_DEP_1)
	v_lshlrev_b64 v[35:36], 3, v[13:14]
	v_add_nc_u32_e32 v13, 3, v22
	v_lshlrev_b64 v[37:38], 3, v[13:14]
	v_add_nc_u32_e32 v13, -11, v12
	s_delay_alu instid0(VALU_DEP_4) | instskip(SKIP_1) | instid1(VALU_DEP_3)
	v_add_co_u32 v35, vcc_lo, s8, v35
	v_add_co_ci_u32_e32 v36, vcc_lo, s9, v36, vcc_lo
	v_lshlrev_b64 v[39:40], 3, v[13:14]
	v_add_co_u32 v37, vcc_lo, s10, v37
	v_add_co_ci_u32_e32 v38, vcc_lo, s11, v38, vcc_lo
	global_load_b64 v[35:36], v[35:36], off
	v_add_co_u32 v39, vcc_lo, s8, v39
	v_add_co_ci_u32_e32 v40, vcc_lo, s9, v40, vcc_lo
	global_load_b64 v[37:38], v[37:38], off
	global_load_b64 v[39:40], v[39:40], off
	v_subrev_nc_u32_e32 v13, 25, v12
	s_delay_alu instid0(VALU_DEP_1) | instskip(SKIP_1) | instid1(VALU_DEP_1)
	v_lshlrev_b64 v[41:42], 3, v[13:14]
	v_add_nc_u32_e32 v13, 4, v22
	v_lshlrev_b64 v[43:44], 3, v[13:14]
	v_add_nc_u32_e32 v13, -10, v12
	s_delay_alu instid0(VALU_DEP_4) | instskip(SKIP_1) | instid1(VALU_DEP_3)
	v_add_co_u32 v41, vcc_lo, s8, v41
	v_add_co_ci_u32_e32 v42, vcc_lo, s9, v42, vcc_lo
	;; [unrolled: 17-line block ×4, first 2 shown]
	v_lshlrev_b64 v[57:58], 3, v[13:14]
	v_add_co_u32 v55, vcc_lo, s10, v55
	v_add_co_ci_u32_e32 v56, vcc_lo, s11, v56, vcc_lo
	v_subrev_nc_u32_e32 v13, 22, v12
	s_delay_alu instid0(VALU_DEP_4)
	v_add_co_u32 v57, vcc_lo, s8, v57
	v_add_co_ci_u32_e32 v58, vcc_lo, s9, v58, vcc_lo
	global_load_b64 v[53:54], v[53:54], off
	global_load_b64 v[55:56], v[55:56], off
	;; [unrolled: 1-line block ×3, first 2 shown]
	v_lshlrev_b64 v[59:60], 3, v[13:14]
	v_add_nc_u32_e32 v13, 7, v22
	s_delay_alu instid0(VALU_DEP_1) | instskip(SKIP_1) | instid1(VALU_DEP_4)
	v_lshlrev_b64 v[61:62], 3, v[13:14]
	v_add_nc_u32_e32 v13, -7, v12
	v_add_co_u32 v59, vcc_lo, s8, v59
	v_add_co_ci_u32_e32 v60, vcc_lo, s9, v60, vcc_lo
	s_delay_alu instid0(VALU_DEP_3) | instskip(SKIP_3) | instid1(VALU_DEP_4)
	v_lshlrev_b64 v[63:64], 3, v[13:14]
	v_add_co_u32 v61, vcc_lo, s10, v61
	v_add_co_ci_u32_e32 v62, vcc_lo, s11, v62, vcc_lo
	v_subrev_nc_u32_e32 v13, 21, v12
	v_add_co_u32 v63, vcc_lo, s8, v63
	v_add_co_ci_u32_e32 v64, vcc_lo, s9, v64, vcc_lo
	global_load_b64 v[59:60], v[59:60], off
	global_load_b64 v[61:62], v[61:62], off
	;; [unrolled: 1-line block ×3, first 2 shown]
	v_lshlrev_b64 v[65:66], 3, v[13:14]
	v_add_nc_u32_e32 v13, 8, v22
	s_delay_alu instid0(VALU_DEP_1) | instskip(SKIP_1) | instid1(VALU_DEP_4)
	v_lshlrev_b64 v[67:68], 3, v[13:14]
	v_add_nc_u32_e32 v13, -6, v12
	v_add_co_u32 v65, vcc_lo, s8, v65
	v_add_co_ci_u32_e32 v66, vcc_lo, s9, v66, vcc_lo
	s_delay_alu instid0(VALU_DEP_3) | instskip(SKIP_3) | instid1(VALU_DEP_4)
	v_lshlrev_b64 v[69:70], 3, v[13:14]
	v_add_co_u32 v67, vcc_lo, s10, v67
	v_add_co_ci_u32_e32 v68, vcc_lo, s11, v68, vcc_lo
	v_subrev_nc_u32_e32 v13, 20, v12
	v_add_co_u32 v69, vcc_lo, s8, v69
	v_add_co_ci_u32_e32 v70, vcc_lo, s9, v70, vcc_lo
	global_load_b64 v[65:66], v[65:66], off
	global_load_b64 v[67:68], v[67:68], off
	;; [unrolled: 1-line block ×3, first 2 shown]
	v_lshlrev_b64 v[71:72], 3, v[13:14]
	v_add_nc_u32_e32 v13, 9, v22
	s_waitcnt vmcnt(23)
	v_fma_f64 v[7:8], v[18:19], v[23:24], v[8:9]
	v_fma_f64 v[9:10], v[15:16], v[23:24], v[10:11]
	s_delay_alu instid0(VALU_DEP_3) | instskip(SKIP_3) | instid1(VALU_DEP_3)
	v_lshlrev_b64 v[15:16], 3, v[13:14]
	v_add_nc_u32_e32 v13, -5, v12
	v_add_co_u32 v18, vcc_lo, s8, v71
	v_add_co_ci_u32_e32 v19, vcc_lo, s9, v72, vcc_lo
	v_lshlrev_b64 v[23:24], 3, v[13:14]
	v_add_co_u32 v15, vcc_lo, s10, v15
	v_add_co_ci_u32_e32 v16, vcc_lo, s11, v16, vcc_lo
	v_subrev_nc_u32_e32 v13, 19, v12
	s_delay_alu instid0(VALU_DEP_4)
	v_add_co_u32 v23, vcc_lo, s8, v23
	v_add_co_ci_u32_e32 v24, vcc_lo, s9, v24, vcc_lo
	global_load_b64 v[18:19], v[18:19], off
	global_load_b64 v[15:16], v[15:16], off
	;; [unrolled: 1-line block ×3, first 2 shown]
	v_lshlrev_b64 v[71:72], 3, v[13:14]
	v_add_nc_u32_e32 v13, 10, v22
	s_waitcnt vmcnt(25)
	v_fma_f64 v[7:8], v[20:21], v[25:26], v[7:8]
	s_waitcnt vmcnt(24)
	v_fma_f64 v[9:10], v[27:28], v[25:26], v[9:10]
	v_lshlrev_b64 v[20:21], 3, v[13:14]
	v_add_nc_u32_e32 v13, -4, v12
	v_add_co_u32 v25, vcc_lo, s8, v71
	v_add_co_ci_u32_e32 v26, vcc_lo, s9, v72, vcc_lo
	s_delay_alu instid0(VALU_DEP_3) | instskip(SKIP_3) | instid1(VALU_DEP_4)
	v_lshlrev_b64 v[27:28], 3, v[13:14]
	v_add_co_u32 v20, vcc_lo, s10, v20
	v_add_co_ci_u32_e32 v21, vcc_lo, s11, v21, vcc_lo
	v_subrev_nc_u32_e32 v13, 18, v12
	v_add_co_u32 v27, vcc_lo, s8, v27
	v_add_co_ci_u32_e32 v28, vcc_lo, s9, v28, vcc_lo
	global_load_b64 v[25:26], v[25:26], off
	global_load_b64 v[20:21], v[20:21], off
	;; [unrolled: 1-line block ×3, first 2 shown]
	v_lshlrev_b64 v[71:72], 3, v[13:14]
	v_add_nc_u32_e32 v13, 11, v22
	s_waitcnt vmcnt(25)
	v_fma_f64 v[7:8], v[29:30], v[31:32], v[7:8]
	s_waitcnt vmcnt(24)
	v_fma_f64 v[9:10], v[33:34], v[31:32], v[9:10]
	v_lshlrev_b64 v[29:30], 3, v[13:14]
	v_add_nc_u32_e32 v13, -3, v12
	v_add_co_u32 v31, vcc_lo, s8, v71
	v_add_co_ci_u32_e32 v32, vcc_lo, s9, v72, vcc_lo
	s_delay_alu instid0(VALU_DEP_3) | instskip(SKIP_3) | instid1(VALU_DEP_4)
	v_lshlrev_b64 v[33:34], 3, v[13:14]
	v_add_co_u32 v29, vcc_lo, s10, v29
	v_add_co_ci_u32_e32 v30, vcc_lo, s11, v30, vcc_lo
	v_subrev_nc_u32_e32 v13, 17, v12
	v_add_co_u32 v33, vcc_lo, s8, v33
	v_add_co_ci_u32_e32 v34, vcc_lo, s9, v34, vcc_lo
	global_load_b64 v[31:32], v[31:32], off
	global_load_b64 v[29:30], v[29:30], off
	;; [unrolled: 1-line block ×3, first 2 shown]
	v_lshlrev_b64 v[71:72], 3, v[13:14]
	v_add_nc_u32_e32 v13, 12, v22
	s_waitcnt vmcnt(25)
	v_fma_f64 v[7:8], v[35:36], v[37:38], v[7:8]
	s_waitcnt vmcnt(24)
	v_fma_f64 v[9:10], v[39:40], v[37:38], v[9:10]
	v_lshlrev_b64 v[35:36], 3, v[13:14]
	v_add_nc_u32_e32 v13, -2, v12
	v_add_co_u32 v37, vcc_lo, s8, v71
	v_add_co_ci_u32_e32 v38, vcc_lo, s9, v72, vcc_lo
	s_delay_alu instid0(VALU_DEP_3) | instskip(SKIP_3) | instid1(VALU_DEP_4)
	v_lshlrev_b64 v[39:40], 3, v[13:14]
	v_add_co_u32 v35, vcc_lo, s10, v35
	v_add_co_ci_u32_e32 v36, vcc_lo, s11, v36, vcc_lo
	v_add_nc_u32_e32 v13, -16, v12
	v_add_co_u32 v39, vcc_lo, s8, v39
	v_add_co_ci_u32_e32 v40, vcc_lo, s9, v40, vcc_lo
	global_load_b64 v[37:38], v[37:38], off
	global_load_b64 v[35:36], v[35:36], off
	;; [unrolled: 1-line block ×3, first 2 shown]
	v_lshlrev_b64 v[71:72], 3, v[13:14]
	v_add_nc_u32_e32 v13, 13, v22
	s_waitcnt vmcnt(25)
	v_fma_f64 v[7:8], v[41:42], v[43:44], v[7:8]
	s_waitcnt vmcnt(24)
	v_fma_f64 v[9:10], v[45:46], v[43:44], v[9:10]
	v_lshlrev_b64 v[41:42], 3, v[13:14]
	v_add_nc_u32_e32 v13, -1, v12
	v_add_co_u32 v43, vcc_lo, s8, v71
	v_add_co_ci_u32_e32 v44, vcc_lo, s9, v72, vcc_lo
	s_delay_alu instid0(VALU_DEP_3) | instskip(SKIP_3) | instid1(VALU_DEP_4)
	v_lshlrev_b64 v[45:46], 3, v[13:14]
	v_add_co_u32 v41, vcc_lo, s10, v41
	v_add_co_ci_u32_e32 v42, vcc_lo, s11, v42, vcc_lo
	v_mov_b32_e32 v13, v14
	v_add_co_u32 v45, vcc_lo, s8, v45
	v_add_co_ci_u32_e32 v46, vcc_lo, s9, v46, vcc_lo
	global_load_b64 v[43:44], v[43:44], off
	global_load_b64 v[41:42], v[41:42], off
	;; [unrolled: 1-line block ×3, first 2 shown]
	v_lshlrev_b64 v[71:72], 3, v[12:13]
	v_add_nc_u32_e32 v13, -15, v12
	v_add_nc_u32_e32 v12, 0x1e0, v12
	s_delay_alu instid0(VALU_DEP_3) | instskip(NEXT) | instid1(VALU_DEP_4)
	v_add_co_u32 v71, vcc_lo, s8, v71
	v_add_co_ci_u32_e32 v72, vcc_lo, s9, v72, vcc_lo
	s_waitcnt vmcnt(25)
	v_fma_f64 v[7:8], v[47:48], v[49:50], v[7:8]
	s_waitcnt vmcnt(24)
	v_fma_f64 v[9:10], v[51:52], v[49:50], v[9:10]
	v_lshlrev_b64 v[47:48], 3, v[13:14]
	v_add_nc_u32_e32 v13, 14, v22
	s_delay_alu instid0(VALU_DEP_1) | instskip(NEXT) | instid1(VALU_DEP_3)
	v_lshlrev_b64 v[49:50], 3, v[13:14]
	v_add_co_u32 v47, vcc_lo, s8, v47
	s_delay_alu instid0(VALU_DEP_4) | instskip(NEXT) | instid1(VALU_DEP_3)
	v_add_co_ci_u32_e32 v48, vcc_lo, s9, v48, vcc_lo
	v_add_co_u32 v49, vcc_lo, s10, v49
	s_delay_alu instid0(VALU_DEP_4)
	v_add_co_ci_u32_e32 v50, vcc_lo, s11, v50, vcc_lo
	s_clause 0x1
	global_load_b64 v[51:52], v[71:72], off
	global_load_b64 v[47:48], v[47:48], off
	;; [unrolled: 1-line block ×3, first 2 shown]
	v_cmp_ge_i32_e32 vcc_lo, v6, v17
	s_or_b32 s2, vcc_lo, s2
	s_waitcnt vmcnt(25)
	v_fma_f64 v[7:8], v[53:54], v[55:56], v[7:8]
	s_waitcnt vmcnt(24)
	v_fma_f64 v[9:10], v[57:58], v[55:56], v[9:10]
	s_waitcnt vmcnt(22)
	s_delay_alu instid0(VALU_DEP_2) | instskip(SKIP_1) | instid1(VALU_DEP_2)
	v_fma_f64 v[7:8], v[59:60], v[61:62], v[7:8]
	s_waitcnt vmcnt(21)
	v_fma_f64 v[9:10], v[63:64], v[61:62], v[9:10]
	s_waitcnt vmcnt(19)
	s_delay_alu instid0(VALU_DEP_2) | instskip(SKIP_1) | instid1(VALU_DEP_2)
	;; [unrolled: 5-line block ×7, first 2 shown]
	v_fma_f64 v[7:8], v[43:44], v[41:42], v[7:8]
	s_waitcnt vmcnt(3)
	v_fma_f64 v[10:11], v[45:46], v[41:42], v[9:10]
	s_waitcnt vmcnt(0)
	s_delay_alu instid0(VALU_DEP_2) | instskip(NEXT) | instid1(VALU_DEP_2)
	v_fma_f64 v[8:9], v[47:48], v[49:50], v[7:8]
	v_fma_f64 v[10:11], v[51:52], v[49:50], v[10:11]
	s_and_not1_b32 exec_lo, exec_lo, s2
	s_cbranch_execnz .LBB143_15
; %bb.16:
	s_or_b32 exec_lo, exec_lo, s2
.LBB143_17:
	s_delay_alu instid0(SALU_CYCLE_1)
	s_or_b32 exec_lo, exec_lo, s3
.LBB143_18:
	v_mbcnt_lo_u32_b32 v14, -1, 0
	s_delay_alu instid0(VALU_DEP_1) | instskip(NEXT) | instid1(VALU_DEP_1)
	v_xor_b32_e32 v6, 8, v14
	v_cmp_gt_i32_e32 vcc_lo, 32, v6
	v_cndmask_b32_e32 v6, v14, v6, vcc_lo
	s_delay_alu instid0(VALU_DEP_1)
	v_lshlrev_b32_e32 v13, 2, v6
	ds_bpermute_b32 v6, v13, v8
	ds_bpermute_b32 v7, v13, v9
	;; [unrolled: 1-line block ×4, first 2 shown]
	s_waitcnt lgkmcnt(2)
	v_add_f64 v[6:7], v[8:9], v[6:7]
	s_waitcnt lgkmcnt(0)
	v_add_f64 v[8:9], v[10:11], v[12:13]
	v_xor_b32_e32 v10, 4, v14
	s_delay_alu instid0(VALU_DEP_1) | instskip(SKIP_1) | instid1(VALU_DEP_1)
	v_cmp_gt_i32_e32 vcc_lo, 32, v10
	v_cndmask_b32_e32 v10, v14, v10, vcc_lo
	v_lshlrev_b32_e32 v13, 2, v10
	ds_bpermute_b32 v10, v13, v6
	ds_bpermute_b32 v11, v13, v7
	;; [unrolled: 1-line block ×4, first 2 shown]
	s_waitcnt lgkmcnt(2)
	v_add_f64 v[6:7], v[6:7], v[10:11]
	v_xor_b32_e32 v10, 2, v14
	s_waitcnt lgkmcnt(0)
	v_add_f64 v[8:9], v[8:9], v[12:13]
	s_delay_alu instid0(VALU_DEP_2) | instskip(SKIP_1) | instid1(VALU_DEP_1)
	v_cmp_gt_i32_e32 vcc_lo, 32, v10
	v_cndmask_b32_e32 v10, v14, v10, vcc_lo
	v_lshlrev_b32_e32 v13, 2, v10
	ds_bpermute_b32 v10, v13, v6
	ds_bpermute_b32 v11, v13, v7
	;; [unrolled: 1-line block ×4, first 2 shown]
	s_waitcnt lgkmcnt(2)
	v_add_f64 v[6:7], v[6:7], v[10:11]
	s_waitcnt lgkmcnt(0)
	v_add_f64 v[10:11], v[8:9], v[12:13]
	v_xor_b32_e32 v8, 1, v14
	s_delay_alu instid0(VALU_DEP_1) | instskip(SKIP_2) | instid1(VALU_DEP_2)
	v_cmp_gt_i32_e32 vcc_lo, 32, v8
	v_cndmask_b32_e32 v8, v14, v8, vcc_lo
	v_cmp_eq_u32_e32 vcc_lo, 15, v0
	v_lshlrev_b32_e32 v13, 2, v8
	ds_bpermute_b32 v8, v13, v6
	ds_bpermute_b32 v9, v13, v7
	;; [unrolled: 1-line block ×4, first 2 shown]
	s_and_b32 exec_lo, exec_lo, vcc_lo
	s_cbranch_execz .LBB143_23
; %bb.19:
	s_waitcnt lgkmcnt(2)
	v_add_f64 v[8:9], v[6:7], v[8:9]
	s_waitcnt lgkmcnt(0)
	v_add_f64 v[6:7], v[10:11], v[12:13]
	s_load_b64 s[0:1], s[0:1], 0x38
	s_mov_b32 s2, exec_lo
	v_cmpx_eq_f64_e32 0, v[3:4]
	s_xor_b32 s2, exec_lo, s2
	s_cbranch_execz .LBB143_21
; %bb.20:
	s_delay_alu instid0(VALU_DEP_3) | instskip(NEXT) | instid1(VALU_DEP_3)
	v_mul_f64 v[8:9], v[1:2], v[8:9]
	v_mul_f64 v[10:11], v[1:2], v[6:7]
	v_lshlrev_b32_e32 v0, 1, v5
                                        ; implicit-def: $vgpr5
                                        ; implicit-def: $vgpr3_vgpr4
                                        ; implicit-def: $vgpr6_vgpr7
	s_delay_alu instid0(VALU_DEP_1) | instskip(NEXT) | instid1(VALU_DEP_1)
	v_ashrrev_i32_e32 v1, 31, v0
	v_lshlrev_b64 v[0:1], 3, v[0:1]
	s_waitcnt lgkmcnt(0)
	s_delay_alu instid0(VALU_DEP_1) | instskip(NEXT) | instid1(VALU_DEP_2)
	v_add_co_u32 v0, vcc_lo, s0, v0
	v_add_co_ci_u32_e32 v1, vcc_lo, s1, v1, vcc_lo
	global_store_b128 v[0:1], v[8:11], off
                                        ; implicit-def: $vgpr1_vgpr2
                                        ; implicit-def: $vgpr8_vgpr9
.LBB143_21:
	s_and_not1_saveexec_b32 s2, s2
	s_cbranch_execz .LBB143_23
; %bb.22:
	v_lshlrev_b32_e32 v10, 1, v5
	s_delay_alu instid0(VALU_DEP_4) | instskip(NEXT) | instid1(VALU_DEP_4)
	v_mul_f64 v[8:9], v[1:2], v[8:9]
	v_mul_f64 v[5:6], v[1:2], v[6:7]
	s_delay_alu instid0(VALU_DEP_3) | instskip(NEXT) | instid1(VALU_DEP_1)
	v_ashrrev_i32_e32 v11, 31, v10
	v_lshlrev_b64 v[10:11], 3, v[10:11]
	s_waitcnt lgkmcnt(0)
	s_delay_alu instid0(VALU_DEP_1) | instskip(NEXT) | instid1(VALU_DEP_2)
	v_add_co_u32 v14, vcc_lo, s0, v10
	v_add_co_ci_u32_e32 v15, vcc_lo, s1, v11, vcc_lo
	global_load_b128 v[10:13], v[14:15], off
	s_waitcnt vmcnt(0)
	v_fma_f64 v[0:1], v[3:4], v[10:11], v[8:9]
	v_fma_f64 v[2:3], v[3:4], v[12:13], v[5:6]
	global_store_b128 v[14:15], v[0:3], off
.LBB143_23:
	s_nop 0
	s_sendmsg sendmsg(MSG_DEALLOC_VGPRS)
	s_endpgm
	.section	.rodata,"a",@progbits
	.p2align	6, 0x0
	.amdhsa_kernel _ZN9rocsparseL19gebsrmvn_2xn_kernelILj128ELj15ELj16EdEEvi20rocsparse_direction_NS_24const_host_device_scalarIT2_EEPKiS6_PKS3_S8_S4_PS3_21rocsparse_index_base_b
		.amdhsa_group_segment_fixed_size 0
		.amdhsa_private_segment_fixed_size 0
		.amdhsa_kernarg_size 72
		.amdhsa_user_sgpr_count 15
		.amdhsa_user_sgpr_dispatch_ptr 0
		.amdhsa_user_sgpr_queue_ptr 0
		.amdhsa_user_sgpr_kernarg_segment_ptr 1
		.amdhsa_user_sgpr_dispatch_id 0
		.amdhsa_user_sgpr_private_segment_size 0
		.amdhsa_wavefront_size32 1
		.amdhsa_uses_dynamic_stack 0
		.amdhsa_enable_private_segment 0
		.amdhsa_system_sgpr_workgroup_id_x 1
		.amdhsa_system_sgpr_workgroup_id_y 0
		.amdhsa_system_sgpr_workgroup_id_z 0
		.amdhsa_system_sgpr_workgroup_info 0
		.amdhsa_system_vgpr_workitem_id 0
		.amdhsa_next_free_vgpr 73
		.amdhsa_next_free_sgpr 16
		.amdhsa_reserve_vcc 1
		.amdhsa_float_round_mode_32 0
		.amdhsa_float_round_mode_16_64 0
		.amdhsa_float_denorm_mode_32 3
		.amdhsa_float_denorm_mode_16_64 3
		.amdhsa_dx10_clamp 1
		.amdhsa_ieee_mode 1
		.amdhsa_fp16_overflow 0
		.amdhsa_workgroup_processor_mode 1
		.amdhsa_memory_ordered 1
		.amdhsa_forward_progress 0
		.amdhsa_shared_vgpr_count 0
		.amdhsa_exception_fp_ieee_invalid_op 0
		.amdhsa_exception_fp_denorm_src 0
		.amdhsa_exception_fp_ieee_div_zero 0
		.amdhsa_exception_fp_ieee_overflow 0
		.amdhsa_exception_fp_ieee_underflow 0
		.amdhsa_exception_fp_ieee_inexact 0
		.amdhsa_exception_int_div_zero 0
	.end_amdhsa_kernel
	.section	.text._ZN9rocsparseL19gebsrmvn_2xn_kernelILj128ELj15ELj16EdEEvi20rocsparse_direction_NS_24const_host_device_scalarIT2_EEPKiS6_PKS3_S8_S4_PS3_21rocsparse_index_base_b,"axG",@progbits,_ZN9rocsparseL19gebsrmvn_2xn_kernelILj128ELj15ELj16EdEEvi20rocsparse_direction_NS_24const_host_device_scalarIT2_EEPKiS6_PKS3_S8_S4_PS3_21rocsparse_index_base_b,comdat
.Lfunc_end143:
	.size	_ZN9rocsparseL19gebsrmvn_2xn_kernelILj128ELj15ELj16EdEEvi20rocsparse_direction_NS_24const_host_device_scalarIT2_EEPKiS6_PKS3_S8_S4_PS3_21rocsparse_index_base_b, .Lfunc_end143-_ZN9rocsparseL19gebsrmvn_2xn_kernelILj128ELj15ELj16EdEEvi20rocsparse_direction_NS_24const_host_device_scalarIT2_EEPKiS6_PKS3_S8_S4_PS3_21rocsparse_index_base_b
                                        ; -- End function
	.section	.AMDGPU.csdata,"",@progbits
; Kernel info:
; codeLenInByte = 4492
; NumSgprs: 18
; NumVgprs: 73
; ScratchSize: 0
; MemoryBound: 0
; FloatMode: 240
; IeeeMode: 1
; LDSByteSize: 0 bytes/workgroup (compile time only)
; SGPRBlocks: 2
; VGPRBlocks: 9
; NumSGPRsForWavesPerEU: 18
; NumVGPRsForWavesPerEU: 73
; Occupancy: 16
; WaveLimiterHint : 1
; COMPUTE_PGM_RSRC2:SCRATCH_EN: 0
; COMPUTE_PGM_RSRC2:USER_SGPR: 15
; COMPUTE_PGM_RSRC2:TRAP_HANDLER: 0
; COMPUTE_PGM_RSRC2:TGID_X_EN: 1
; COMPUTE_PGM_RSRC2:TGID_Y_EN: 0
; COMPUTE_PGM_RSRC2:TGID_Z_EN: 0
; COMPUTE_PGM_RSRC2:TIDIG_COMP_CNT: 0
	.section	.text._ZN9rocsparseL19gebsrmvn_2xn_kernelILj128ELj15ELj32EdEEvi20rocsparse_direction_NS_24const_host_device_scalarIT2_EEPKiS6_PKS3_S8_S4_PS3_21rocsparse_index_base_b,"axG",@progbits,_ZN9rocsparseL19gebsrmvn_2xn_kernelILj128ELj15ELj32EdEEvi20rocsparse_direction_NS_24const_host_device_scalarIT2_EEPKiS6_PKS3_S8_S4_PS3_21rocsparse_index_base_b,comdat
	.globl	_ZN9rocsparseL19gebsrmvn_2xn_kernelILj128ELj15ELj32EdEEvi20rocsparse_direction_NS_24const_host_device_scalarIT2_EEPKiS6_PKS3_S8_S4_PS3_21rocsparse_index_base_b ; -- Begin function _ZN9rocsparseL19gebsrmvn_2xn_kernelILj128ELj15ELj32EdEEvi20rocsparse_direction_NS_24const_host_device_scalarIT2_EEPKiS6_PKS3_S8_S4_PS3_21rocsparse_index_base_b
	.p2align	8
	.type	_ZN9rocsparseL19gebsrmvn_2xn_kernelILj128ELj15ELj32EdEEvi20rocsparse_direction_NS_24const_host_device_scalarIT2_EEPKiS6_PKS3_S8_S4_PS3_21rocsparse_index_base_b,@function
_ZN9rocsparseL19gebsrmvn_2xn_kernelILj128ELj15ELj32EdEEvi20rocsparse_direction_NS_24const_host_device_scalarIT2_EEPKiS6_PKS3_S8_S4_PS3_21rocsparse_index_base_b: ; @_ZN9rocsparseL19gebsrmvn_2xn_kernelILj128ELj15ELj32EdEEvi20rocsparse_direction_NS_24const_host_device_scalarIT2_EEPKiS6_PKS3_S8_S4_PS3_21rocsparse_index_base_b
; %bb.0:
	s_clause 0x2
	s_load_b64 s[12:13], s[0:1], 0x40
	s_load_b64 s[4:5], s[0:1], 0x8
	;; [unrolled: 1-line block ×3, first 2 shown]
	s_waitcnt lgkmcnt(0)
	s_bitcmp1_b32 s13, 0
	v_dual_mov_b32 v1, s4 :: v_dual_mov_b32 v2, s5
	s_cselect_b32 s6, -1, 0
	s_delay_alu instid0(SALU_CYCLE_1)
	s_and_b32 vcc_lo, exec_lo, s6
	s_xor_b32 s6, s6, -1
	s_cbranch_vccnz .LBB144_2
; %bb.1:
	v_dual_mov_b32 v1, s4 :: v_dual_mov_b32 v2, s5
	flat_load_b64 v[1:2], v[1:2]
.LBB144_2:
	v_dual_mov_b32 v4, s3 :: v_dual_mov_b32 v3, s2
	s_and_not1_b32 vcc_lo, exec_lo, s6
	s_cbranch_vccnz .LBB144_4
; %bb.3:
	v_dual_mov_b32 v4, s3 :: v_dual_mov_b32 v3, s2
	flat_load_b64 v[3:4], v[3:4]
.LBB144_4:
	s_waitcnt vmcnt(0) lgkmcnt(0)
	v_cmp_neq_f64_e32 vcc_lo, 0, v[1:2]
	v_cmp_neq_f64_e64 s2, 1.0, v[3:4]
	s_delay_alu instid0(VALU_DEP_1) | instskip(NEXT) | instid1(SALU_CYCLE_1)
	s_or_b32 s2, vcc_lo, s2
	s_and_saveexec_b32 s3, s2
	s_cbranch_execz .LBB144_23
; %bb.5:
	s_load_b64 s[2:3], s[0:1], 0x0
	v_lshrrev_b32_e32 v5, 5, v0
	s_delay_alu instid0(VALU_DEP_1) | instskip(SKIP_1) | instid1(VALU_DEP_1)
	v_lshl_or_b32 v5, s15, 2, v5
	s_waitcnt lgkmcnt(0)
	v_cmp_gt_i32_e32 vcc_lo, s2, v5
	s_and_b32 exec_lo, exec_lo, vcc_lo
	s_cbranch_execz .LBB144_23
; %bb.6:
	s_load_b256 s[4:11], s[0:1], 0x10
	v_ashrrev_i32_e32 v6, 31, v5
	v_and_b32_e32 v0, 31, v0
	s_cmp_lg_u32 s3, 0
	s_delay_alu instid0(VALU_DEP_2) | instskip(SKIP_1) | instid1(VALU_DEP_1)
	v_lshlrev_b64 v[6:7], 2, v[5:6]
	s_waitcnt lgkmcnt(0)
	v_add_co_u32 v6, vcc_lo, s4, v6
	s_delay_alu instid0(VALU_DEP_2) | instskip(SKIP_4) | instid1(VALU_DEP_2)
	v_add_co_ci_u32_e32 v7, vcc_lo, s5, v7, vcc_lo
	global_load_b64 v[6:7], v[6:7], off
	s_waitcnt vmcnt(0)
	v_subrev_nc_u32_e32 v6, s12, v6
	v_subrev_nc_u32_e32 v17, s12, v7
	v_add_nc_u32_e32 v6, v6, v0
	s_delay_alu instid0(VALU_DEP_1)
	v_cmp_lt_i32_e64 s2, v6, v17
	s_cbranch_scc0 .LBB144_12
; %bb.7:
	v_mov_b32_e32 v8, 0
	v_mov_b32_e32 v9, 0
	s_delay_alu instid0(VALU_DEP_1)
	v_dual_mov_b32 v11, v9 :: v_dual_mov_b32 v10, v8
	s_and_saveexec_b32 s3, s2
	s_cbranch_execz .LBB144_11
; %bb.8:
	v_dual_mov_b32 v8, 0 :: v_dual_mov_b32 v15, v6
	v_dual_mov_b32 v9, 0 :: v_dual_mov_b32 v14, 0
	v_mad_u64_u32 v[12:13], null, v6, 30, 28
	s_mov_b32 s4, 0
	s_delay_alu instid0(VALU_DEP_2)
	v_dual_mov_b32 v11, v9 :: v_dual_mov_b32 v10, v8
.LBB144_9:                              ; =>This Inner Loop Header: Depth=1
	v_ashrrev_i32_e32 v16, 31, v15
	s_delay_alu instid0(VALU_DEP_3) | instskip(SKIP_1) | instid1(VALU_DEP_3)
	v_subrev_nc_u32_e32 v13, 28, v12
	v_mov_b32_e32 v55, v14
	v_lshlrev_b64 v[18:19], 2, v[15:16]
	v_add_nc_u32_e32 v15, 32, v15
	s_delay_alu instid0(VALU_DEP_2) | instskip(NEXT) | instid1(VALU_DEP_3)
	v_add_co_u32 v18, vcc_lo, s6, v18
	v_add_co_ci_u32_e32 v19, vcc_lo, s7, v19, vcc_lo
	global_load_b32 v7, v[18:19], off
	v_lshlrev_b64 v[18:19], 3, v[13:14]
	v_subrev_nc_u32_e32 v13, 26, v12
	s_delay_alu instid0(VALU_DEP_2) | instskip(NEXT) | instid1(VALU_DEP_3)
	v_add_co_u32 v18, vcc_lo, s8, v18
	v_add_co_ci_u32_e32 v19, vcc_lo, s9, v19, vcc_lo
	global_load_b128 v[18:21], v[18:19], off
	s_waitcnt vmcnt(1)
	v_subrev_nc_u32_e32 v7, s12, v7
	s_delay_alu instid0(VALU_DEP_1) | instskip(NEXT) | instid1(VALU_DEP_1)
	v_mul_lo_u32 v54, v7, 15
	v_lshlrev_b64 v[22:23], 3, v[54:55]
	s_delay_alu instid0(VALU_DEP_1) | instskip(NEXT) | instid1(VALU_DEP_2)
	v_add_co_u32 v22, vcc_lo, s10, v22
	v_add_co_ci_u32_e32 v23, vcc_lo, s11, v23, vcc_lo
	global_load_b64 v[55:56], v[22:23], off
	v_lshlrev_b64 v[22:23], 3, v[13:14]
	v_add_nc_u32_e32 v13, 1, v54
	s_delay_alu instid0(VALU_DEP_1) | instskip(NEXT) | instid1(VALU_DEP_3)
	v_lshlrev_b64 v[26:27], 3, v[13:14]
	v_add_co_u32 v22, vcc_lo, s8, v22
	s_delay_alu instid0(VALU_DEP_4) | instskip(SKIP_1) | instid1(VALU_DEP_4)
	v_add_co_ci_u32_e32 v23, vcc_lo, s9, v23, vcc_lo
	v_subrev_nc_u32_e32 v13, 24, v12
	v_add_co_u32 v26, vcc_lo, s10, v26
	v_add_co_ci_u32_e32 v27, vcc_lo, s11, v27, vcc_lo
	global_load_b128 v[22:25], v[22:23], off
	global_load_b64 v[57:58], v[26:27], off
	v_lshlrev_b64 v[26:27], 3, v[13:14]
	v_add_nc_u32_e32 v13, 2, v54
	s_delay_alu instid0(VALU_DEP_1) | instskip(NEXT) | instid1(VALU_DEP_3)
	v_lshlrev_b64 v[28:29], 3, v[13:14]
	v_add_co_u32 v26, vcc_lo, s8, v26
	s_delay_alu instid0(VALU_DEP_4) | instskip(SKIP_1) | instid1(VALU_DEP_4)
	v_add_co_ci_u32_e32 v27, vcc_lo, s9, v27, vcc_lo
	v_subrev_nc_u32_e32 v13, 22, v12
	v_add_co_u32 v30, vcc_lo, s10, v28
	v_add_co_ci_u32_e32 v31, vcc_lo, s11, v29, vcc_lo
	global_load_b128 v[26:29], v[26:27], off
	;; [unrolled: 12-line block ×4, first 2 shown]
	global_load_b64 v[63:64], v[38:39], off
	v_lshlrev_b64 v[38:39], 3, v[13:14]
	v_add_nc_u32_e32 v13, 5, v54
	s_delay_alu instid0(VALU_DEP_1) | instskip(NEXT) | instid1(VALU_DEP_3)
	v_lshlrev_b64 v[40:41], 3, v[13:14]
	v_add_co_u32 v38, vcc_lo, s8, v38
	s_delay_alu instid0(VALU_DEP_4) | instskip(SKIP_1) | instid1(VALU_DEP_4)
	v_add_co_ci_u32_e32 v39, vcc_lo, s9, v39, vcc_lo
	v_add_nc_u32_e32 v13, -16, v12
	v_add_co_u32 v42, vcc_lo, s10, v40
	v_add_co_ci_u32_e32 v43, vcc_lo, s11, v41, vcc_lo
	global_load_b128 v[38:41], v[38:39], off
	global_load_b64 v[65:66], v[42:43], off
	v_lshlrev_b64 v[42:43], 3, v[13:14]
	v_add_nc_u32_e32 v13, 6, v54
	s_delay_alu instid0(VALU_DEP_1) | instskip(NEXT) | instid1(VALU_DEP_3)
	v_lshlrev_b64 v[44:45], 3, v[13:14]
	v_add_co_u32 v42, vcc_lo, s8, v42
	s_delay_alu instid0(VALU_DEP_4) | instskip(SKIP_1) | instid1(VALU_DEP_4)
	v_add_co_ci_u32_e32 v43, vcc_lo, s9, v43, vcc_lo
	v_add_nc_u32_e32 v13, -14, v12
	v_add_co_u32 v46, vcc_lo, s10, v44
	v_add_co_ci_u32_e32 v47, vcc_lo, s11, v45, vcc_lo
	global_load_b128 v[42:45], v[42:43], off
	;; [unrolled: 12-line block ×4, first 2 shown]
	global_load_b64 v[71:72], v[71:72], off
	s_waitcnt vmcnt(16)
	v_fma_f64 v[18:19], v[18:19], v[55:56], v[8:9]
	v_fma_f64 v[20:21], v[20:21], v[55:56], v[10:11]
	v_lshlrev_b64 v[7:8], 3, v[13:14]
	v_add_nc_u32_e32 v13, 9, v54
	s_delay_alu instid0(VALU_DEP_1) | instskip(NEXT) | instid1(VALU_DEP_3)
	v_lshlrev_b64 v[9:10], 3, v[13:14]
	v_add_co_u32 v7, vcc_lo, s8, v7
	s_delay_alu instid0(VALU_DEP_4) | instskip(SKIP_1) | instid1(VALU_DEP_4)
	v_add_co_ci_u32_e32 v8, vcc_lo, s9, v8, vcc_lo
	v_add_nc_u32_e32 v13, -8, v12
	v_add_co_u32 v55, vcc_lo, s10, v9
	v_add_co_ci_u32_e32 v56, vcc_lo, s11, v10, vcc_lo
	global_load_b128 v[7:10], v[7:8], off
	global_load_b64 v[55:56], v[55:56], off
	s_waitcnt vmcnt(16)
	v_fma_f64 v[22:23], v[22:23], v[57:58], v[18:19]
	v_fma_f64 v[24:25], v[24:25], v[57:58], v[20:21]
	v_lshlrev_b64 v[18:19], 3, v[13:14]
	v_add_nc_u32_e32 v13, 10, v54
	s_delay_alu instid0(VALU_DEP_1) | instskip(NEXT) | instid1(VALU_DEP_3)
	v_lshlrev_b64 v[20:21], 3, v[13:14]
	v_add_co_u32 v18, vcc_lo, s8, v18
	s_delay_alu instid0(VALU_DEP_4) | instskip(SKIP_1) | instid1(VALU_DEP_4)
	v_add_co_ci_u32_e32 v19, vcc_lo, s9, v19, vcc_lo
	v_add_nc_u32_e32 v13, -6, v12
	v_add_co_u32 v57, vcc_lo, s10, v20
	v_add_co_ci_u32_e32 v58, vcc_lo, s11, v21, vcc_lo
	global_load_b128 v[18:21], v[18:19], off
	;; [unrolled: 15-line block ×4, first 2 shown]
	global_load_b64 v[61:62], v[61:62], off
	s_waitcnt vmcnt(16)
	v_fma_f64 v[34:35], v[34:35], v[63:64], v[30:31]
	v_fma_f64 v[36:37], v[36:37], v[63:64], v[32:33]
	v_lshlrev_b64 v[30:31], 3, v[13:14]
	v_add_nc_u32_e32 v13, 13, v54
	s_delay_alu instid0(VALU_DEP_1) | instskip(NEXT) | instid1(VALU_DEP_3)
	v_lshlrev_b64 v[32:33], 3, v[13:14]
	v_add_co_u32 v30, vcc_lo, s8, v30
	s_delay_alu instid0(VALU_DEP_4) | instskip(SKIP_1) | instid1(VALU_DEP_4)
	v_add_co_ci_u32_e32 v31, vcc_lo, s9, v31, vcc_lo
	v_mov_b32_e32 v13, v14
	v_add_co_u32 v63, vcc_lo, s10, v32
	v_add_co_ci_u32_e32 v64, vcc_lo, s11, v33, vcc_lo
	global_load_b128 v[30:33], v[30:31], off
	global_load_b64 v[63:64], v[63:64], off
	s_waitcnt vmcnt(16)
	v_fma_f64 v[38:39], v[38:39], v[65:66], v[34:35]
	v_fma_f64 v[40:41], v[40:41], v[65:66], v[36:37]
	v_lshlrev_b64 v[34:35], 3, v[12:13]
	v_add_nc_u32_e32 v12, 0x3c0, v12
	v_add_nc_u32_e32 v13, 14, v54
	s_delay_alu instid0(VALU_DEP_3) | instskip(NEXT) | instid1(VALU_DEP_2)
	v_add_co_u32 v34, vcc_lo, s8, v34
	v_lshlrev_b64 v[36:37], 3, v[13:14]
	v_add_co_ci_u32_e32 v35, vcc_lo, s9, v35, vcc_lo
	s_delay_alu instid0(VALU_DEP_2) | instskip(NEXT) | instid1(VALU_DEP_3)
	v_add_co_u32 v65, vcc_lo, s10, v36
	v_add_co_ci_u32_e32 v66, vcc_lo, s11, v37, vcc_lo
	global_load_b128 v[34:37], v[34:35], off
	global_load_b64 v[65:66], v[65:66], off
	v_cmp_ge_i32_e32 vcc_lo, v15, v17
	s_or_b32 s4, vcc_lo, s4
	s_waitcnt vmcnt(16)
	v_fma_f64 v[38:39], v[42:43], v[67:68], v[38:39]
	v_fma_f64 v[40:41], v[44:45], v[67:68], v[40:41]
	s_waitcnt vmcnt(14)
	s_delay_alu instid0(VALU_DEP_2) | instskip(NEXT) | instid1(VALU_DEP_2)
	v_fma_f64 v[38:39], v[46:47], v[69:70], v[38:39]
	v_fma_f64 v[40:41], v[48:49], v[69:70], v[40:41]
	s_waitcnt vmcnt(12)
	s_delay_alu instid0(VALU_DEP_2) | instskip(NEXT) | instid1(VALU_DEP_2)
	;; [unrolled: 4-line block ×8, first 2 shown]
	v_fma_f64 v[8:9], v[34:35], v[65:66], v[7:8]
	v_fma_f64 v[10:11], v[36:37], v[65:66], v[10:11]
	s_and_not1_b32 exec_lo, exec_lo, s4
	s_cbranch_execnz .LBB144_9
; %bb.10:
	s_or_b32 exec_lo, exec_lo, s4
.LBB144_11:
	s_delay_alu instid0(SALU_CYCLE_1)
	s_or_b32 exec_lo, exec_lo, s3
	s_cbranch_execz .LBB144_13
	s_branch .LBB144_18
.LBB144_12:
                                        ; implicit-def: $vgpr8_vgpr9
                                        ; implicit-def: $vgpr10_vgpr11
.LBB144_13:
	v_mov_b32_e32 v8, 0
	v_mov_b32_e32 v9, 0
	s_delay_alu instid0(VALU_DEP_1)
	v_dual_mov_b32 v11, v9 :: v_dual_mov_b32 v10, v8
	s_and_saveexec_b32 s3, s2
	s_cbranch_execz .LBB144_17
; %bb.14:
	v_mov_b32_e32 v8, 0
	v_dual_mov_b32 v9, 0 :: v_dual_mov_b32 v14, 0
	v_mad_u64_u32 v[12:13], null, v6, 30, 29
	s_mov_b32 s2, 0
	s_delay_alu instid0(VALU_DEP_2)
	v_dual_mov_b32 v11, v9 :: v_dual_mov_b32 v10, v8
.LBB144_15:                             ; =>This Inner Loop Header: Depth=1
	v_ashrrev_i32_e32 v7, 31, v6
	s_delay_alu instid0(VALU_DEP_3) | instskip(SKIP_1) | instid1(VALU_DEP_3)
	v_subrev_nc_u32_e32 v13, 29, v12
	v_mov_b32_e32 v23, v14
	v_lshlrev_b64 v[15:16], 2, v[6:7]
	v_add_nc_u32_e32 v6, 32, v6
	s_delay_alu instid0(VALU_DEP_4) | instskip(NEXT) | instid1(VALU_DEP_3)
	v_lshlrev_b64 v[18:19], 3, v[13:14]
	v_add_co_u32 v15, vcc_lo, s6, v15
	s_delay_alu instid0(VALU_DEP_4) | instskip(NEXT) | instid1(VALU_DEP_3)
	v_add_co_ci_u32_e32 v16, vcc_lo, s7, v16, vcc_lo
	v_add_co_u32 v18, vcc_lo, s8, v18
	s_delay_alu instid0(VALU_DEP_4) | instskip(SKIP_2) | instid1(VALU_DEP_1)
	v_add_co_ci_u32_e32 v19, vcc_lo, s9, v19, vcc_lo
	global_load_b32 v7, v[15:16], off
	v_dual_mov_b32 v16, v14 :: v_dual_add_nc_u32 v15, -14, v12
	v_lshlrev_b64 v[15:16], 3, v[15:16]
	s_delay_alu instid0(VALU_DEP_1) | instskip(NEXT) | instid1(VALU_DEP_2)
	v_add_co_u32 v15, vcc_lo, s8, v15
	v_add_co_ci_u32_e32 v16, vcc_lo, s9, v16, vcc_lo
	s_clause 0x1
	global_load_b128 v[18:21], v[18:19], off
	global_load_b64 v[15:16], v[15:16], off
	s_waitcnt vmcnt(2)
	v_subrev_nc_u32_e32 v7, s12, v7
	s_delay_alu instid0(VALU_DEP_1) | instskip(NEXT) | instid1(VALU_DEP_1)
	v_mul_lo_u32 v22, v7, 15
	v_lshlrev_b64 v[23:24], 3, v[22:23]
	v_add_nc_u32_e32 v13, 1, v22
	s_delay_alu instid0(VALU_DEP_1) | instskip(NEXT) | instid1(VALU_DEP_3)
	v_lshlrev_b64 v[25:26], 3, v[13:14]
	v_add_co_u32 v23, vcc_lo, s10, v23
	s_delay_alu instid0(VALU_DEP_4) | instskip(SKIP_1) | instid1(VALU_DEP_4)
	v_add_co_ci_u32_e32 v24, vcc_lo, s11, v24, vcc_lo
	v_add_nc_u32_e32 v13, -13, v12
	v_add_co_u32 v25, vcc_lo, s10, v25
	global_load_b64 v[23:24], v[23:24], off
	v_add_co_ci_u32_e32 v26, vcc_lo, s11, v26, vcc_lo
	v_lshlrev_b64 v[27:28], 3, v[13:14]
	v_subrev_nc_u32_e32 v13, 27, v12
	s_delay_alu instid0(VALU_DEP_2) | instskip(NEXT) | instid1(VALU_DEP_3)
	v_add_co_u32 v27, vcc_lo, s8, v27
	v_add_co_ci_u32_e32 v28, vcc_lo, s9, v28, vcc_lo
	global_load_b64 v[25:26], v[25:26], off
	global_load_b64 v[27:28], v[27:28], off
	v_lshlrev_b64 v[29:30], 3, v[13:14]
	v_add_nc_u32_e32 v13, 2, v22
	s_delay_alu instid0(VALU_DEP_1) | instskip(SKIP_1) | instid1(VALU_DEP_4)
	v_lshlrev_b64 v[31:32], 3, v[13:14]
	v_add_nc_u32_e32 v13, -12, v12
	v_add_co_u32 v29, vcc_lo, s8, v29
	v_add_co_ci_u32_e32 v30, vcc_lo, s9, v30, vcc_lo
	s_delay_alu instid0(VALU_DEP_3)
	v_lshlrev_b64 v[33:34], 3, v[13:14]
	v_add_co_u32 v31, vcc_lo, s10, v31
	v_add_co_ci_u32_e32 v32, vcc_lo, s11, v32, vcc_lo
	global_load_b64 v[29:30], v[29:30], off
	v_add_co_u32 v33, vcc_lo, s8, v33
	v_add_co_ci_u32_e32 v34, vcc_lo, s9, v34, vcc_lo
	global_load_b64 v[31:32], v[31:32], off
	global_load_b64 v[33:34], v[33:34], off
	v_subrev_nc_u32_e32 v13, 26, v12
	s_delay_alu instid0(VALU_DEP_1) | instskip(SKIP_1) | instid1(VALU_DEP_1)
	v_lshlrev_b64 v[35:36], 3, v[13:14]
	v_add_nc_u32_e32 v13, 3, v22
	v_lshlrev_b64 v[37:38], 3, v[13:14]
	v_add_nc_u32_e32 v13, -11, v12
	s_delay_alu instid0(VALU_DEP_4) | instskip(SKIP_1) | instid1(VALU_DEP_3)
	v_add_co_u32 v35, vcc_lo, s8, v35
	v_add_co_ci_u32_e32 v36, vcc_lo, s9, v36, vcc_lo
	v_lshlrev_b64 v[39:40], 3, v[13:14]
	v_add_co_u32 v37, vcc_lo, s10, v37
	v_add_co_ci_u32_e32 v38, vcc_lo, s11, v38, vcc_lo
	global_load_b64 v[35:36], v[35:36], off
	v_add_co_u32 v39, vcc_lo, s8, v39
	v_add_co_ci_u32_e32 v40, vcc_lo, s9, v40, vcc_lo
	global_load_b64 v[37:38], v[37:38], off
	global_load_b64 v[39:40], v[39:40], off
	v_subrev_nc_u32_e32 v13, 25, v12
	s_delay_alu instid0(VALU_DEP_1) | instskip(SKIP_1) | instid1(VALU_DEP_1)
	v_lshlrev_b64 v[41:42], 3, v[13:14]
	v_add_nc_u32_e32 v13, 4, v22
	v_lshlrev_b64 v[43:44], 3, v[13:14]
	v_add_nc_u32_e32 v13, -10, v12
	s_delay_alu instid0(VALU_DEP_4) | instskip(SKIP_1) | instid1(VALU_DEP_3)
	v_add_co_u32 v41, vcc_lo, s8, v41
	v_add_co_ci_u32_e32 v42, vcc_lo, s9, v42, vcc_lo
	;; [unrolled: 17-line block ×4, first 2 shown]
	v_lshlrev_b64 v[57:58], 3, v[13:14]
	v_add_co_u32 v55, vcc_lo, s10, v55
	v_add_co_ci_u32_e32 v56, vcc_lo, s11, v56, vcc_lo
	v_subrev_nc_u32_e32 v13, 22, v12
	s_delay_alu instid0(VALU_DEP_4)
	v_add_co_u32 v57, vcc_lo, s8, v57
	v_add_co_ci_u32_e32 v58, vcc_lo, s9, v58, vcc_lo
	global_load_b64 v[53:54], v[53:54], off
	global_load_b64 v[55:56], v[55:56], off
	;; [unrolled: 1-line block ×3, first 2 shown]
	v_lshlrev_b64 v[59:60], 3, v[13:14]
	v_add_nc_u32_e32 v13, 7, v22
	s_delay_alu instid0(VALU_DEP_1) | instskip(SKIP_1) | instid1(VALU_DEP_4)
	v_lshlrev_b64 v[61:62], 3, v[13:14]
	v_add_nc_u32_e32 v13, -7, v12
	v_add_co_u32 v59, vcc_lo, s8, v59
	v_add_co_ci_u32_e32 v60, vcc_lo, s9, v60, vcc_lo
	s_delay_alu instid0(VALU_DEP_3) | instskip(SKIP_3) | instid1(VALU_DEP_4)
	v_lshlrev_b64 v[63:64], 3, v[13:14]
	v_add_co_u32 v61, vcc_lo, s10, v61
	v_add_co_ci_u32_e32 v62, vcc_lo, s11, v62, vcc_lo
	v_subrev_nc_u32_e32 v13, 21, v12
	v_add_co_u32 v63, vcc_lo, s8, v63
	v_add_co_ci_u32_e32 v64, vcc_lo, s9, v64, vcc_lo
	global_load_b64 v[59:60], v[59:60], off
	global_load_b64 v[61:62], v[61:62], off
	;; [unrolled: 1-line block ×3, first 2 shown]
	v_lshlrev_b64 v[65:66], 3, v[13:14]
	v_add_nc_u32_e32 v13, 8, v22
	s_delay_alu instid0(VALU_DEP_1) | instskip(SKIP_1) | instid1(VALU_DEP_4)
	v_lshlrev_b64 v[67:68], 3, v[13:14]
	v_add_nc_u32_e32 v13, -6, v12
	v_add_co_u32 v65, vcc_lo, s8, v65
	v_add_co_ci_u32_e32 v66, vcc_lo, s9, v66, vcc_lo
	s_delay_alu instid0(VALU_DEP_3) | instskip(SKIP_3) | instid1(VALU_DEP_4)
	v_lshlrev_b64 v[69:70], 3, v[13:14]
	v_add_co_u32 v67, vcc_lo, s10, v67
	v_add_co_ci_u32_e32 v68, vcc_lo, s11, v68, vcc_lo
	v_subrev_nc_u32_e32 v13, 20, v12
	v_add_co_u32 v69, vcc_lo, s8, v69
	v_add_co_ci_u32_e32 v70, vcc_lo, s9, v70, vcc_lo
	global_load_b64 v[65:66], v[65:66], off
	global_load_b64 v[67:68], v[67:68], off
	;; [unrolled: 1-line block ×3, first 2 shown]
	v_lshlrev_b64 v[71:72], 3, v[13:14]
	v_add_nc_u32_e32 v13, 9, v22
	s_waitcnt vmcnt(23)
	v_fma_f64 v[7:8], v[18:19], v[23:24], v[8:9]
	v_fma_f64 v[9:10], v[15:16], v[23:24], v[10:11]
	s_delay_alu instid0(VALU_DEP_3) | instskip(SKIP_3) | instid1(VALU_DEP_3)
	v_lshlrev_b64 v[15:16], 3, v[13:14]
	v_add_nc_u32_e32 v13, -5, v12
	v_add_co_u32 v18, vcc_lo, s8, v71
	v_add_co_ci_u32_e32 v19, vcc_lo, s9, v72, vcc_lo
	v_lshlrev_b64 v[23:24], 3, v[13:14]
	v_add_co_u32 v15, vcc_lo, s10, v15
	v_add_co_ci_u32_e32 v16, vcc_lo, s11, v16, vcc_lo
	v_subrev_nc_u32_e32 v13, 19, v12
	s_delay_alu instid0(VALU_DEP_4)
	v_add_co_u32 v23, vcc_lo, s8, v23
	v_add_co_ci_u32_e32 v24, vcc_lo, s9, v24, vcc_lo
	global_load_b64 v[18:19], v[18:19], off
	global_load_b64 v[15:16], v[15:16], off
	;; [unrolled: 1-line block ×3, first 2 shown]
	v_lshlrev_b64 v[71:72], 3, v[13:14]
	v_add_nc_u32_e32 v13, 10, v22
	s_waitcnt vmcnt(25)
	v_fma_f64 v[7:8], v[20:21], v[25:26], v[7:8]
	s_waitcnt vmcnt(24)
	v_fma_f64 v[9:10], v[27:28], v[25:26], v[9:10]
	v_lshlrev_b64 v[20:21], 3, v[13:14]
	v_add_nc_u32_e32 v13, -4, v12
	v_add_co_u32 v25, vcc_lo, s8, v71
	v_add_co_ci_u32_e32 v26, vcc_lo, s9, v72, vcc_lo
	s_delay_alu instid0(VALU_DEP_3) | instskip(SKIP_3) | instid1(VALU_DEP_4)
	v_lshlrev_b64 v[27:28], 3, v[13:14]
	v_add_co_u32 v20, vcc_lo, s10, v20
	v_add_co_ci_u32_e32 v21, vcc_lo, s11, v21, vcc_lo
	v_subrev_nc_u32_e32 v13, 18, v12
	v_add_co_u32 v27, vcc_lo, s8, v27
	v_add_co_ci_u32_e32 v28, vcc_lo, s9, v28, vcc_lo
	global_load_b64 v[25:26], v[25:26], off
	global_load_b64 v[20:21], v[20:21], off
	;; [unrolled: 1-line block ×3, first 2 shown]
	v_lshlrev_b64 v[71:72], 3, v[13:14]
	v_add_nc_u32_e32 v13, 11, v22
	s_waitcnt vmcnt(25)
	v_fma_f64 v[7:8], v[29:30], v[31:32], v[7:8]
	s_waitcnt vmcnt(24)
	v_fma_f64 v[9:10], v[33:34], v[31:32], v[9:10]
	v_lshlrev_b64 v[29:30], 3, v[13:14]
	v_add_nc_u32_e32 v13, -3, v12
	v_add_co_u32 v31, vcc_lo, s8, v71
	v_add_co_ci_u32_e32 v32, vcc_lo, s9, v72, vcc_lo
	s_delay_alu instid0(VALU_DEP_3) | instskip(SKIP_3) | instid1(VALU_DEP_4)
	v_lshlrev_b64 v[33:34], 3, v[13:14]
	v_add_co_u32 v29, vcc_lo, s10, v29
	v_add_co_ci_u32_e32 v30, vcc_lo, s11, v30, vcc_lo
	v_subrev_nc_u32_e32 v13, 17, v12
	v_add_co_u32 v33, vcc_lo, s8, v33
	v_add_co_ci_u32_e32 v34, vcc_lo, s9, v34, vcc_lo
	global_load_b64 v[31:32], v[31:32], off
	global_load_b64 v[29:30], v[29:30], off
	;; [unrolled: 1-line block ×3, first 2 shown]
	v_lshlrev_b64 v[71:72], 3, v[13:14]
	v_add_nc_u32_e32 v13, 12, v22
	s_waitcnt vmcnt(25)
	v_fma_f64 v[7:8], v[35:36], v[37:38], v[7:8]
	s_waitcnt vmcnt(24)
	v_fma_f64 v[9:10], v[39:40], v[37:38], v[9:10]
	v_lshlrev_b64 v[35:36], 3, v[13:14]
	v_add_nc_u32_e32 v13, -2, v12
	v_add_co_u32 v37, vcc_lo, s8, v71
	v_add_co_ci_u32_e32 v38, vcc_lo, s9, v72, vcc_lo
	s_delay_alu instid0(VALU_DEP_3) | instskip(SKIP_3) | instid1(VALU_DEP_4)
	v_lshlrev_b64 v[39:40], 3, v[13:14]
	v_add_co_u32 v35, vcc_lo, s10, v35
	v_add_co_ci_u32_e32 v36, vcc_lo, s11, v36, vcc_lo
	v_add_nc_u32_e32 v13, -16, v12
	v_add_co_u32 v39, vcc_lo, s8, v39
	v_add_co_ci_u32_e32 v40, vcc_lo, s9, v40, vcc_lo
	global_load_b64 v[37:38], v[37:38], off
	global_load_b64 v[35:36], v[35:36], off
	;; [unrolled: 1-line block ×3, first 2 shown]
	v_lshlrev_b64 v[71:72], 3, v[13:14]
	v_add_nc_u32_e32 v13, 13, v22
	s_waitcnt vmcnt(25)
	v_fma_f64 v[7:8], v[41:42], v[43:44], v[7:8]
	s_waitcnt vmcnt(24)
	v_fma_f64 v[9:10], v[45:46], v[43:44], v[9:10]
	v_lshlrev_b64 v[41:42], 3, v[13:14]
	v_add_nc_u32_e32 v13, -1, v12
	v_add_co_u32 v43, vcc_lo, s8, v71
	v_add_co_ci_u32_e32 v44, vcc_lo, s9, v72, vcc_lo
	s_delay_alu instid0(VALU_DEP_3) | instskip(SKIP_3) | instid1(VALU_DEP_4)
	v_lshlrev_b64 v[45:46], 3, v[13:14]
	v_add_co_u32 v41, vcc_lo, s10, v41
	v_add_co_ci_u32_e32 v42, vcc_lo, s11, v42, vcc_lo
	v_mov_b32_e32 v13, v14
	v_add_co_u32 v45, vcc_lo, s8, v45
	v_add_co_ci_u32_e32 v46, vcc_lo, s9, v46, vcc_lo
	global_load_b64 v[43:44], v[43:44], off
	global_load_b64 v[41:42], v[41:42], off
	;; [unrolled: 1-line block ×3, first 2 shown]
	v_lshlrev_b64 v[71:72], 3, v[12:13]
	v_add_nc_u32_e32 v13, -15, v12
	v_add_nc_u32_e32 v12, 0x3c0, v12
	s_delay_alu instid0(VALU_DEP_3) | instskip(NEXT) | instid1(VALU_DEP_4)
	v_add_co_u32 v71, vcc_lo, s8, v71
	v_add_co_ci_u32_e32 v72, vcc_lo, s9, v72, vcc_lo
	s_waitcnt vmcnt(25)
	v_fma_f64 v[7:8], v[47:48], v[49:50], v[7:8]
	s_waitcnt vmcnt(24)
	v_fma_f64 v[9:10], v[51:52], v[49:50], v[9:10]
	v_lshlrev_b64 v[47:48], 3, v[13:14]
	v_add_nc_u32_e32 v13, 14, v22
	s_delay_alu instid0(VALU_DEP_1) | instskip(NEXT) | instid1(VALU_DEP_3)
	v_lshlrev_b64 v[49:50], 3, v[13:14]
	v_add_co_u32 v47, vcc_lo, s8, v47
	s_delay_alu instid0(VALU_DEP_4) | instskip(NEXT) | instid1(VALU_DEP_3)
	v_add_co_ci_u32_e32 v48, vcc_lo, s9, v48, vcc_lo
	v_add_co_u32 v49, vcc_lo, s10, v49
	s_delay_alu instid0(VALU_DEP_4)
	v_add_co_ci_u32_e32 v50, vcc_lo, s11, v50, vcc_lo
	s_clause 0x1
	global_load_b64 v[51:52], v[71:72], off
	global_load_b64 v[47:48], v[47:48], off
	;; [unrolled: 1-line block ×3, first 2 shown]
	v_cmp_ge_i32_e32 vcc_lo, v6, v17
	s_or_b32 s2, vcc_lo, s2
	s_waitcnt vmcnt(25)
	v_fma_f64 v[7:8], v[53:54], v[55:56], v[7:8]
	s_waitcnt vmcnt(24)
	v_fma_f64 v[9:10], v[57:58], v[55:56], v[9:10]
	s_waitcnt vmcnt(22)
	s_delay_alu instid0(VALU_DEP_2) | instskip(SKIP_1) | instid1(VALU_DEP_2)
	v_fma_f64 v[7:8], v[59:60], v[61:62], v[7:8]
	s_waitcnt vmcnt(21)
	v_fma_f64 v[9:10], v[63:64], v[61:62], v[9:10]
	s_waitcnt vmcnt(19)
	s_delay_alu instid0(VALU_DEP_2) | instskip(SKIP_1) | instid1(VALU_DEP_2)
	;; [unrolled: 5-line block ×7, first 2 shown]
	v_fma_f64 v[7:8], v[43:44], v[41:42], v[7:8]
	s_waitcnt vmcnt(3)
	v_fma_f64 v[10:11], v[45:46], v[41:42], v[9:10]
	s_waitcnt vmcnt(0)
	s_delay_alu instid0(VALU_DEP_2) | instskip(NEXT) | instid1(VALU_DEP_2)
	v_fma_f64 v[8:9], v[47:48], v[49:50], v[7:8]
	v_fma_f64 v[10:11], v[51:52], v[49:50], v[10:11]
	s_and_not1_b32 exec_lo, exec_lo, s2
	s_cbranch_execnz .LBB144_15
; %bb.16:
	s_or_b32 exec_lo, exec_lo, s2
.LBB144_17:
	s_delay_alu instid0(SALU_CYCLE_1)
	s_or_b32 exec_lo, exec_lo, s3
.LBB144_18:
	v_mbcnt_lo_u32_b32 v14, -1, 0
	s_delay_alu instid0(VALU_DEP_1) | instskip(NEXT) | instid1(VALU_DEP_1)
	v_xor_b32_e32 v6, 16, v14
	v_cmp_gt_i32_e32 vcc_lo, 32, v6
	v_cndmask_b32_e32 v6, v14, v6, vcc_lo
	s_delay_alu instid0(VALU_DEP_1)
	v_lshlrev_b32_e32 v13, 2, v6
	ds_bpermute_b32 v6, v13, v8
	ds_bpermute_b32 v7, v13, v9
	;; [unrolled: 1-line block ×4, first 2 shown]
	s_waitcnt lgkmcnt(2)
	v_add_f64 v[6:7], v[8:9], v[6:7]
	s_waitcnt lgkmcnt(0)
	v_add_f64 v[8:9], v[10:11], v[12:13]
	v_xor_b32_e32 v10, 8, v14
	s_delay_alu instid0(VALU_DEP_1) | instskip(SKIP_1) | instid1(VALU_DEP_1)
	v_cmp_gt_i32_e32 vcc_lo, 32, v10
	v_cndmask_b32_e32 v10, v14, v10, vcc_lo
	v_lshlrev_b32_e32 v13, 2, v10
	ds_bpermute_b32 v10, v13, v6
	ds_bpermute_b32 v11, v13, v7
	;; [unrolled: 1-line block ×4, first 2 shown]
	s_waitcnt lgkmcnt(2)
	v_add_f64 v[6:7], v[6:7], v[10:11]
	v_xor_b32_e32 v10, 4, v14
	s_waitcnt lgkmcnt(0)
	v_add_f64 v[8:9], v[8:9], v[12:13]
	s_delay_alu instid0(VALU_DEP_2) | instskip(SKIP_1) | instid1(VALU_DEP_1)
	v_cmp_gt_i32_e32 vcc_lo, 32, v10
	v_cndmask_b32_e32 v10, v14, v10, vcc_lo
	v_lshlrev_b32_e32 v13, 2, v10
	ds_bpermute_b32 v10, v13, v6
	ds_bpermute_b32 v11, v13, v7
	;; [unrolled: 1-line block ×4, first 2 shown]
	s_waitcnt lgkmcnt(2)
	v_add_f64 v[6:7], v[6:7], v[10:11]
	v_xor_b32_e32 v10, 2, v14
	s_waitcnt lgkmcnt(0)
	v_add_f64 v[8:9], v[8:9], v[12:13]
	s_delay_alu instid0(VALU_DEP_2) | instskip(SKIP_1) | instid1(VALU_DEP_1)
	v_cmp_gt_i32_e32 vcc_lo, 32, v10
	v_cndmask_b32_e32 v10, v14, v10, vcc_lo
	v_lshlrev_b32_e32 v13, 2, v10
	ds_bpermute_b32 v10, v13, v6
	ds_bpermute_b32 v11, v13, v7
	;; [unrolled: 1-line block ×4, first 2 shown]
	s_waitcnt lgkmcnt(2)
	v_add_f64 v[6:7], v[6:7], v[10:11]
	s_waitcnt lgkmcnt(0)
	v_add_f64 v[10:11], v[8:9], v[12:13]
	v_xor_b32_e32 v8, 1, v14
	s_delay_alu instid0(VALU_DEP_1) | instskip(SKIP_2) | instid1(VALU_DEP_2)
	v_cmp_gt_i32_e32 vcc_lo, 32, v8
	v_cndmask_b32_e32 v8, v14, v8, vcc_lo
	v_cmp_eq_u32_e32 vcc_lo, 31, v0
	v_lshlrev_b32_e32 v13, 2, v8
	ds_bpermute_b32 v8, v13, v6
	ds_bpermute_b32 v9, v13, v7
	;; [unrolled: 1-line block ×4, first 2 shown]
	s_and_b32 exec_lo, exec_lo, vcc_lo
	s_cbranch_execz .LBB144_23
; %bb.19:
	s_waitcnt lgkmcnt(2)
	v_add_f64 v[8:9], v[6:7], v[8:9]
	s_waitcnt lgkmcnt(0)
	v_add_f64 v[6:7], v[10:11], v[12:13]
	s_load_b64 s[0:1], s[0:1], 0x38
	s_mov_b32 s2, exec_lo
	v_cmpx_eq_f64_e32 0, v[3:4]
	s_xor_b32 s2, exec_lo, s2
	s_cbranch_execz .LBB144_21
; %bb.20:
	s_delay_alu instid0(VALU_DEP_3) | instskip(NEXT) | instid1(VALU_DEP_3)
	v_mul_f64 v[8:9], v[1:2], v[8:9]
	v_mul_f64 v[10:11], v[1:2], v[6:7]
	v_lshlrev_b32_e32 v0, 1, v5
                                        ; implicit-def: $vgpr5
                                        ; implicit-def: $vgpr3_vgpr4
                                        ; implicit-def: $vgpr6_vgpr7
	s_delay_alu instid0(VALU_DEP_1) | instskip(NEXT) | instid1(VALU_DEP_1)
	v_ashrrev_i32_e32 v1, 31, v0
	v_lshlrev_b64 v[0:1], 3, v[0:1]
	s_waitcnt lgkmcnt(0)
	s_delay_alu instid0(VALU_DEP_1) | instskip(NEXT) | instid1(VALU_DEP_2)
	v_add_co_u32 v0, vcc_lo, s0, v0
	v_add_co_ci_u32_e32 v1, vcc_lo, s1, v1, vcc_lo
	global_store_b128 v[0:1], v[8:11], off
                                        ; implicit-def: $vgpr1_vgpr2
                                        ; implicit-def: $vgpr8_vgpr9
.LBB144_21:
	s_and_not1_saveexec_b32 s2, s2
	s_cbranch_execz .LBB144_23
; %bb.22:
	v_lshlrev_b32_e32 v10, 1, v5
	s_delay_alu instid0(VALU_DEP_4) | instskip(NEXT) | instid1(VALU_DEP_4)
	v_mul_f64 v[8:9], v[1:2], v[8:9]
	v_mul_f64 v[5:6], v[1:2], v[6:7]
	s_delay_alu instid0(VALU_DEP_3) | instskip(NEXT) | instid1(VALU_DEP_1)
	v_ashrrev_i32_e32 v11, 31, v10
	v_lshlrev_b64 v[10:11], 3, v[10:11]
	s_waitcnt lgkmcnt(0)
	s_delay_alu instid0(VALU_DEP_1) | instskip(NEXT) | instid1(VALU_DEP_2)
	v_add_co_u32 v14, vcc_lo, s0, v10
	v_add_co_ci_u32_e32 v15, vcc_lo, s1, v11, vcc_lo
	global_load_b128 v[10:13], v[14:15], off
	s_waitcnt vmcnt(0)
	v_fma_f64 v[0:1], v[3:4], v[10:11], v[8:9]
	v_fma_f64 v[2:3], v[3:4], v[12:13], v[5:6]
	global_store_b128 v[14:15], v[0:3], off
.LBB144_23:
	s_nop 0
	s_sendmsg sendmsg(MSG_DEALLOC_VGPRS)
	s_endpgm
	.section	.rodata,"a",@progbits
	.p2align	6, 0x0
	.amdhsa_kernel _ZN9rocsparseL19gebsrmvn_2xn_kernelILj128ELj15ELj32EdEEvi20rocsparse_direction_NS_24const_host_device_scalarIT2_EEPKiS6_PKS3_S8_S4_PS3_21rocsparse_index_base_b
		.amdhsa_group_segment_fixed_size 0
		.amdhsa_private_segment_fixed_size 0
		.amdhsa_kernarg_size 72
		.amdhsa_user_sgpr_count 15
		.amdhsa_user_sgpr_dispatch_ptr 0
		.amdhsa_user_sgpr_queue_ptr 0
		.amdhsa_user_sgpr_kernarg_segment_ptr 1
		.amdhsa_user_sgpr_dispatch_id 0
		.amdhsa_user_sgpr_private_segment_size 0
		.amdhsa_wavefront_size32 1
		.amdhsa_uses_dynamic_stack 0
		.amdhsa_enable_private_segment 0
		.amdhsa_system_sgpr_workgroup_id_x 1
		.amdhsa_system_sgpr_workgroup_id_y 0
		.amdhsa_system_sgpr_workgroup_id_z 0
		.amdhsa_system_sgpr_workgroup_info 0
		.amdhsa_system_vgpr_workitem_id 0
		.amdhsa_next_free_vgpr 73
		.amdhsa_next_free_sgpr 16
		.amdhsa_reserve_vcc 1
		.amdhsa_float_round_mode_32 0
		.amdhsa_float_round_mode_16_64 0
		.amdhsa_float_denorm_mode_32 3
		.amdhsa_float_denorm_mode_16_64 3
		.amdhsa_dx10_clamp 1
		.amdhsa_ieee_mode 1
		.amdhsa_fp16_overflow 0
		.amdhsa_workgroup_processor_mode 1
		.amdhsa_memory_ordered 1
		.amdhsa_forward_progress 0
		.amdhsa_shared_vgpr_count 0
		.amdhsa_exception_fp_ieee_invalid_op 0
		.amdhsa_exception_fp_denorm_src 0
		.amdhsa_exception_fp_ieee_div_zero 0
		.amdhsa_exception_fp_ieee_overflow 0
		.amdhsa_exception_fp_ieee_underflow 0
		.amdhsa_exception_fp_ieee_inexact 0
		.amdhsa_exception_int_div_zero 0
	.end_amdhsa_kernel
	.section	.text._ZN9rocsparseL19gebsrmvn_2xn_kernelILj128ELj15ELj32EdEEvi20rocsparse_direction_NS_24const_host_device_scalarIT2_EEPKiS6_PKS3_S8_S4_PS3_21rocsparse_index_base_b,"axG",@progbits,_ZN9rocsparseL19gebsrmvn_2xn_kernelILj128ELj15ELj32EdEEvi20rocsparse_direction_NS_24const_host_device_scalarIT2_EEPKiS6_PKS3_S8_S4_PS3_21rocsparse_index_base_b,comdat
.Lfunc_end144:
	.size	_ZN9rocsparseL19gebsrmvn_2xn_kernelILj128ELj15ELj32EdEEvi20rocsparse_direction_NS_24const_host_device_scalarIT2_EEPKiS6_PKS3_S8_S4_PS3_21rocsparse_index_base_b, .Lfunc_end144-_ZN9rocsparseL19gebsrmvn_2xn_kernelILj128ELj15ELj32EdEEvi20rocsparse_direction_NS_24const_host_device_scalarIT2_EEPKiS6_PKS3_S8_S4_PS3_21rocsparse_index_base_b
                                        ; -- End function
	.section	.AMDGPU.csdata,"",@progbits
; Kernel info:
; codeLenInByte = 4568
; NumSgprs: 18
; NumVgprs: 73
; ScratchSize: 0
; MemoryBound: 0
; FloatMode: 240
; IeeeMode: 1
; LDSByteSize: 0 bytes/workgroup (compile time only)
; SGPRBlocks: 2
; VGPRBlocks: 9
; NumSGPRsForWavesPerEU: 18
; NumVGPRsForWavesPerEU: 73
; Occupancy: 16
; WaveLimiterHint : 1
; COMPUTE_PGM_RSRC2:SCRATCH_EN: 0
; COMPUTE_PGM_RSRC2:USER_SGPR: 15
; COMPUTE_PGM_RSRC2:TRAP_HANDLER: 0
; COMPUTE_PGM_RSRC2:TGID_X_EN: 1
; COMPUTE_PGM_RSRC2:TGID_Y_EN: 0
; COMPUTE_PGM_RSRC2:TGID_Z_EN: 0
; COMPUTE_PGM_RSRC2:TIDIG_COMP_CNT: 0
	.section	.text._ZN9rocsparseL19gebsrmvn_2xn_kernelILj128ELj15ELj64EdEEvi20rocsparse_direction_NS_24const_host_device_scalarIT2_EEPKiS6_PKS3_S8_S4_PS3_21rocsparse_index_base_b,"axG",@progbits,_ZN9rocsparseL19gebsrmvn_2xn_kernelILj128ELj15ELj64EdEEvi20rocsparse_direction_NS_24const_host_device_scalarIT2_EEPKiS6_PKS3_S8_S4_PS3_21rocsparse_index_base_b,comdat
	.globl	_ZN9rocsparseL19gebsrmvn_2xn_kernelILj128ELj15ELj64EdEEvi20rocsparse_direction_NS_24const_host_device_scalarIT2_EEPKiS6_PKS3_S8_S4_PS3_21rocsparse_index_base_b ; -- Begin function _ZN9rocsparseL19gebsrmvn_2xn_kernelILj128ELj15ELj64EdEEvi20rocsparse_direction_NS_24const_host_device_scalarIT2_EEPKiS6_PKS3_S8_S4_PS3_21rocsparse_index_base_b
	.p2align	8
	.type	_ZN9rocsparseL19gebsrmvn_2xn_kernelILj128ELj15ELj64EdEEvi20rocsparse_direction_NS_24const_host_device_scalarIT2_EEPKiS6_PKS3_S8_S4_PS3_21rocsparse_index_base_b,@function
_ZN9rocsparseL19gebsrmvn_2xn_kernelILj128ELj15ELj64EdEEvi20rocsparse_direction_NS_24const_host_device_scalarIT2_EEPKiS6_PKS3_S8_S4_PS3_21rocsparse_index_base_b: ; @_ZN9rocsparseL19gebsrmvn_2xn_kernelILj128ELj15ELj64EdEEvi20rocsparse_direction_NS_24const_host_device_scalarIT2_EEPKiS6_PKS3_S8_S4_PS3_21rocsparse_index_base_b
; %bb.0:
	s_clause 0x2
	s_load_b64 s[12:13], s[0:1], 0x40
	s_load_b64 s[4:5], s[0:1], 0x8
	;; [unrolled: 1-line block ×3, first 2 shown]
	s_waitcnt lgkmcnt(0)
	s_bitcmp1_b32 s13, 0
	v_dual_mov_b32 v1, s4 :: v_dual_mov_b32 v2, s5
	s_cselect_b32 s6, -1, 0
	s_delay_alu instid0(SALU_CYCLE_1)
	s_and_b32 vcc_lo, exec_lo, s6
	s_xor_b32 s6, s6, -1
	s_cbranch_vccnz .LBB145_2
; %bb.1:
	v_dual_mov_b32 v1, s4 :: v_dual_mov_b32 v2, s5
	flat_load_b64 v[1:2], v[1:2]
.LBB145_2:
	v_dual_mov_b32 v4, s3 :: v_dual_mov_b32 v3, s2
	s_and_not1_b32 vcc_lo, exec_lo, s6
	s_cbranch_vccnz .LBB145_4
; %bb.3:
	v_dual_mov_b32 v4, s3 :: v_dual_mov_b32 v3, s2
	flat_load_b64 v[3:4], v[3:4]
.LBB145_4:
	s_waitcnt vmcnt(0) lgkmcnt(0)
	v_cmp_neq_f64_e32 vcc_lo, 0, v[1:2]
	v_cmp_neq_f64_e64 s2, 1.0, v[3:4]
	s_delay_alu instid0(VALU_DEP_1) | instskip(NEXT) | instid1(SALU_CYCLE_1)
	s_or_b32 s2, vcc_lo, s2
	s_and_saveexec_b32 s3, s2
	s_cbranch_execz .LBB145_23
; %bb.5:
	s_load_b64 s[2:3], s[0:1], 0x0
	v_lshrrev_b32_e32 v5, 6, v0
	s_delay_alu instid0(VALU_DEP_1) | instskip(SKIP_1) | instid1(VALU_DEP_1)
	v_lshl_or_b32 v5, s15, 1, v5
	s_waitcnt lgkmcnt(0)
	v_cmp_gt_i32_e32 vcc_lo, s2, v5
	s_and_b32 exec_lo, exec_lo, vcc_lo
	s_cbranch_execz .LBB145_23
; %bb.6:
	s_load_b256 s[4:11], s[0:1], 0x10
	v_ashrrev_i32_e32 v6, 31, v5
	v_and_b32_e32 v0, 63, v0
	s_cmp_lg_u32 s3, 0
	s_delay_alu instid0(VALU_DEP_2) | instskip(SKIP_1) | instid1(VALU_DEP_1)
	v_lshlrev_b64 v[6:7], 2, v[5:6]
	s_waitcnt lgkmcnt(0)
	v_add_co_u32 v6, vcc_lo, s4, v6
	s_delay_alu instid0(VALU_DEP_2) | instskip(SKIP_4) | instid1(VALU_DEP_2)
	v_add_co_ci_u32_e32 v7, vcc_lo, s5, v7, vcc_lo
	global_load_b64 v[6:7], v[6:7], off
	s_waitcnt vmcnt(0)
	v_subrev_nc_u32_e32 v6, s12, v6
	v_subrev_nc_u32_e32 v17, s12, v7
	v_add_nc_u32_e32 v6, v6, v0
	s_delay_alu instid0(VALU_DEP_1)
	v_cmp_lt_i32_e64 s2, v6, v17
	s_cbranch_scc0 .LBB145_12
; %bb.7:
	v_mov_b32_e32 v8, 0
	v_mov_b32_e32 v9, 0
	s_delay_alu instid0(VALU_DEP_1)
	v_dual_mov_b32 v11, v9 :: v_dual_mov_b32 v10, v8
	s_and_saveexec_b32 s3, s2
	s_cbranch_execz .LBB145_11
; %bb.8:
	v_dual_mov_b32 v8, 0 :: v_dual_mov_b32 v15, v6
	v_dual_mov_b32 v9, 0 :: v_dual_mov_b32 v14, 0
	v_mad_u64_u32 v[12:13], null, v6, 30, 28
	s_mov_b32 s4, 0
	s_delay_alu instid0(VALU_DEP_2)
	v_dual_mov_b32 v11, v9 :: v_dual_mov_b32 v10, v8
.LBB145_9:                              ; =>This Inner Loop Header: Depth=1
	v_ashrrev_i32_e32 v16, 31, v15
	s_delay_alu instid0(VALU_DEP_3) | instskip(SKIP_1) | instid1(VALU_DEP_3)
	v_subrev_nc_u32_e32 v13, 28, v12
	v_mov_b32_e32 v55, v14
	v_lshlrev_b64 v[18:19], 2, v[15:16]
	v_add_nc_u32_e32 v15, 64, v15
	s_delay_alu instid0(VALU_DEP_2) | instskip(NEXT) | instid1(VALU_DEP_3)
	v_add_co_u32 v18, vcc_lo, s6, v18
	v_add_co_ci_u32_e32 v19, vcc_lo, s7, v19, vcc_lo
	global_load_b32 v7, v[18:19], off
	v_lshlrev_b64 v[18:19], 3, v[13:14]
	v_subrev_nc_u32_e32 v13, 26, v12
	s_delay_alu instid0(VALU_DEP_2) | instskip(NEXT) | instid1(VALU_DEP_3)
	v_add_co_u32 v18, vcc_lo, s8, v18
	v_add_co_ci_u32_e32 v19, vcc_lo, s9, v19, vcc_lo
	global_load_b128 v[18:21], v[18:19], off
	s_waitcnt vmcnt(1)
	v_subrev_nc_u32_e32 v7, s12, v7
	s_delay_alu instid0(VALU_DEP_1) | instskip(NEXT) | instid1(VALU_DEP_1)
	v_mul_lo_u32 v54, v7, 15
	v_lshlrev_b64 v[22:23], 3, v[54:55]
	s_delay_alu instid0(VALU_DEP_1) | instskip(NEXT) | instid1(VALU_DEP_2)
	v_add_co_u32 v22, vcc_lo, s10, v22
	v_add_co_ci_u32_e32 v23, vcc_lo, s11, v23, vcc_lo
	global_load_b64 v[55:56], v[22:23], off
	v_lshlrev_b64 v[22:23], 3, v[13:14]
	v_add_nc_u32_e32 v13, 1, v54
	s_delay_alu instid0(VALU_DEP_1) | instskip(NEXT) | instid1(VALU_DEP_3)
	v_lshlrev_b64 v[26:27], 3, v[13:14]
	v_add_co_u32 v22, vcc_lo, s8, v22
	s_delay_alu instid0(VALU_DEP_4) | instskip(SKIP_1) | instid1(VALU_DEP_4)
	v_add_co_ci_u32_e32 v23, vcc_lo, s9, v23, vcc_lo
	v_subrev_nc_u32_e32 v13, 24, v12
	v_add_co_u32 v26, vcc_lo, s10, v26
	v_add_co_ci_u32_e32 v27, vcc_lo, s11, v27, vcc_lo
	global_load_b128 v[22:25], v[22:23], off
	global_load_b64 v[57:58], v[26:27], off
	v_lshlrev_b64 v[26:27], 3, v[13:14]
	v_add_nc_u32_e32 v13, 2, v54
	s_delay_alu instid0(VALU_DEP_1) | instskip(NEXT) | instid1(VALU_DEP_3)
	v_lshlrev_b64 v[28:29], 3, v[13:14]
	v_add_co_u32 v26, vcc_lo, s8, v26
	s_delay_alu instid0(VALU_DEP_4) | instskip(SKIP_1) | instid1(VALU_DEP_4)
	v_add_co_ci_u32_e32 v27, vcc_lo, s9, v27, vcc_lo
	v_subrev_nc_u32_e32 v13, 22, v12
	v_add_co_u32 v30, vcc_lo, s10, v28
	v_add_co_ci_u32_e32 v31, vcc_lo, s11, v29, vcc_lo
	global_load_b128 v[26:29], v[26:27], off
	;; [unrolled: 12-line block ×4, first 2 shown]
	global_load_b64 v[63:64], v[38:39], off
	v_lshlrev_b64 v[38:39], 3, v[13:14]
	v_add_nc_u32_e32 v13, 5, v54
	s_delay_alu instid0(VALU_DEP_1) | instskip(NEXT) | instid1(VALU_DEP_3)
	v_lshlrev_b64 v[40:41], 3, v[13:14]
	v_add_co_u32 v38, vcc_lo, s8, v38
	s_delay_alu instid0(VALU_DEP_4) | instskip(SKIP_1) | instid1(VALU_DEP_4)
	v_add_co_ci_u32_e32 v39, vcc_lo, s9, v39, vcc_lo
	v_add_nc_u32_e32 v13, -16, v12
	v_add_co_u32 v42, vcc_lo, s10, v40
	v_add_co_ci_u32_e32 v43, vcc_lo, s11, v41, vcc_lo
	global_load_b128 v[38:41], v[38:39], off
	global_load_b64 v[65:66], v[42:43], off
	v_lshlrev_b64 v[42:43], 3, v[13:14]
	v_add_nc_u32_e32 v13, 6, v54
	s_delay_alu instid0(VALU_DEP_1) | instskip(NEXT) | instid1(VALU_DEP_3)
	v_lshlrev_b64 v[44:45], 3, v[13:14]
	v_add_co_u32 v42, vcc_lo, s8, v42
	s_delay_alu instid0(VALU_DEP_4) | instskip(SKIP_1) | instid1(VALU_DEP_4)
	v_add_co_ci_u32_e32 v43, vcc_lo, s9, v43, vcc_lo
	v_add_nc_u32_e32 v13, -14, v12
	v_add_co_u32 v46, vcc_lo, s10, v44
	v_add_co_ci_u32_e32 v47, vcc_lo, s11, v45, vcc_lo
	global_load_b128 v[42:45], v[42:43], off
	;; [unrolled: 12-line block ×4, first 2 shown]
	global_load_b64 v[71:72], v[71:72], off
	s_waitcnt vmcnt(16)
	v_fma_f64 v[18:19], v[18:19], v[55:56], v[8:9]
	v_fma_f64 v[20:21], v[20:21], v[55:56], v[10:11]
	v_lshlrev_b64 v[7:8], 3, v[13:14]
	v_add_nc_u32_e32 v13, 9, v54
	s_delay_alu instid0(VALU_DEP_1) | instskip(NEXT) | instid1(VALU_DEP_3)
	v_lshlrev_b64 v[9:10], 3, v[13:14]
	v_add_co_u32 v7, vcc_lo, s8, v7
	s_delay_alu instid0(VALU_DEP_4) | instskip(SKIP_1) | instid1(VALU_DEP_4)
	v_add_co_ci_u32_e32 v8, vcc_lo, s9, v8, vcc_lo
	v_add_nc_u32_e32 v13, -8, v12
	v_add_co_u32 v55, vcc_lo, s10, v9
	v_add_co_ci_u32_e32 v56, vcc_lo, s11, v10, vcc_lo
	global_load_b128 v[7:10], v[7:8], off
	global_load_b64 v[55:56], v[55:56], off
	s_waitcnt vmcnt(16)
	v_fma_f64 v[22:23], v[22:23], v[57:58], v[18:19]
	v_fma_f64 v[24:25], v[24:25], v[57:58], v[20:21]
	v_lshlrev_b64 v[18:19], 3, v[13:14]
	v_add_nc_u32_e32 v13, 10, v54
	s_delay_alu instid0(VALU_DEP_1) | instskip(NEXT) | instid1(VALU_DEP_3)
	v_lshlrev_b64 v[20:21], 3, v[13:14]
	v_add_co_u32 v18, vcc_lo, s8, v18
	s_delay_alu instid0(VALU_DEP_4) | instskip(SKIP_1) | instid1(VALU_DEP_4)
	v_add_co_ci_u32_e32 v19, vcc_lo, s9, v19, vcc_lo
	v_add_nc_u32_e32 v13, -6, v12
	v_add_co_u32 v57, vcc_lo, s10, v20
	v_add_co_ci_u32_e32 v58, vcc_lo, s11, v21, vcc_lo
	global_load_b128 v[18:21], v[18:19], off
	global_load_b64 v[57:58], v[57:58], off
	s_waitcnt vmcnt(16)
	v_fma_f64 v[26:27], v[26:27], v[59:60], v[22:23]
	v_fma_f64 v[28:29], v[28:29], v[59:60], v[24:25]
	v_lshlrev_b64 v[22:23], 3, v[13:14]
	v_add_nc_u32_e32 v13, 11, v54
	s_delay_alu instid0(VALU_DEP_1) | instskip(NEXT) | instid1(VALU_DEP_3)
	v_lshlrev_b64 v[24:25], 3, v[13:14]
	v_add_co_u32 v22, vcc_lo, s8, v22
	s_delay_alu instid0(VALU_DEP_4) | instskip(SKIP_1) | instid1(VALU_DEP_4)
	v_add_co_ci_u32_e32 v23, vcc_lo, s9, v23, vcc_lo
	v_add_nc_u32_e32 v13, -4, v12
	v_add_co_u32 v59, vcc_lo, s10, v24
	v_add_co_ci_u32_e32 v60, vcc_lo, s11, v25, vcc_lo
	global_load_b128 v[22:25], v[22:23], off
	global_load_b64 v[59:60], v[59:60], off
	s_waitcnt vmcnt(16)
	v_fma_f64 v[30:31], v[30:31], v[61:62], v[26:27]
	v_fma_f64 v[32:33], v[32:33], v[61:62], v[28:29]
	v_lshlrev_b64 v[26:27], 3, v[13:14]
	v_add_nc_u32_e32 v13, 12, v54
	s_delay_alu instid0(VALU_DEP_1) | instskip(NEXT) | instid1(VALU_DEP_3)
	v_lshlrev_b64 v[28:29], 3, v[13:14]
	v_add_co_u32 v26, vcc_lo, s8, v26
	s_delay_alu instid0(VALU_DEP_4) | instskip(SKIP_1) | instid1(VALU_DEP_4)
	v_add_co_ci_u32_e32 v27, vcc_lo, s9, v27, vcc_lo
	v_add_nc_u32_e32 v13, -2, v12
	v_add_co_u32 v61, vcc_lo, s10, v28
	v_add_co_ci_u32_e32 v62, vcc_lo, s11, v29, vcc_lo
	global_load_b128 v[26:29], v[26:27], off
	global_load_b64 v[61:62], v[61:62], off
	s_waitcnt vmcnt(16)
	v_fma_f64 v[34:35], v[34:35], v[63:64], v[30:31]
	v_fma_f64 v[36:37], v[36:37], v[63:64], v[32:33]
	v_lshlrev_b64 v[30:31], 3, v[13:14]
	v_add_nc_u32_e32 v13, 13, v54
	s_delay_alu instid0(VALU_DEP_1) | instskip(NEXT) | instid1(VALU_DEP_3)
	v_lshlrev_b64 v[32:33], 3, v[13:14]
	v_add_co_u32 v30, vcc_lo, s8, v30
	s_delay_alu instid0(VALU_DEP_4) | instskip(SKIP_1) | instid1(VALU_DEP_4)
	v_add_co_ci_u32_e32 v31, vcc_lo, s9, v31, vcc_lo
	v_mov_b32_e32 v13, v14
	v_add_co_u32 v63, vcc_lo, s10, v32
	v_add_co_ci_u32_e32 v64, vcc_lo, s11, v33, vcc_lo
	global_load_b128 v[30:33], v[30:31], off
	global_load_b64 v[63:64], v[63:64], off
	s_waitcnt vmcnt(16)
	v_fma_f64 v[38:39], v[38:39], v[65:66], v[34:35]
	v_fma_f64 v[40:41], v[40:41], v[65:66], v[36:37]
	v_lshlrev_b64 v[34:35], 3, v[12:13]
	v_add_nc_u32_e32 v12, 0x780, v12
	v_add_nc_u32_e32 v13, 14, v54
	s_delay_alu instid0(VALU_DEP_3) | instskip(NEXT) | instid1(VALU_DEP_2)
	v_add_co_u32 v34, vcc_lo, s8, v34
	v_lshlrev_b64 v[36:37], 3, v[13:14]
	v_add_co_ci_u32_e32 v35, vcc_lo, s9, v35, vcc_lo
	s_delay_alu instid0(VALU_DEP_2) | instskip(NEXT) | instid1(VALU_DEP_3)
	v_add_co_u32 v65, vcc_lo, s10, v36
	v_add_co_ci_u32_e32 v66, vcc_lo, s11, v37, vcc_lo
	global_load_b128 v[34:37], v[34:35], off
	global_load_b64 v[65:66], v[65:66], off
	v_cmp_ge_i32_e32 vcc_lo, v15, v17
	s_or_b32 s4, vcc_lo, s4
	s_waitcnt vmcnt(16)
	v_fma_f64 v[38:39], v[42:43], v[67:68], v[38:39]
	v_fma_f64 v[40:41], v[44:45], v[67:68], v[40:41]
	s_waitcnt vmcnt(14)
	s_delay_alu instid0(VALU_DEP_2) | instskip(NEXT) | instid1(VALU_DEP_2)
	v_fma_f64 v[38:39], v[46:47], v[69:70], v[38:39]
	v_fma_f64 v[40:41], v[48:49], v[69:70], v[40:41]
	s_waitcnt vmcnt(12)
	s_delay_alu instid0(VALU_DEP_2) | instskip(NEXT) | instid1(VALU_DEP_2)
	;; [unrolled: 4-line block ×8, first 2 shown]
	v_fma_f64 v[8:9], v[34:35], v[65:66], v[7:8]
	v_fma_f64 v[10:11], v[36:37], v[65:66], v[10:11]
	s_and_not1_b32 exec_lo, exec_lo, s4
	s_cbranch_execnz .LBB145_9
; %bb.10:
	s_or_b32 exec_lo, exec_lo, s4
.LBB145_11:
	s_delay_alu instid0(SALU_CYCLE_1)
	s_or_b32 exec_lo, exec_lo, s3
	s_cbranch_execz .LBB145_13
	s_branch .LBB145_18
.LBB145_12:
                                        ; implicit-def: $vgpr8_vgpr9
                                        ; implicit-def: $vgpr10_vgpr11
.LBB145_13:
	v_mov_b32_e32 v8, 0
	v_mov_b32_e32 v9, 0
	s_delay_alu instid0(VALU_DEP_1)
	v_dual_mov_b32 v11, v9 :: v_dual_mov_b32 v10, v8
	s_and_saveexec_b32 s3, s2
	s_cbranch_execz .LBB145_17
; %bb.14:
	v_mov_b32_e32 v8, 0
	v_dual_mov_b32 v9, 0 :: v_dual_mov_b32 v14, 0
	v_mad_u64_u32 v[12:13], null, v6, 30, 29
	s_mov_b32 s2, 0
	s_delay_alu instid0(VALU_DEP_2)
	v_dual_mov_b32 v11, v9 :: v_dual_mov_b32 v10, v8
.LBB145_15:                             ; =>This Inner Loop Header: Depth=1
	v_ashrrev_i32_e32 v7, 31, v6
	s_delay_alu instid0(VALU_DEP_3) | instskip(SKIP_1) | instid1(VALU_DEP_3)
	v_subrev_nc_u32_e32 v13, 29, v12
	v_mov_b32_e32 v23, v14
	v_lshlrev_b64 v[15:16], 2, v[6:7]
	v_add_nc_u32_e32 v6, 64, v6
	s_delay_alu instid0(VALU_DEP_4) | instskip(NEXT) | instid1(VALU_DEP_3)
	v_lshlrev_b64 v[18:19], 3, v[13:14]
	v_add_co_u32 v15, vcc_lo, s6, v15
	s_delay_alu instid0(VALU_DEP_4) | instskip(NEXT) | instid1(VALU_DEP_3)
	v_add_co_ci_u32_e32 v16, vcc_lo, s7, v16, vcc_lo
	v_add_co_u32 v18, vcc_lo, s8, v18
	s_delay_alu instid0(VALU_DEP_4) | instskip(SKIP_2) | instid1(VALU_DEP_1)
	v_add_co_ci_u32_e32 v19, vcc_lo, s9, v19, vcc_lo
	global_load_b32 v7, v[15:16], off
	v_dual_mov_b32 v16, v14 :: v_dual_add_nc_u32 v15, -14, v12
	v_lshlrev_b64 v[15:16], 3, v[15:16]
	s_delay_alu instid0(VALU_DEP_1) | instskip(NEXT) | instid1(VALU_DEP_2)
	v_add_co_u32 v15, vcc_lo, s8, v15
	v_add_co_ci_u32_e32 v16, vcc_lo, s9, v16, vcc_lo
	s_clause 0x1
	global_load_b128 v[18:21], v[18:19], off
	global_load_b64 v[15:16], v[15:16], off
	s_waitcnt vmcnt(2)
	v_subrev_nc_u32_e32 v7, s12, v7
	s_delay_alu instid0(VALU_DEP_1) | instskip(NEXT) | instid1(VALU_DEP_1)
	v_mul_lo_u32 v22, v7, 15
	v_lshlrev_b64 v[23:24], 3, v[22:23]
	v_add_nc_u32_e32 v13, 1, v22
	s_delay_alu instid0(VALU_DEP_1) | instskip(NEXT) | instid1(VALU_DEP_3)
	v_lshlrev_b64 v[25:26], 3, v[13:14]
	v_add_co_u32 v23, vcc_lo, s10, v23
	s_delay_alu instid0(VALU_DEP_4) | instskip(SKIP_1) | instid1(VALU_DEP_4)
	v_add_co_ci_u32_e32 v24, vcc_lo, s11, v24, vcc_lo
	v_add_nc_u32_e32 v13, -13, v12
	v_add_co_u32 v25, vcc_lo, s10, v25
	global_load_b64 v[23:24], v[23:24], off
	v_add_co_ci_u32_e32 v26, vcc_lo, s11, v26, vcc_lo
	v_lshlrev_b64 v[27:28], 3, v[13:14]
	v_subrev_nc_u32_e32 v13, 27, v12
	s_delay_alu instid0(VALU_DEP_2) | instskip(NEXT) | instid1(VALU_DEP_3)
	v_add_co_u32 v27, vcc_lo, s8, v27
	v_add_co_ci_u32_e32 v28, vcc_lo, s9, v28, vcc_lo
	global_load_b64 v[25:26], v[25:26], off
	global_load_b64 v[27:28], v[27:28], off
	v_lshlrev_b64 v[29:30], 3, v[13:14]
	v_add_nc_u32_e32 v13, 2, v22
	s_delay_alu instid0(VALU_DEP_1) | instskip(SKIP_1) | instid1(VALU_DEP_4)
	v_lshlrev_b64 v[31:32], 3, v[13:14]
	v_add_nc_u32_e32 v13, -12, v12
	v_add_co_u32 v29, vcc_lo, s8, v29
	v_add_co_ci_u32_e32 v30, vcc_lo, s9, v30, vcc_lo
	s_delay_alu instid0(VALU_DEP_3)
	v_lshlrev_b64 v[33:34], 3, v[13:14]
	v_add_co_u32 v31, vcc_lo, s10, v31
	v_add_co_ci_u32_e32 v32, vcc_lo, s11, v32, vcc_lo
	global_load_b64 v[29:30], v[29:30], off
	v_add_co_u32 v33, vcc_lo, s8, v33
	v_add_co_ci_u32_e32 v34, vcc_lo, s9, v34, vcc_lo
	global_load_b64 v[31:32], v[31:32], off
	global_load_b64 v[33:34], v[33:34], off
	v_subrev_nc_u32_e32 v13, 26, v12
	s_delay_alu instid0(VALU_DEP_1) | instskip(SKIP_1) | instid1(VALU_DEP_1)
	v_lshlrev_b64 v[35:36], 3, v[13:14]
	v_add_nc_u32_e32 v13, 3, v22
	v_lshlrev_b64 v[37:38], 3, v[13:14]
	v_add_nc_u32_e32 v13, -11, v12
	s_delay_alu instid0(VALU_DEP_4) | instskip(SKIP_1) | instid1(VALU_DEP_3)
	v_add_co_u32 v35, vcc_lo, s8, v35
	v_add_co_ci_u32_e32 v36, vcc_lo, s9, v36, vcc_lo
	v_lshlrev_b64 v[39:40], 3, v[13:14]
	v_add_co_u32 v37, vcc_lo, s10, v37
	v_add_co_ci_u32_e32 v38, vcc_lo, s11, v38, vcc_lo
	global_load_b64 v[35:36], v[35:36], off
	v_add_co_u32 v39, vcc_lo, s8, v39
	v_add_co_ci_u32_e32 v40, vcc_lo, s9, v40, vcc_lo
	global_load_b64 v[37:38], v[37:38], off
	global_load_b64 v[39:40], v[39:40], off
	v_subrev_nc_u32_e32 v13, 25, v12
	s_delay_alu instid0(VALU_DEP_1) | instskip(SKIP_1) | instid1(VALU_DEP_1)
	v_lshlrev_b64 v[41:42], 3, v[13:14]
	v_add_nc_u32_e32 v13, 4, v22
	v_lshlrev_b64 v[43:44], 3, v[13:14]
	v_add_nc_u32_e32 v13, -10, v12
	s_delay_alu instid0(VALU_DEP_4) | instskip(SKIP_1) | instid1(VALU_DEP_3)
	v_add_co_u32 v41, vcc_lo, s8, v41
	v_add_co_ci_u32_e32 v42, vcc_lo, s9, v42, vcc_lo
	;; [unrolled: 17-line block ×4, first 2 shown]
	v_lshlrev_b64 v[57:58], 3, v[13:14]
	v_add_co_u32 v55, vcc_lo, s10, v55
	v_add_co_ci_u32_e32 v56, vcc_lo, s11, v56, vcc_lo
	v_subrev_nc_u32_e32 v13, 22, v12
	s_delay_alu instid0(VALU_DEP_4)
	v_add_co_u32 v57, vcc_lo, s8, v57
	v_add_co_ci_u32_e32 v58, vcc_lo, s9, v58, vcc_lo
	global_load_b64 v[53:54], v[53:54], off
	global_load_b64 v[55:56], v[55:56], off
	;; [unrolled: 1-line block ×3, first 2 shown]
	v_lshlrev_b64 v[59:60], 3, v[13:14]
	v_add_nc_u32_e32 v13, 7, v22
	s_delay_alu instid0(VALU_DEP_1) | instskip(SKIP_1) | instid1(VALU_DEP_4)
	v_lshlrev_b64 v[61:62], 3, v[13:14]
	v_add_nc_u32_e32 v13, -7, v12
	v_add_co_u32 v59, vcc_lo, s8, v59
	v_add_co_ci_u32_e32 v60, vcc_lo, s9, v60, vcc_lo
	s_delay_alu instid0(VALU_DEP_3) | instskip(SKIP_3) | instid1(VALU_DEP_4)
	v_lshlrev_b64 v[63:64], 3, v[13:14]
	v_add_co_u32 v61, vcc_lo, s10, v61
	v_add_co_ci_u32_e32 v62, vcc_lo, s11, v62, vcc_lo
	v_subrev_nc_u32_e32 v13, 21, v12
	v_add_co_u32 v63, vcc_lo, s8, v63
	v_add_co_ci_u32_e32 v64, vcc_lo, s9, v64, vcc_lo
	global_load_b64 v[59:60], v[59:60], off
	global_load_b64 v[61:62], v[61:62], off
	;; [unrolled: 1-line block ×3, first 2 shown]
	v_lshlrev_b64 v[65:66], 3, v[13:14]
	v_add_nc_u32_e32 v13, 8, v22
	s_delay_alu instid0(VALU_DEP_1) | instskip(SKIP_1) | instid1(VALU_DEP_4)
	v_lshlrev_b64 v[67:68], 3, v[13:14]
	v_add_nc_u32_e32 v13, -6, v12
	v_add_co_u32 v65, vcc_lo, s8, v65
	v_add_co_ci_u32_e32 v66, vcc_lo, s9, v66, vcc_lo
	s_delay_alu instid0(VALU_DEP_3) | instskip(SKIP_3) | instid1(VALU_DEP_4)
	v_lshlrev_b64 v[69:70], 3, v[13:14]
	v_add_co_u32 v67, vcc_lo, s10, v67
	v_add_co_ci_u32_e32 v68, vcc_lo, s11, v68, vcc_lo
	v_subrev_nc_u32_e32 v13, 20, v12
	v_add_co_u32 v69, vcc_lo, s8, v69
	v_add_co_ci_u32_e32 v70, vcc_lo, s9, v70, vcc_lo
	global_load_b64 v[65:66], v[65:66], off
	global_load_b64 v[67:68], v[67:68], off
	;; [unrolled: 1-line block ×3, first 2 shown]
	v_lshlrev_b64 v[71:72], 3, v[13:14]
	v_add_nc_u32_e32 v13, 9, v22
	s_waitcnt vmcnt(23)
	v_fma_f64 v[7:8], v[18:19], v[23:24], v[8:9]
	v_fma_f64 v[9:10], v[15:16], v[23:24], v[10:11]
	s_delay_alu instid0(VALU_DEP_3) | instskip(SKIP_3) | instid1(VALU_DEP_3)
	v_lshlrev_b64 v[15:16], 3, v[13:14]
	v_add_nc_u32_e32 v13, -5, v12
	v_add_co_u32 v18, vcc_lo, s8, v71
	v_add_co_ci_u32_e32 v19, vcc_lo, s9, v72, vcc_lo
	v_lshlrev_b64 v[23:24], 3, v[13:14]
	v_add_co_u32 v15, vcc_lo, s10, v15
	v_add_co_ci_u32_e32 v16, vcc_lo, s11, v16, vcc_lo
	v_subrev_nc_u32_e32 v13, 19, v12
	s_delay_alu instid0(VALU_DEP_4)
	v_add_co_u32 v23, vcc_lo, s8, v23
	v_add_co_ci_u32_e32 v24, vcc_lo, s9, v24, vcc_lo
	global_load_b64 v[18:19], v[18:19], off
	global_load_b64 v[15:16], v[15:16], off
	;; [unrolled: 1-line block ×3, first 2 shown]
	v_lshlrev_b64 v[71:72], 3, v[13:14]
	v_add_nc_u32_e32 v13, 10, v22
	s_waitcnt vmcnt(25)
	v_fma_f64 v[7:8], v[20:21], v[25:26], v[7:8]
	s_waitcnt vmcnt(24)
	v_fma_f64 v[9:10], v[27:28], v[25:26], v[9:10]
	v_lshlrev_b64 v[20:21], 3, v[13:14]
	v_add_nc_u32_e32 v13, -4, v12
	v_add_co_u32 v25, vcc_lo, s8, v71
	v_add_co_ci_u32_e32 v26, vcc_lo, s9, v72, vcc_lo
	s_delay_alu instid0(VALU_DEP_3) | instskip(SKIP_3) | instid1(VALU_DEP_4)
	v_lshlrev_b64 v[27:28], 3, v[13:14]
	v_add_co_u32 v20, vcc_lo, s10, v20
	v_add_co_ci_u32_e32 v21, vcc_lo, s11, v21, vcc_lo
	v_subrev_nc_u32_e32 v13, 18, v12
	v_add_co_u32 v27, vcc_lo, s8, v27
	v_add_co_ci_u32_e32 v28, vcc_lo, s9, v28, vcc_lo
	global_load_b64 v[25:26], v[25:26], off
	global_load_b64 v[20:21], v[20:21], off
	;; [unrolled: 1-line block ×3, first 2 shown]
	v_lshlrev_b64 v[71:72], 3, v[13:14]
	v_add_nc_u32_e32 v13, 11, v22
	s_waitcnt vmcnt(25)
	v_fma_f64 v[7:8], v[29:30], v[31:32], v[7:8]
	s_waitcnt vmcnt(24)
	v_fma_f64 v[9:10], v[33:34], v[31:32], v[9:10]
	v_lshlrev_b64 v[29:30], 3, v[13:14]
	v_add_nc_u32_e32 v13, -3, v12
	v_add_co_u32 v31, vcc_lo, s8, v71
	v_add_co_ci_u32_e32 v32, vcc_lo, s9, v72, vcc_lo
	s_delay_alu instid0(VALU_DEP_3) | instskip(SKIP_3) | instid1(VALU_DEP_4)
	v_lshlrev_b64 v[33:34], 3, v[13:14]
	v_add_co_u32 v29, vcc_lo, s10, v29
	v_add_co_ci_u32_e32 v30, vcc_lo, s11, v30, vcc_lo
	v_subrev_nc_u32_e32 v13, 17, v12
	v_add_co_u32 v33, vcc_lo, s8, v33
	v_add_co_ci_u32_e32 v34, vcc_lo, s9, v34, vcc_lo
	global_load_b64 v[31:32], v[31:32], off
	global_load_b64 v[29:30], v[29:30], off
	;; [unrolled: 1-line block ×3, first 2 shown]
	v_lshlrev_b64 v[71:72], 3, v[13:14]
	v_add_nc_u32_e32 v13, 12, v22
	s_waitcnt vmcnt(25)
	v_fma_f64 v[7:8], v[35:36], v[37:38], v[7:8]
	s_waitcnt vmcnt(24)
	v_fma_f64 v[9:10], v[39:40], v[37:38], v[9:10]
	v_lshlrev_b64 v[35:36], 3, v[13:14]
	v_add_nc_u32_e32 v13, -2, v12
	v_add_co_u32 v37, vcc_lo, s8, v71
	v_add_co_ci_u32_e32 v38, vcc_lo, s9, v72, vcc_lo
	s_delay_alu instid0(VALU_DEP_3) | instskip(SKIP_3) | instid1(VALU_DEP_4)
	v_lshlrev_b64 v[39:40], 3, v[13:14]
	v_add_co_u32 v35, vcc_lo, s10, v35
	v_add_co_ci_u32_e32 v36, vcc_lo, s11, v36, vcc_lo
	v_add_nc_u32_e32 v13, -16, v12
	v_add_co_u32 v39, vcc_lo, s8, v39
	v_add_co_ci_u32_e32 v40, vcc_lo, s9, v40, vcc_lo
	global_load_b64 v[37:38], v[37:38], off
	global_load_b64 v[35:36], v[35:36], off
	;; [unrolled: 1-line block ×3, first 2 shown]
	v_lshlrev_b64 v[71:72], 3, v[13:14]
	v_add_nc_u32_e32 v13, 13, v22
	s_waitcnt vmcnt(25)
	v_fma_f64 v[7:8], v[41:42], v[43:44], v[7:8]
	s_waitcnt vmcnt(24)
	v_fma_f64 v[9:10], v[45:46], v[43:44], v[9:10]
	v_lshlrev_b64 v[41:42], 3, v[13:14]
	v_add_nc_u32_e32 v13, -1, v12
	v_add_co_u32 v43, vcc_lo, s8, v71
	v_add_co_ci_u32_e32 v44, vcc_lo, s9, v72, vcc_lo
	s_delay_alu instid0(VALU_DEP_3) | instskip(SKIP_3) | instid1(VALU_DEP_4)
	v_lshlrev_b64 v[45:46], 3, v[13:14]
	v_add_co_u32 v41, vcc_lo, s10, v41
	v_add_co_ci_u32_e32 v42, vcc_lo, s11, v42, vcc_lo
	v_mov_b32_e32 v13, v14
	v_add_co_u32 v45, vcc_lo, s8, v45
	v_add_co_ci_u32_e32 v46, vcc_lo, s9, v46, vcc_lo
	global_load_b64 v[43:44], v[43:44], off
	global_load_b64 v[41:42], v[41:42], off
	;; [unrolled: 1-line block ×3, first 2 shown]
	v_lshlrev_b64 v[71:72], 3, v[12:13]
	v_add_nc_u32_e32 v13, -15, v12
	v_add_nc_u32_e32 v12, 0x780, v12
	s_delay_alu instid0(VALU_DEP_3) | instskip(NEXT) | instid1(VALU_DEP_4)
	v_add_co_u32 v71, vcc_lo, s8, v71
	v_add_co_ci_u32_e32 v72, vcc_lo, s9, v72, vcc_lo
	s_waitcnt vmcnt(25)
	v_fma_f64 v[7:8], v[47:48], v[49:50], v[7:8]
	s_waitcnt vmcnt(24)
	v_fma_f64 v[9:10], v[51:52], v[49:50], v[9:10]
	v_lshlrev_b64 v[47:48], 3, v[13:14]
	v_add_nc_u32_e32 v13, 14, v22
	s_delay_alu instid0(VALU_DEP_1) | instskip(NEXT) | instid1(VALU_DEP_3)
	v_lshlrev_b64 v[49:50], 3, v[13:14]
	v_add_co_u32 v47, vcc_lo, s8, v47
	s_delay_alu instid0(VALU_DEP_4) | instskip(NEXT) | instid1(VALU_DEP_3)
	v_add_co_ci_u32_e32 v48, vcc_lo, s9, v48, vcc_lo
	v_add_co_u32 v49, vcc_lo, s10, v49
	s_delay_alu instid0(VALU_DEP_4)
	v_add_co_ci_u32_e32 v50, vcc_lo, s11, v50, vcc_lo
	s_clause 0x1
	global_load_b64 v[51:52], v[71:72], off
	global_load_b64 v[47:48], v[47:48], off
	;; [unrolled: 1-line block ×3, first 2 shown]
	v_cmp_ge_i32_e32 vcc_lo, v6, v17
	s_or_b32 s2, vcc_lo, s2
	s_waitcnt vmcnt(25)
	v_fma_f64 v[7:8], v[53:54], v[55:56], v[7:8]
	s_waitcnt vmcnt(24)
	v_fma_f64 v[9:10], v[57:58], v[55:56], v[9:10]
	s_waitcnt vmcnt(22)
	s_delay_alu instid0(VALU_DEP_2) | instskip(SKIP_1) | instid1(VALU_DEP_2)
	v_fma_f64 v[7:8], v[59:60], v[61:62], v[7:8]
	s_waitcnt vmcnt(21)
	v_fma_f64 v[9:10], v[63:64], v[61:62], v[9:10]
	s_waitcnt vmcnt(19)
	s_delay_alu instid0(VALU_DEP_2) | instskip(SKIP_1) | instid1(VALU_DEP_2)
	;; [unrolled: 5-line block ×7, first 2 shown]
	v_fma_f64 v[7:8], v[43:44], v[41:42], v[7:8]
	s_waitcnt vmcnt(3)
	v_fma_f64 v[10:11], v[45:46], v[41:42], v[9:10]
	s_waitcnt vmcnt(0)
	s_delay_alu instid0(VALU_DEP_2) | instskip(NEXT) | instid1(VALU_DEP_2)
	v_fma_f64 v[8:9], v[47:48], v[49:50], v[7:8]
	v_fma_f64 v[10:11], v[51:52], v[49:50], v[10:11]
	s_and_not1_b32 exec_lo, exec_lo, s2
	s_cbranch_execnz .LBB145_15
; %bb.16:
	s_or_b32 exec_lo, exec_lo, s2
.LBB145_17:
	s_delay_alu instid0(SALU_CYCLE_1)
	s_or_b32 exec_lo, exec_lo, s3
.LBB145_18:
	v_mbcnt_lo_u32_b32 v14, -1, 0
	s_delay_alu instid0(VALU_DEP_1) | instskip(NEXT) | instid1(VALU_DEP_1)
	v_or_b32_e32 v6, 32, v14
	v_cmp_gt_i32_e32 vcc_lo, 32, v6
	v_cndmask_b32_e32 v6, v14, v6, vcc_lo
	s_delay_alu instid0(VALU_DEP_1)
	v_lshlrev_b32_e32 v13, 2, v6
	ds_bpermute_b32 v6, v13, v8
	ds_bpermute_b32 v7, v13, v9
	;; [unrolled: 1-line block ×4, first 2 shown]
	s_waitcnt lgkmcnt(2)
	v_add_f64 v[6:7], v[8:9], v[6:7]
	s_waitcnt lgkmcnt(0)
	v_add_f64 v[8:9], v[10:11], v[12:13]
	v_xor_b32_e32 v10, 16, v14
	s_delay_alu instid0(VALU_DEP_1) | instskip(SKIP_1) | instid1(VALU_DEP_1)
	v_cmp_gt_i32_e32 vcc_lo, 32, v10
	v_cndmask_b32_e32 v10, v14, v10, vcc_lo
	v_lshlrev_b32_e32 v13, 2, v10
	ds_bpermute_b32 v10, v13, v6
	ds_bpermute_b32 v11, v13, v7
	ds_bpermute_b32 v12, v13, v8
	ds_bpermute_b32 v13, v13, v9
	s_waitcnt lgkmcnt(2)
	v_add_f64 v[6:7], v[6:7], v[10:11]
	v_xor_b32_e32 v10, 8, v14
	s_waitcnt lgkmcnt(0)
	v_add_f64 v[8:9], v[8:9], v[12:13]
	s_delay_alu instid0(VALU_DEP_2) | instskip(SKIP_1) | instid1(VALU_DEP_1)
	v_cmp_gt_i32_e32 vcc_lo, 32, v10
	v_cndmask_b32_e32 v10, v14, v10, vcc_lo
	v_lshlrev_b32_e32 v13, 2, v10
	ds_bpermute_b32 v10, v13, v6
	ds_bpermute_b32 v11, v13, v7
	ds_bpermute_b32 v12, v13, v8
	ds_bpermute_b32 v13, v13, v9
	s_waitcnt lgkmcnt(2)
	v_add_f64 v[6:7], v[6:7], v[10:11]
	v_xor_b32_e32 v10, 4, v14
	s_waitcnt lgkmcnt(0)
	v_add_f64 v[8:9], v[8:9], v[12:13]
	s_delay_alu instid0(VALU_DEP_2) | instskip(SKIP_1) | instid1(VALU_DEP_1)
	;; [unrolled: 13-line block ×3, first 2 shown]
	v_cmp_gt_i32_e32 vcc_lo, 32, v10
	v_cndmask_b32_e32 v10, v14, v10, vcc_lo
	v_lshlrev_b32_e32 v13, 2, v10
	ds_bpermute_b32 v10, v13, v6
	ds_bpermute_b32 v11, v13, v7
	;; [unrolled: 1-line block ×4, first 2 shown]
	s_waitcnt lgkmcnt(2)
	v_add_f64 v[6:7], v[6:7], v[10:11]
	s_waitcnt lgkmcnt(0)
	v_add_f64 v[10:11], v[8:9], v[12:13]
	v_xor_b32_e32 v8, 1, v14
	s_delay_alu instid0(VALU_DEP_1) | instskip(SKIP_2) | instid1(VALU_DEP_2)
	v_cmp_gt_i32_e32 vcc_lo, 32, v8
	v_cndmask_b32_e32 v8, v14, v8, vcc_lo
	v_cmp_eq_u32_e32 vcc_lo, 63, v0
	v_lshlrev_b32_e32 v13, 2, v8
	ds_bpermute_b32 v8, v13, v6
	ds_bpermute_b32 v9, v13, v7
	;; [unrolled: 1-line block ×4, first 2 shown]
	s_and_b32 exec_lo, exec_lo, vcc_lo
	s_cbranch_execz .LBB145_23
; %bb.19:
	s_waitcnt lgkmcnt(2)
	v_add_f64 v[8:9], v[6:7], v[8:9]
	s_waitcnt lgkmcnt(0)
	v_add_f64 v[6:7], v[10:11], v[12:13]
	s_load_b64 s[0:1], s[0:1], 0x38
	s_mov_b32 s2, exec_lo
	v_cmpx_eq_f64_e32 0, v[3:4]
	s_xor_b32 s2, exec_lo, s2
	s_cbranch_execz .LBB145_21
; %bb.20:
	s_delay_alu instid0(VALU_DEP_3) | instskip(NEXT) | instid1(VALU_DEP_3)
	v_mul_f64 v[8:9], v[1:2], v[8:9]
	v_mul_f64 v[10:11], v[1:2], v[6:7]
	v_lshlrev_b32_e32 v0, 1, v5
                                        ; implicit-def: $vgpr5
                                        ; implicit-def: $vgpr3_vgpr4
                                        ; implicit-def: $vgpr6_vgpr7
	s_delay_alu instid0(VALU_DEP_1) | instskip(NEXT) | instid1(VALU_DEP_1)
	v_ashrrev_i32_e32 v1, 31, v0
	v_lshlrev_b64 v[0:1], 3, v[0:1]
	s_waitcnt lgkmcnt(0)
	s_delay_alu instid0(VALU_DEP_1) | instskip(NEXT) | instid1(VALU_DEP_2)
	v_add_co_u32 v0, vcc_lo, s0, v0
	v_add_co_ci_u32_e32 v1, vcc_lo, s1, v1, vcc_lo
	global_store_b128 v[0:1], v[8:11], off
                                        ; implicit-def: $vgpr1_vgpr2
                                        ; implicit-def: $vgpr8_vgpr9
.LBB145_21:
	s_and_not1_saveexec_b32 s2, s2
	s_cbranch_execz .LBB145_23
; %bb.22:
	v_lshlrev_b32_e32 v10, 1, v5
	s_delay_alu instid0(VALU_DEP_4) | instskip(NEXT) | instid1(VALU_DEP_4)
	v_mul_f64 v[8:9], v[1:2], v[8:9]
	v_mul_f64 v[5:6], v[1:2], v[6:7]
	s_delay_alu instid0(VALU_DEP_3) | instskip(NEXT) | instid1(VALU_DEP_1)
	v_ashrrev_i32_e32 v11, 31, v10
	v_lshlrev_b64 v[10:11], 3, v[10:11]
	s_waitcnt lgkmcnt(0)
	s_delay_alu instid0(VALU_DEP_1) | instskip(NEXT) | instid1(VALU_DEP_2)
	v_add_co_u32 v14, vcc_lo, s0, v10
	v_add_co_ci_u32_e32 v15, vcc_lo, s1, v11, vcc_lo
	global_load_b128 v[10:13], v[14:15], off
	s_waitcnt vmcnt(0)
	v_fma_f64 v[0:1], v[3:4], v[10:11], v[8:9]
	v_fma_f64 v[2:3], v[3:4], v[12:13], v[5:6]
	global_store_b128 v[14:15], v[0:3], off
.LBB145_23:
	s_nop 0
	s_sendmsg sendmsg(MSG_DEALLOC_VGPRS)
	s_endpgm
	.section	.rodata,"a",@progbits
	.p2align	6, 0x0
	.amdhsa_kernel _ZN9rocsparseL19gebsrmvn_2xn_kernelILj128ELj15ELj64EdEEvi20rocsparse_direction_NS_24const_host_device_scalarIT2_EEPKiS6_PKS3_S8_S4_PS3_21rocsparse_index_base_b
		.amdhsa_group_segment_fixed_size 0
		.amdhsa_private_segment_fixed_size 0
		.amdhsa_kernarg_size 72
		.amdhsa_user_sgpr_count 15
		.amdhsa_user_sgpr_dispatch_ptr 0
		.amdhsa_user_sgpr_queue_ptr 0
		.amdhsa_user_sgpr_kernarg_segment_ptr 1
		.amdhsa_user_sgpr_dispatch_id 0
		.amdhsa_user_sgpr_private_segment_size 0
		.amdhsa_wavefront_size32 1
		.amdhsa_uses_dynamic_stack 0
		.amdhsa_enable_private_segment 0
		.amdhsa_system_sgpr_workgroup_id_x 1
		.amdhsa_system_sgpr_workgroup_id_y 0
		.amdhsa_system_sgpr_workgroup_id_z 0
		.amdhsa_system_sgpr_workgroup_info 0
		.amdhsa_system_vgpr_workitem_id 0
		.amdhsa_next_free_vgpr 73
		.amdhsa_next_free_sgpr 16
		.amdhsa_reserve_vcc 1
		.amdhsa_float_round_mode_32 0
		.amdhsa_float_round_mode_16_64 0
		.amdhsa_float_denorm_mode_32 3
		.amdhsa_float_denorm_mode_16_64 3
		.amdhsa_dx10_clamp 1
		.amdhsa_ieee_mode 1
		.amdhsa_fp16_overflow 0
		.amdhsa_workgroup_processor_mode 1
		.amdhsa_memory_ordered 1
		.amdhsa_forward_progress 0
		.amdhsa_shared_vgpr_count 0
		.amdhsa_exception_fp_ieee_invalid_op 0
		.amdhsa_exception_fp_denorm_src 0
		.amdhsa_exception_fp_ieee_div_zero 0
		.amdhsa_exception_fp_ieee_overflow 0
		.amdhsa_exception_fp_ieee_underflow 0
		.amdhsa_exception_fp_ieee_inexact 0
		.amdhsa_exception_int_div_zero 0
	.end_amdhsa_kernel
	.section	.text._ZN9rocsparseL19gebsrmvn_2xn_kernelILj128ELj15ELj64EdEEvi20rocsparse_direction_NS_24const_host_device_scalarIT2_EEPKiS6_PKS3_S8_S4_PS3_21rocsparse_index_base_b,"axG",@progbits,_ZN9rocsparseL19gebsrmvn_2xn_kernelILj128ELj15ELj64EdEEvi20rocsparse_direction_NS_24const_host_device_scalarIT2_EEPKiS6_PKS3_S8_S4_PS3_21rocsparse_index_base_b,comdat
.Lfunc_end145:
	.size	_ZN9rocsparseL19gebsrmvn_2xn_kernelILj128ELj15ELj64EdEEvi20rocsparse_direction_NS_24const_host_device_scalarIT2_EEPKiS6_PKS3_S8_S4_PS3_21rocsparse_index_base_b, .Lfunc_end145-_ZN9rocsparseL19gebsrmvn_2xn_kernelILj128ELj15ELj64EdEEvi20rocsparse_direction_NS_24const_host_device_scalarIT2_EEPKiS6_PKS3_S8_S4_PS3_21rocsparse_index_base_b
                                        ; -- End function
	.section	.AMDGPU.csdata,"",@progbits
; Kernel info:
; codeLenInByte = 4644
; NumSgprs: 18
; NumVgprs: 73
; ScratchSize: 0
; MemoryBound: 0
; FloatMode: 240
; IeeeMode: 1
; LDSByteSize: 0 bytes/workgroup (compile time only)
; SGPRBlocks: 2
; VGPRBlocks: 9
; NumSGPRsForWavesPerEU: 18
; NumVGPRsForWavesPerEU: 73
; Occupancy: 16
; WaveLimiterHint : 1
; COMPUTE_PGM_RSRC2:SCRATCH_EN: 0
; COMPUTE_PGM_RSRC2:USER_SGPR: 15
; COMPUTE_PGM_RSRC2:TRAP_HANDLER: 0
; COMPUTE_PGM_RSRC2:TGID_X_EN: 1
; COMPUTE_PGM_RSRC2:TGID_Y_EN: 0
; COMPUTE_PGM_RSRC2:TGID_Z_EN: 0
; COMPUTE_PGM_RSRC2:TIDIG_COMP_CNT: 0
	.section	.text._ZN9rocsparseL19gebsrmvn_2xn_kernelILj128ELj16ELj4EdEEvi20rocsparse_direction_NS_24const_host_device_scalarIT2_EEPKiS6_PKS3_S8_S4_PS3_21rocsparse_index_base_b,"axG",@progbits,_ZN9rocsparseL19gebsrmvn_2xn_kernelILj128ELj16ELj4EdEEvi20rocsparse_direction_NS_24const_host_device_scalarIT2_EEPKiS6_PKS3_S8_S4_PS3_21rocsparse_index_base_b,comdat
	.globl	_ZN9rocsparseL19gebsrmvn_2xn_kernelILj128ELj16ELj4EdEEvi20rocsparse_direction_NS_24const_host_device_scalarIT2_EEPKiS6_PKS3_S8_S4_PS3_21rocsparse_index_base_b ; -- Begin function _ZN9rocsparseL19gebsrmvn_2xn_kernelILj128ELj16ELj4EdEEvi20rocsparse_direction_NS_24const_host_device_scalarIT2_EEPKiS6_PKS3_S8_S4_PS3_21rocsparse_index_base_b
	.p2align	8
	.type	_ZN9rocsparseL19gebsrmvn_2xn_kernelILj128ELj16ELj4EdEEvi20rocsparse_direction_NS_24const_host_device_scalarIT2_EEPKiS6_PKS3_S8_S4_PS3_21rocsparse_index_base_b,@function
_ZN9rocsparseL19gebsrmvn_2xn_kernelILj128ELj16ELj4EdEEvi20rocsparse_direction_NS_24const_host_device_scalarIT2_EEPKiS6_PKS3_S8_S4_PS3_21rocsparse_index_base_b: ; @_ZN9rocsparseL19gebsrmvn_2xn_kernelILj128ELj16ELj4EdEEvi20rocsparse_direction_NS_24const_host_device_scalarIT2_EEPKiS6_PKS3_S8_S4_PS3_21rocsparse_index_base_b
; %bb.0:
	s_clause 0x2
	s_load_b64 s[12:13], s[0:1], 0x40
	s_load_b64 s[4:5], s[0:1], 0x8
	s_load_b64 s[2:3], s[0:1], 0x30
	s_waitcnt lgkmcnt(0)
	s_bitcmp1_b32 s13, 0
	v_dual_mov_b32 v1, s4 :: v_dual_mov_b32 v2, s5
	s_cselect_b32 s6, -1, 0
	s_delay_alu instid0(SALU_CYCLE_1)
	s_and_b32 vcc_lo, exec_lo, s6
	s_xor_b32 s6, s6, -1
	s_cbranch_vccnz .LBB146_2
; %bb.1:
	v_dual_mov_b32 v1, s4 :: v_dual_mov_b32 v2, s5
	flat_load_b64 v[1:2], v[1:2]
.LBB146_2:
	v_dual_mov_b32 v4, s3 :: v_dual_mov_b32 v3, s2
	s_and_not1_b32 vcc_lo, exec_lo, s6
	s_cbranch_vccnz .LBB146_4
; %bb.3:
	v_dual_mov_b32 v4, s3 :: v_dual_mov_b32 v3, s2
	flat_load_b64 v[3:4], v[3:4]
.LBB146_4:
	s_waitcnt vmcnt(0) lgkmcnt(0)
	v_cmp_neq_f64_e32 vcc_lo, 0, v[1:2]
	v_cmp_neq_f64_e64 s2, 1.0, v[3:4]
	s_delay_alu instid0(VALU_DEP_1) | instskip(NEXT) | instid1(SALU_CYCLE_1)
	s_or_b32 s2, vcc_lo, s2
	s_and_saveexec_b32 s3, s2
	s_cbranch_execz .LBB146_23
; %bb.5:
	s_load_b64 s[2:3], s[0:1], 0x0
	v_lshrrev_b32_e32 v5, 2, v0
	s_delay_alu instid0(VALU_DEP_1) | instskip(SKIP_1) | instid1(VALU_DEP_1)
	v_lshl_or_b32 v5, s15, 5, v5
	s_waitcnt lgkmcnt(0)
	v_cmp_gt_i32_e32 vcc_lo, s2, v5
	s_and_b32 exec_lo, exec_lo, vcc_lo
	s_cbranch_execz .LBB146_23
; %bb.6:
	s_load_b256 s[4:11], s[0:1], 0x10
	v_ashrrev_i32_e32 v6, 31, v5
	v_and_b32_e32 v0, 3, v0
	s_cmp_lg_u32 s3, 0
	s_delay_alu instid0(VALU_DEP_2) | instskip(SKIP_1) | instid1(VALU_DEP_1)
	v_lshlrev_b64 v[6:7], 2, v[5:6]
	s_waitcnt lgkmcnt(0)
	v_add_co_u32 v6, vcc_lo, s4, v6
	s_delay_alu instid0(VALU_DEP_2) | instskip(SKIP_4) | instid1(VALU_DEP_2)
	v_add_co_ci_u32_e32 v7, vcc_lo, s5, v7, vcc_lo
	global_load_b64 v[6:7], v[6:7], off
	s_waitcnt vmcnt(0)
	v_subrev_nc_u32_e32 v6, s12, v6
	v_subrev_nc_u32_e32 v16, s12, v7
	v_add_nc_u32_e32 v6, v6, v0
	s_delay_alu instid0(VALU_DEP_1)
	v_cmp_lt_i32_e64 s2, v6, v16
	s_cbranch_scc0 .LBB146_12
; %bb.7:
	v_mov_b32_e32 v8, 0
	v_mov_b32_e32 v9, 0
	s_delay_alu instid0(VALU_DEP_1)
	v_dual_mov_b32 v11, v9 :: v_dual_mov_b32 v10, v8
	s_and_saveexec_b32 s3, s2
	s_cbranch_execz .LBB146_11
; %bb.8:
	v_dual_mov_b32 v8, 0 :: v_dual_mov_b32 v13, 0
	v_dual_mov_b32 v9, 0 :: v_dual_lshlrev_b32 v12, 5, v6
	v_mov_b32_e32 v14, v6
	s_mov_b32 s4, 0
	s_delay_alu instid0(VALU_DEP_2)
	v_dual_mov_b32 v11, v9 :: v_dual_mov_b32 v10, v8
.LBB146_9:                              ; =>This Inner Loop Header: Depth=1
	s_delay_alu instid0(VALU_DEP_2) | instskip(NEXT) | instid1(VALU_DEP_1)
	v_ashrrev_i32_e32 v15, 31, v14
	v_lshlrev_b64 v[17:18], 2, v[14:15]
	v_add_nc_u32_e32 v14, 4, v14
	s_delay_alu instid0(VALU_DEP_2) | instskip(NEXT) | instid1(VALU_DEP_3)
	v_add_co_u32 v17, vcc_lo, s6, v17
	v_add_co_ci_u32_e32 v18, vcc_lo, s7, v18, vcc_lo
	global_load_b32 v7, v[17:18], off
	v_lshlrev_b64 v[17:18], 3, v[12:13]
	v_add_nc_u32_e32 v12, 0x80, v12
	s_delay_alu instid0(VALU_DEP_2) | instskip(NEXT) | instid1(VALU_DEP_3)
	v_add_co_u32 v81, vcc_lo, s8, v17
	v_add_co_ci_u32_e32 v82, vcc_lo, s9, v18, vcc_lo
	s_waitcnt vmcnt(0)
	v_subrev_nc_u32_e32 v7, s12, v7
	s_delay_alu instid0(VALU_DEP_1) | instskip(NEXT) | instid1(VALU_DEP_1)
	v_dual_mov_b32 v20, v13 :: v_dual_lshlrev_b32 v19, 4, v7
	v_lshlrev_b64 v[19:20], 3, v[19:20]
	s_delay_alu instid0(VALU_DEP_1) | instskip(NEXT) | instid1(VALU_DEP_2)
	v_add_co_u32 v83, vcc_lo, s10, v19
	v_add_co_ci_u32_e32 v84, vcc_lo, s11, v20, vcc_lo
	v_cmp_ge_i32_e32 vcc_lo, v14, v16
	s_clause 0x1
	global_load_b128 v[17:20], v[81:82], off offset:16
	global_load_b128 v[21:24], v[81:82], off
	s_clause 0x1
	global_load_b128 v[25:28], v[83:84], off
	global_load_b128 v[29:32], v[83:84], off offset:16
	s_clause 0x3
	global_load_b128 v[33:36], v[81:82], off offset:32
	global_load_b128 v[37:40], v[81:82], off offset:48
	;; [unrolled: 1-line block ×4, first 2 shown]
	s_clause 0x1
	global_load_b128 v[49:52], v[83:84], off offset:32
	global_load_b128 v[53:56], v[83:84], off offset:48
	s_clause 0x3
	global_load_b128 v[57:60], v[81:82], off offset:96
	global_load_b128 v[61:64], v[81:82], off offset:112
	;; [unrolled: 1-line block ×4, first 2 shown]
	s_clause 0x1
	global_load_b128 v[73:76], v[83:84], off offset:64
	global_load_b128 v[77:80], v[83:84], off offset:80
	s_or_b32 s4, vcc_lo, s4
	s_waitcnt vmcnt(13)
	v_fma_f64 v[7:8], v[21:22], v[25:26], v[8:9]
	v_fma_f64 v[9:10], v[23:24], v[25:26], v[10:11]
	s_delay_alu instid0(VALU_DEP_2) | instskip(NEXT) | instid1(VALU_DEP_2)
	v_fma_f64 v[21:22], v[17:18], v[27:28], v[7:8]
	v_fma_f64 v[23:24], v[19:20], v[27:28], v[9:10]
	s_clause 0x1
	global_load_b128 v[7:10], v[81:82], off offset:160
	global_load_b128 v[17:20], v[81:82], off offset:176
	s_waitcnt vmcnt(13)
	v_fma_f64 v[21:22], v[33:34], v[29:30], v[21:22]
	v_fma_f64 v[23:24], v[35:36], v[29:30], v[23:24]
	s_waitcnt vmcnt(12)
	s_delay_alu instid0(VALU_DEP_2) | instskip(NEXT) | instid1(VALU_DEP_2)
	v_fma_f64 v[37:38], v[37:38], v[31:32], v[21:22]
	v_fma_f64 v[39:40], v[39:40], v[31:32], v[23:24]
	s_clause 0x1
	global_load_b128 v[21:24], v[81:82], off offset:208
	global_load_b128 v[25:28], v[81:82], off offset:192
	s_clause 0x1
	global_load_b128 v[29:32], v[83:84], off offset:96
	global_load_b128 v[33:36], v[83:84], off offset:112
	s_waitcnt vmcnt(13)
	v_fma_f64 v[37:38], v[45:46], v[49:50], v[37:38]
	v_fma_f64 v[39:40], v[47:48], v[49:50], v[39:40]
	s_delay_alu instid0(VALU_DEP_2) | instskip(NEXT) | instid1(VALU_DEP_2)
	v_fma_f64 v[45:46], v[41:42], v[51:52], v[37:38]
	v_fma_f64 v[47:48], v[43:44], v[51:52], v[39:40]
	s_clause 0x1
	global_load_b128 v[37:40], v[81:82], off offset:224
	global_load_b128 v[41:44], v[81:82], off offset:240
	s_waitcnt vmcnt(13)
	v_fma_f64 v[45:46], v[57:58], v[53:54], v[45:46]
	v_fma_f64 v[47:48], v[59:60], v[53:54], v[47:48]
	s_waitcnt vmcnt(12)
	s_delay_alu instid0(VALU_DEP_2) | instskip(NEXT) | instid1(VALU_DEP_2)
	v_fma_f64 v[45:46], v[61:62], v[55:56], v[45:46]
	v_fma_f64 v[47:48], v[63:64], v[55:56], v[47:48]
	s_waitcnt vmcnt(9)
	s_delay_alu instid0(VALU_DEP_2) | instskip(NEXT) | instid1(VALU_DEP_2)
	v_fma_f64 v[45:46], v[69:70], v[73:74], v[45:46]
	v_fma_f64 v[47:48], v[71:72], v[73:74], v[47:48]
	s_delay_alu instid0(VALU_DEP_2) | instskip(NEXT) | instid1(VALU_DEP_2)
	v_fma_f64 v[45:46], v[65:66], v[75:76], v[45:46]
	v_fma_f64 v[47:48], v[67:68], v[75:76], v[47:48]
	s_waitcnt vmcnt(7)
	s_delay_alu instid0(VALU_DEP_2) | instskip(NEXT) | instid1(VALU_DEP_2)
	v_fma_f64 v[7:8], v[7:8], v[77:78], v[45:46]
	v_fma_f64 v[9:10], v[9:10], v[77:78], v[47:48]
	s_waitcnt vmcnt(6)
	;; [unrolled: 4-line block ×3, first 2 shown]
	s_delay_alu instid0(VALU_DEP_2) | instskip(NEXT) | instid1(VALU_DEP_2)
	v_fma_f64 v[7:8], v[25:26], v[29:30], v[7:8]
	v_fma_f64 v[9:10], v[27:28], v[29:30], v[9:10]
	s_delay_alu instid0(VALU_DEP_2) | instskip(NEXT) | instid1(VALU_DEP_2)
	v_fma_f64 v[7:8], v[21:22], v[31:32], v[7:8]
	v_fma_f64 v[9:10], v[23:24], v[31:32], v[9:10]
	s_waitcnt vmcnt(1)
	s_delay_alu instid0(VALU_DEP_2) | instskip(NEXT) | instid1(VALU_DEP_2)
	v_fma_f64 v[7:8], v[37:38], v[33:34], v[7:8]
	v_fma_f64 v[10:11], v[39:40], v[33:34], v[9:10]
	s_waitcnt vmcnt(0)
	s_delay_alu instid0(VALU_DEP_2) | instskip(NEXT) | instid1(VALU_DEP_2)
	v_fma_f64 v[8:9], v[41:42], v[35:36], v[7:8]
	v_fma_f64 v[10:11], v[43:44], v[35:36], v[10:11]
	s_and_not1_b32 exec_lo, exec_lo, s4
	s_cbranch_execnz .LBB146_9
; %bb.10:
	s_or_b32 exec_lo, exec_lo, s4
.LBB146_11:
	s_delay_alu instid0(SALU_CYCLE_1)
	s_or_b32 exec_lo, exec_lo, s3
	s_cbranch_execz .LBB146_13
	s_branch .LBB146_18
.LBB146_12:
                                        ; implicit-def: $vgpr8_vgpr9
                                        ; implicit-def: $vgpr10_vgpr11
.LBB146_13:
	v_mov_b32_e32 v8, 0
	v_mov_b32_e32 v9, 0
	s_delay_alu instid0(VALU_DEP_1)
	v_dual_mov_b32 v11, v9 :: v_dual_mov_b32 v10, v8
	s_and_saveexec_b32 s3, s2
	s_cbranch_execz .LBB146_17
; %bb.14:
	v_dual_mov_b32 v8, 0 :: v_dual_mov_b32 v13, 0
	v_dual_mov_b32 v9, 0 :: v_dual_lshlrev_b32 v12, 5, v6
	s_mov_b32 s2, 0
	s_delay_alu instid0(VALU_DEP_1)
	v_dual_mov_b32 v11, v9 :: v_dual_mov_b32 v10, v8
.LBB146_15:                             ; =>This Inner Loop Header: Depth=1
	v_ashrrev_i32_e32 v7, 31, v6
	s_delay_alu instid0(VALU_DEP_1) | instskip(SKIP_1) | instid1(VALU_DEP_2)
	v_lshlrev_b64 v[14:15], 2, v[6:7]
	v_add_nc_u32_e32 v6, 4, v6
	v_add_co_u32 v14, vcc_lo, s6, v14
	s_delay_alu instid0(VALU_DEP_3) | instskip(SKIP_3) | instid1(VALU_DEP_2)
	v_add_co_ci_u32_e32 v15, vcc_lo, s7, v15, vcc_lo
	global_load_b32 v7, v[14:15], off
	v_lshlrev_b64 v[14:15], 3, v[12:13]
	v_add_nc_u32_e32 v12, 0x80, v12
	v_add_co_u32 v14, vcc_lo, s8, v14
	s_delay_alu instid0(VALU_DEP_3) | instskip(SKIP_2) | instid1(VALU_DEP_1)
	v_add_co_ci_u32_e32 v15, vcc_lo, s9, v15, vcc_lo
	s_waitcnt vmcnt(0)
	v_subrev_nc_u32_e32 v7, s12, v7
	v_dual_mov_b32 v18, v13 :: v_dual_lshlrev_b32 v17, 4, v7
	s_delay_alu instid0(VALU_DEP_1)
	v_lshlrev_b64 v[21:22], 3, v[17:18]
	global_load_b128 v[17:20], v[14:15], off offset:16
	v_add_co_u32 v89, vcc_lo, s10, v21
	v_add_co_ci_u32_e32 v90, vcc_lo, s11, v22, vcc_lo
	s_clause 0x2
	global_load_b128 v[21:24], v[14:15], off
	global_load_b128 v[25:28], v[14:15], off offset:144
	global_load_b128 v[29:32], v[14:15], off offset:128
	s_clause 0x1
	global_load_b128 v[33:36], v[89:90], off
	global_load_b128 v[37:40], v[89:90], off offset:16
	s_clause 0x3
	global_load_b128 v[41:44], v[14:15], off offset:48
	global_load_b128 v[45:48], v[14:15], off offset:32
	;; [unrolled: 1-line block ×4, first 2 shown]
	s_clause 0x1
	global_load_b128 v[57:60], v[89:90], off offset:32
	global_load_b128 v[61:64], v[89:90], off offset:48
	s_clause 0x3
	global_load_b128 v[65:68], v[14:15], off offset:80
	global_load_b128 v[69:72], v[14:15], off offset:64
	;; [unrolled: 1-line block ×4, first 2 shown]
	s_clause 0x1
	global_load_b128 v[81:84], v[89:90], off offset:64
	global_load_b128 v[85:88], v[89:90], off offset:80
	v_cmp_ge_i32_e32 vcc_lo, v6, v16
	s_or_b32 s2, vcc_lo, s2
	s_waitcnt vmcnt(13)
	v_fma_f64 v[7:8], v[21:22], v[33:34], v[8:9]
	v_fma_f64 v[9:10], v[29:30], v[33:34], v[10:11]
	s_delay_alu instid0(VALU_DEP_2) | instskip(NEXT) | instid1(VALU_DEP_2)
	v_fma_f64 v[7:8], v[23:24], v[35:36], v[7:8]
	v_fma_f64 v[9:10], v[31:32], v[35:36], v[9:10]
	s_waitcnt vmcnt(12)
	s_delay_alu instid0(VALU_DEP_2) | instskip(NEXT) | instid1(VALU_DEP_2)
	v_fma_f64 v[7:8], v[17:18], v[37:38], v[7:8]
	v_fma_f64 v[9:10], v[25:26], v[37:38], v[9:10]
	s_delay_alu instid0(VALU_DEP_2) | instskip(NEXT) | instid1(VALU_DEP_2)
	v_fma_f64 v[37:38], v[19:20], v[39:40], v[7:8]
	v_fma_f64 v[39:40], v[27:28], v[39:40], v[9:10]
	s_clause 0x3
	global_load_b128 v[7:10], v[14:15], off offset:112
	global_load_b128 v[17:20], v[14:15], off offset:96
	;; [unrolled: 1-line block ×4, first 2 shown]
	s_clause 0x1
	global_load_b128 v[29:32], v[89:90], off offset:96
	global_load_b128 v[33:36], v[89:90], off offset:112
	s_waitcnt vmcnt(13)
	v_fma_f64 v[14:15], v[45:46], v[57:58], v[37:38]
	v_fma_f64 v[37:38], v[53:54], v[57:58], v[39:40]
	s_delay_alu instid0(VALU_DEP_2) | instskip(NEXT) | instid1(VALU_DEP_2)
	v_fma_f64 v[14:15], v[47:48], v[59:60], v[14:15]
	v_fma_f64 v[37:38], v[55:56], v[59:60], v[37:38]
	s_waitcnt vmcnt(12)
	s_delay_alu instid0(VALU_DEP_2) | instskip(NEXT) | instid1(VALU_DEP_2)
	v_fma_f64 v[14:15], v[41:42], v[61:62], v[14:15]
	v_fma_f64 v[37:38], v[49:50], v[61:62], v[37:38]
	s_delay_alu instid0(VALU_DEP_2) | instskip(NEXT) | instid1(VALU_DEP_2)
	v_fma_f64 v[14:15], v[43:44], v[63:64], v[14:15]
	v_fma_f64 v[37:38], v[51:52], v[63:64], v[37:38]
	s_waitcnt vmcnt(7)
	s_delay_alu instid0(VALU_DEP_2) | instskip(NEXT) | instid1(VALU_DEP_2)
	;; [unrolled: 7-line block ×5, first 2 shown]
	v_fma_f64 v[7:8], v[7:8], v[33:34], v[14:15]
	v_fma_f64 v[14:15], v[21:22], v[33:34], v[17:18]
	s_delay_alu instid0(VALU_DEP_2) | instskip(NEXT) | instid1(VALU_DEP_2)
	v_fma_f64 v[8:9], v[9:10], v[35:36], v[7:8]
	v_fma_f64 v[10:11], v[23:24], v[35:36], v[14:15]
	s_and_not1_b32 exec_lo, exec_lo, s2
	s_cbranch_execnz .LBB146_15
; %bb.16:
	s_or_b32 exec_lo, exec_lo, s2
.LBB146_17:
	s_delay_alu instid0(SALU_CYCLE_1)
	s_or_b32 exec_lo, exec_lo, s3
.LBB146_18:
	v_mbcnt_lo_u32_b32 v14, -1, 0
	s_delay_alu instid0(VALU_DEP_1) | instskip(NEXT) | instid1(VALU_DEP_1)
	v_xor_b32_e32 v6, 2, v14
	v_cmp_gt_i32_e32 vcc_lo, 32, v6
	v_cndmask_b32_e32 v6, v14, v6, vcc_lo
	s_delay_alu instid0(VALU_DEP_1)
	v_lshlrev_b32_e32 v13, 2, v6
	ds_bpermute_b32 v6, v13, v8
	ds_bpermute_b32 v7, v13, v9
	s_waitcnt lgkmcnt(0)
	v_add_f64 v[6:7], v[8:9], v[6:7]
	v_xor_b32_e32 v8, 1, v14
	s_delay_alu instid0(VALU_DEP_1)
	v_cmp_gt_i32_e32 vcc_lo, 32, v8
	v_cndmask_b32_e32 v8, v14, v8, vcc_lo
	ds_bpermute_b32 v12, v13, v10
	ds_bpermute_b32 v13, v13, v11
	v_cmp_eq_u32_e32 vcc_lo, 3, v0
	s_waitcnt lgkmcnt(0)
	v_add_f64 v[10:11], v[10:11], v[12:13]
	v_lshlrev_b32_e32 v13, 2, v8
	ds_bpermute_b32 v8, v13, v6
	ds_bpermute_b32 v9, v13, v7
	;; [unrolled: 1-line block ×4, first 2 shown]
	s_and_b32 exec_lo, exec_lo, vcc_lo
	s_cbranch_execz .LBB146_23
; %bb.19:
	s_waitcnt lgkmcnt(2)
	v_add_f64 v[8:9], v[6:7], v[8:9]
	s_waitcnt lgkmcnt(0)
	v_add_f64 v[6:7], v[10:11], v[12:13]
	s_load_b64 s[0:1], s[0:1], 0x38
	s_mov_b32 s2, exec_lo
	v_cmpx_eq_f64_e32 0, v[3:4]
	s_xor_b32 s2, exec_lo, s2
	s_cbranch_execz .LBB146_21
; %bb.20:
	s_delay_alu instid0(VALU_DEP_3) | instskip(NEXT) | instid1(VALU_DEP_3)
	v_mul_f64 v[8:9], v[1:2], v[8:9]
	v_mul_f64 v[10:11], v[1:2], v[6:7]
	v_lshlrev_b32_e32 v0, 1, v5
                                        ; implicit-def: $vgpr5
                                        ; implicit-def: $vgpr3_vgpr4
                                        ; implicit-def: $vgpr6_vgpr7
	s_delay_alu instid0(VALU_DEP_1) | instskip(NEXT) | instid1(VALU_DEP_1)
	v_ashrrev_i32_e32 v1, 31, v0
	v_lshlrev_b64 v[0:1], 3, v[0:1]
	s_waitcnt lgkmcnt(0)
	s_delay_alu instid0(VALU_DEP_1) | instskip(NEXT) | instid1(VALU_DEP_2)
	v_add_co_u32 v0, vcc_lo, s0, v0
	v_add_co_ci_u32_e32 v1, vcc_lo, s1, v1, vcc_lo
	global_store_b128 v[0:1], v[8:11], off
                                        ; implicit-def: $vgpr1_vgpr2
                                        ; implicit-def: $vgpr8_vgpr9
.LBB146_21:
	s_and_not1_saveexec_b32 s2, s2
	s_cbranch_execz .LBB146_23
; %bb.22:
	v_lshlrev_b32_e32 v10, 1, v5
	s_delay_alu instid0(VALU_DEP_4) | instskip(NEXT) | instid1(VALU_DEP_4)
	v_mul_f64 v[8:9], v[1:2], v[8:9]
	v_mul_f64 v[5:6], v[1:2], v[6:7]
	s_delay_alu instid0(VALU_DEP_3) | instskip(NEXT) | instid1(VALU_DEP_1)
	v_ashrrev_i32_e32 v11, 31, v10
	v_lshlrev_b64 v[10:11], 3, v[10:11]
	s_waitcnt lgkmcnt(0)
	s_delay_alu instid0(VALU_DEP_1) | instskip(NEXT) | instid1(VALU_DEP_2)
	v_add_co_u32 v14, vcc_lo, s0, v10
	v_add_co_ci_u32_e32 v15, vcc_lo, s1, v11, vcc_lo
	global_load_b128 v[10:13], v[14:15], off
	s_waitcnt vmcnt(0)
	v_fma_f64 v[0:1], v[3:4], v[10:11], v[8:9]
	v_fma_f64 v[2:3], v[3:4], v[12:13], v[5:6]
	global_store_b128 v[14:15], v[0:3], off
.LBB146_23:
	s_nop 0
	s_sendmsg sendmsg(MSG_DEALLOC_VGPRS)
	s_endpgm
	.section	.rodata,"a",@progbits
	.p2align	6, 0x0
	.amdhsa_kernel _ZN9rocsparseL19gebsrmvn_2xn_kernelILj128ELj16ELj4EdEEvi20rocsparse_direction_NS_24const_host_device_scalarIT2_EEPKiS6_PKS3_S8_S4_PS3_21rocsparse_index_base_b
		.amdhsa_group_segment_fixed_size 0
		.amdhsa_private_segment_fixed_size 0
		.amdhsa_kernarg_size 72
		.amdhsa_user_sgpr_count 15
		.amdhsa_user_sgpr_dispatch_ptr 0
		.amdhsa_user_sgpr_queue_ptr 0
		.amdhsa_user_sgpr_kernarg_segment_ptr 1
		.amdhsa_user_sgpr_dispatch_id 0
		.amdhsa_user_sgpr_private_segment_size 0
		.amdhsa_wavefront_size32 1
		.amdhsa_uses_dynamic_stack 0
		.amdhsa_enable_private_segment 0
		.amdhsa_system_sgpr_workgroup_id_x 1
		.amdhsa_system_sgpr_workgroup_id_y 0
		.amdhsa_system_sgpr_workgroup_id_z 0
		.amdhsa_system_sgpr_workgroup_info 0
		.amdhsa_system_vgpr_workitem_id 0
		.amdhsa_next_free_vgpr 91
		.amdhsa_next_free_sgpr 16
		.amdhsa_reserve_vcc 1
		.amdhsa_float_round_mode_32 0
		.amdhsa_float_round_mode_16_64 0
		.amdhsa_float_denorm_mode_32 3
		.amdhsa_float_denorm_mode_16_64 3
		.amdhsa_dx10_clamp 1
		.amdhsa_ieee_mode 1
		.amdhsa_fp16_overflow 0
		.amdhsa_workgroup_processor_mode 1
		.amdhsa_memory_ordered 1
		.amdhsa_forward_progress 0
		.amdhsa_shared_vgpr_count 0
		.amdhsa_exception_fp_ieee_invalid_op 0
		.amdhsa_exception_fp_denorm_src 0
		.amdhsa_exception_fp_ieee_div_zero 0
		.amdhsa_exception_fp_ieee_overflow 0
		.amdhsa_exception_fp_ieee_underflow 0
		.amdhsa_exception_fp_ieee_inexact 0
		.amdhsa_exception_int_div_zero 0
	.end_amdhsa_kernel
	.section	.text._ZN9rocsparseL19gebsrmvn_2xn_kernelILj128ELj16ELj4EdEEvi20rocsparse_direction_NS_24const_host_device_scalarIT2_EEPKiS6_PKS3_S8_S4_PS3_21rocsparse_index_base_b,"axG",@progbits,_ZN9rocsparseL19gebsrmvn_2xn_kernelILj128ELj16ELj4EdEEvi20rocsparse_direction_NS_24const_host_device_scalarIT2_EEPKiS6_PKS3_S8_S4_PS3_21rocsparse_index_base_b,comdat
.Lfunc_end146:
	.size	_ZN9rocsparseL19gebsrmvn_2xn_kernelILj128ELj16ELj4EdEEvi20rocsparse_direction_NS_24const_host_device_scalarIT2_EEPKiS6_PKS3_S8_S4_PS3_21rocsparse_index_base_b, .Lfunc_end146-_ZN9rocsparseL19gebsrmvn_2xn_kernelILj128ELj16ELj4EdEEvi20rocsparse_direction_NS_24const_host_device_scalarIT2_EEPKiS6_PKS3_S8_S4_PS3_21rocsparse_index_base_b
                                        ; -- End function
	.section	.AMDGPU.csdata,"",@progbits
; Kernel info:
; codeLenInByte = 2236
; NumSgprs: 18
; NumVgprs: 91
; ScratchSize: 0
; MemoryBound: 1
; FloatMode: 240
; IeeeMode: 1
; LDSByteSize: 0 bytes/workgroup (compile time only)
; SGPRBlocks: 2
; VGPRBlocks: 11
; NumSGPRsForWavesPerEU: 18
; NumVGPRsForWavesPerEU: 91
; Occupancy: 16
; WaveLimiterHint : 1
; COMPUTE_PGM_RSRC2:SCRATCH_EN: 0
; COMPUTE_PGM_RSRC2:USER_SGPR: 15
; COMPUTE_PGM_RSRC2:TRAP_HANDLER: 0
; COMPUTE_PGM_RSRC2:TGID_X_EN: 1
; COMPUTE_PGM_RSRC2:TGID_Y_EN: 0
; COMPUTE_PGM_RSRC2:TGID_Z_EN: 0
; COMPUTE_PGM_RSRC2:TIDIG_COMP_CNT: 0
	.section	.text._ZN9rocsparseL19gebsrmvn_2xn_kernelILj128ELj16ELj8EdEEvi20rocsparse_direction_NS_24const_host_device_scalarIT2_EEPKiS6_PKS3_S8_S4_PS3_21rocsparse_index_base_b,"axG",@progbits,_ZN9rocsparseL19gebsrmvn_2xn_kernelILj128ELj16ELj8EdEEvi20rocsparse_direction_NS_24const_host_device_scalarIT2_EEPKiS6_PKS3_S8_S4_PS3_21rocsparse_index_base_b,comdat
	.globl	_ZN9rocsparseL19gebsrmvn_2xn_kernelILj128ELj16ELj8EdEEvi20rocsparse_direction_NS_24const_host_device_scalarIT2_EEPKiS6_PKS3_S8_S4_PS3_21rocsparse_index_base_b ; -- Begin function _ZN9rocsparseL19gebsrmvn_2xn_kernelILj128ELj16ELj8EdEEvi20rocsparse_direction_NS_24const_host_device_scalarIT2_EEPKiS6_PKS3_S8_S4_PS3_21rocsparse_index_base_b
	.p2align	8
	.type	_ZN9rocsparseL19gebsrmvn_2xn_kernelILj128ELj16ELj8EdEEvi20rocsparse_direction_NS_24const_host_device_scalarIT2_EEPKiS6_PKS3_S8_S4_PS3_21rocsparse_index_base_b,@function
_ZN9rocsparseL19gebsrmvn_2xn_kernelILj128ELj16ELj8EdEEvi20rocsparse_direction_NS_24const_host_device_scalarIT2_EEPKiS6_PKS3_S8_S4_PS3_21rocsparse_index_base_b: ; @_ZN9rocsparseL19gebsrmvn_2xn_kernelILj128ELj16ELj8EdEEvi20rocsparse_direction_NS_24const_host_device_scalarIT2_EEPKiS6_PKS3_S8_S4_PS3_21rocsparse_index_base_b
; %bb.0:
	s_clause 0x2
	s_load_b64 s[12:13], s[0:1], 0x40
	s_load_b64 s[4:5], s[0:1], 0x8
	;; [unrolled: 1-line block ×3, first 2 shown]
	s_waitcnt lgkmcnt(0)
	s_bitcmp1_b32 s13, 0
	v_dual_mov_b32 v1, s4 :: v_dual_mov_b32 v2, s5
	s_cselect_b32 s6, -1, 0
	s_delay_alu instid0(SALU_CYCLE_1)
	s_and_b32 vcc_lo, exec_lo, s6
	s_xor_b32 s6, s6, -1
	s_cbranch_vccnz .LBB147_2
; %bb.1:
	v_dual_mov_b32 v1, s4 :: v_dual_mov_b32 v2, s5
	flat_load_b64 v[1:2], v[1:2]
.LBB147_2:
	v_dual_mov_b32 v4, s3 :: v_dual_mov_b32 v3, s2
	s_and_not1_b32 vcc_lo, exec_lo, s6
	s_cbranch_vccnz .LBB147_4
; %bb.3:
	v_dual_mov_b32 v4, s3 :: v_dual_mov_b32 v3, s2
	flat_load_b64 v[3:4], v[3:4]
.LBB147_4:
	s_waitcnt vmcnt(0) lgkmcnt(0)
	v_cmp_neq_f64_e32 vcc_lo, 0, v[1:2]
	v_cmp_neq_f64_e64 s2, 1.0, v[3:4]
	s_delay_alu instid0(VALU_DEP_1) | instskip(NEXT) | instid1(SALU_CYCLE_1)
	s_or_b32 s2, vcc_lo, s2
	s_and_saveexec_b32 s3, s2
	s_cbranch_execz .LBB147_23
; %bb.5:
	s_load_b64 s[2:3], s[0:1], 0x0
	v_lshrrev_b32_e32 v5, 3, v0
	s_delay_alu instid0(VALU_DEP_1) | instskip(SKIP_1) | instid1(VALU_DEP_1)
	v_lshl_or_b32 v5, s15, 4, v5
	s_waitcnt lgkmcnt(0)
	v_cmp_gt_i32_e32 vcc_lo, s2, v5
	s_and_b32 exec_lo, exec_lo, vcc_lo
	s_cbranch_execz .LBB147_23
; %bb.6:
	s_load_b256 s[4:11], s[0:1], 0x10
	v_ashrrev_i32_e32 v6, 31, v5
	v_and_b32_e32 v0, 7, v0
	s_cmp_lg_u32 s3, 0
	s_delay_alu instid0(VALU_DEP_2) | instskip(SKIP_1) | instid1(VALU_DEP_1)
	v_lshlrev_b64 v[6:7], 2, v[5:6]
	s_waitcnt lgkmcnt(0)
	v_add_co_u32 v6, vcc_lo, s4, v6
	s_delay_alu instid0(VALU_DEP_2) | instskip(SKIP_4) | instid1(VALU_DEP_2)
	v_add_co_ci_u32_e32 v7, vcc_lo, s5, v7, vcc_lo
	global_load_b64 v[6:7], v[6:7], off
	s_waitcnt vmcnt(0)
	v_subrev_nc_u32_e32 v6, s12, v6
	v_subrev_nc_u32_e32 v16, s12, v7
	v_add_nc_u32_e32 v6, v6, v0
	s_delay_alu instid0(VALU_DEP_1)
	v_cmp_lt_i32_e64 s2, v6, v16
	s_cbranch_scc0 .LBB147_12
; %bb.7:
	v_mov_b32_e32 v8, 0
	v_mov_b32_e32 v9, 0
	s_delay_alu instid0(VALU_DEP_1)
	v_dual_mov_b32 v11, v9 :: v_dual_mov_b32 v10, v8
	s_and_saveexec_b32 s3, s2
	s_cbranch_execz .LBB147_11
; %bb.8:
	v_dual_mov_b32 v8, 0 :: v_dual_mov_b32 v13, 0
	v_dual_mov_b32 v9, 0 :: v_dual_lshlrev_b32 v12, 5, v6
	v_mov_b32_e32 v14, v6
	s_mov_b32 s4, 0
	s_delay_alu instid0(VALU_DEP_2)
	v_dual_mov_b32 v11, v9 :: v_dual_mov_b32 v10, v8
.LBB147_9:                              ; =>This Inner Loop Header: Depth=1
	s_delay_alu instid0(VALU_DEP_2) | instskip(NEXT) | instid1(VALU_DEP_1)
	v_ashrrev_i32_e32 v15, 31, v14
	v_lshlrev_b64 v[17:18], 2, v[14:15]
	v_add_nc_u32_e32 v14, 8, v14
	s_delay_alu instid0(VALU_DEP_2) | instskip(NEXT) | instid1(VALU_DEP_3)
	v_add_co_u32 v17, vcc_lo, s6, v17
	v_add_co_ci_u32_e32 v18, vcc_lo, s7, v18, vcc_lo
	global_load_b32 v7, v[17:18], off
	v_lshlrev_b64 v[17:18], 3, v[12:13]
	v_add_nc_u32_e32 v12, 0x100, v12
	s_delay_alu instid0(VALU_DEP_2) | instskip(NEXT) | instid1(VALU_DEP_3)
	v_add_co_u32 v81, vcc_lo, s8, v17
	v_add_co_ci_u32_e32 v82, vcc_lo, s9, v18, vcc_lo
	s_waitcnt vmcnt(0)
	v_subrev_nc_u32_e32 v7, s12, v7
	s_delay_alu instid0(VALU_DEP_1) | instskip(NEXT) | instid1(VALU_DEP_1)
	v_dual_mov_b32 v20, v13 :: v_dual_lshlrev_b32 v19, 4, v7
	v_lshlrev_b64 v[19:20], 3, v[19:20]
	s_delay_alu instid0(VALU_DEP_1) | instskip(NEXT) | instid1(VALU_DEP_2)
	v_add_co_u32 v83, vcc_lo, s10, v19
	v_add_co_ci_u32_e32 v84, vcc_lo, s11, v20, vcc_lo
	v_cmp_ge_i32_e32 vcc_lo, v14, v16
	s_clause 0x1
	global_load_b128 v[17:20], v[81:82], off offset:16
	global_load_b128 v[21:24], v[81:82], off
	s_clause 0x1
	global_load_b128 v[25:28], v[83:84], off
	global_load_b128 v[29:32], v[83:84], off offset:16
	s_clause 0x3
	global_load_b128 v[33:36], v[81:82], off offset:32
	global_load_b128 v[37:40], v[81:82], off offset:48
	;; [unrolled: 1-line block ×4, first 2 shown]
	s_clause 0x1
	global_load_b128 v[49:52], v[83:84], off offset:32
	global_load_b128 v[53:56], v[83:84], off offset:48
	s_clause 0x3
	global_load_b128 v[57:60], v[81:82], off offset:96
	global_load_b128 v[61:64], v[81:82], off offset:112
	;; [unrolled: 1-line block ×4, first 2 shown]
	s_clause 0x1
	global_load_b128 v[73:76], v[83:84], off offset:64
	global_load_b128 v[77:80], v[83:84], off offset:80
	s_or_b32 s4, vcc_lo, s4
	s_waitcnt vmcnt(13)
	v_fma_f64 v[7:8], v[21:22], v[25:26], v[8:9]
	v_fma_f64 v[9:10], v[23:24], v[25:26], v[10:11]
	s_delay_alu instid0(VALU_DEP_2) | instskip(NEXT) | instid1(VALU_DEP_2)
	v_fma_f64 v[21:22], v[17:18], v[27:28], v[7:8]
	v_fma_f64 v[23:24], v[19:20], v[27:28], v[9:10]
	s_clause 0x1
	global_load_b128 v[7:10], v[81:82], off offset:160
	global_load_b128 v[17:20], v[81:82], off offset:176
	s_waitcnt vmcnt(13)
	v_fma_f64 v[21:22], v[33:34], v[29:30], v[21:22]
	v_fma_f64 v[23:24], v[35:36], v[29:30], v[23:24]
	s_waitcnt vmcnt(12)
	s_delay_alu instid0(VALU_DEP_2) | instskip(NEXT) | instid1(VALU_DEP_2)
	v_fma_f64 v[37:38], v[37:38], v[31:32], v[21:22]
	v_fma_f64 v[39:40], v[39:40], v[31:32], v[23:24]
	s_clause 0x1
	global_load_b128 v[21:24], v[81:82], off offset:208
	global_load_b128 v[25:28], v[81:82], off offset:192
	s_clause 0x1
	global_load_b128 v[29:32], v[83:84], off offset:96
	global_load_b128 v[33:36], v[83:84], off offset:112
	s_waitcnt vmcnt(13)
	v_fma_f64 v[37:38], v[45:46], v[49:50], v[37:38]
	v_fma_f64 v[39:40], v[47:48], v[49:50], v[39:40]
	s_delay_alu instid0(VALU_DEP_2) | instskip(NEXT) | instid1(VALU_DEP_2)
	v_fma_f64 v[45:46], v[41:42], v[51:52], v[37:38]
	v_fma_f64 v[47:48], v[43:44], v[51:52], v[39:40]
	s_clause 0x1
	global_load_b128 v[37:40], v[81:82], off offset:224
	global_load_b128 v[41:44], v[81:82], off offset:240
	s_waitcnt vmcnt(13)
	v_fma_f64 v[45:46], v[57:58], v[53:54], v[45:46]
	v_fma_f64 v[47:48], v[59:60], v[53:54], v[47:48]
	s_waitcnt vmcnt(12)
	s_delay_alu instid0(VALU_DEP_2) | instskip(NEXT) | instid1(VALU_DEP_2)
	v_fma_f64 v[45:46], v[61:62], v[55:56], v[45:46]
	v_fma_f64 v[47:48], v[63:64], v[55:56], v[47:48]
	s_waitcnt vmcnt(9)
	s_delay_alu instid0(VALU_DEP_2) | instskip(NEXT) | instid1(VALU_DEP_2)
	v_fma_f64 v[45:46], v[69:70], v[73:74], v[45:46]
	v_fma_f64 v[47:48], v[71:72], v[73:74], v[47:48]
	s_delay_alu instid0(VALU_DEP_2) | instskip(NEXT) | instid1(VALU_DEP_2)
	v_fma_f64 v[45:46], v[65:66], v[75:76], v[45:46]
	v_fma_f64 v[47:48], v[67:68], v[75:76], v[47:48]
	s_waitcnt vmcnt(7)
	s_delay_alu instid0(VALU_DEP_2) | instskip(NEXT) | instid1(VALU_DEP_2)
	v_fma_f64 v[7:8], v[7:8], v[77:78], v[45:46]
	v_fma_f64 v[9:10], v[9:10], v[77:78], v[47:48]
	s_waitcnt vmcnt(6)
	;; [unrolled: 4-line block ×3, first 2 shown]
	s_delay_alu instid0(VALU_DEP_2) | instskip(NEXT) | instid1(VALU_DEP_2)
	v_fma_f64 v[7:8], v[25:26], v[29:30], v[7:8]
	v_fma_f64 v[9:10], v[27:28], v[29:30], v[9:10]
	s_delay_alu instid0(VALU_DEP_2) | instskip(NEXT) | instid1(VALU_DEP_2)
	v_fma_f64 v[7:8], v[21:22], v[31:32], v[7:8]
	v_fma_f64 v[9:10], v[23:24], v[31:32], v[9:10]
	s_waitcnt vmcnt(1)
	s_delay_alu instid0(VALU_DEP_2) | instskip(NEXT) | instid1(VALU_DEP_2)
	v_fma_f64 v[7:8], v[37:38], v[33:34], v[7:8]
	v_fma_f64 v[10:11], v[39:40], v[33:34], v[9:10]
	s_waitcnt vmcnt(0)
	s_delay_alu instid0(VALU_DEP_2) | instskip(NEXT) | instid1(VALU_DEP_2)
	v_fma_f64 v[8:9], v[41:42], v[35:36], v[7:8]
	v_fma_f64 v[10:11], v[43:44], v[35:36], v[10:11]
	s_and_not1_b32 exec_lo, exec_lo, s4
	s_cbranch_execnz .LBB147_9
; %bb.10:
	s_or_b32 exec_lo, exec_lo, s4
.LBB147_11:
	s_delay_alu instid0(SALU_CYCLE_1)
	s_or_b32 exec_lo, exec_lo, s3
	s_cbranch_execz .LBB147_13
	s_branch .LBB147_18
.LBB147_12:
                                        ; implicit-def: $vgpr8_vgpr9
                                        ; implicit-def: $vgpr10_vgpr11
.LBB147_13:
	v_mov_b32_e32 v8, 0
	v_mov_b32_e32 v9, 0
	s_delay_alu instid0(VALU_DEP_1)
	v_dual_mov_b32 v11, v9 :: v_dual_mov_b32 v10, v8
	s_and_saveexec_b32 s3, s2
	s_cbranch_execz .LBB147_17
; %bb.14:
	v_dual_mov_b32 v8, 0 :: v_dual_mov_b32 v13, 0
	v_dual_mov_b32 v9, 0 :: v_dual_lshlrev_b32 v12, 5, v6
	s_mov_b32 s2, 0
	s_delay_alu instid0(VALU_DEP_1)
	v_dual_mov_b32 v11, v9 :: v_dual_mov_b32 v10, v8
.LBB147_15:                             ; =>This Inner Loop Header: Depth=1
	v_ashrrev_i32_e32 v7, 31, v6
	s_delay_alu instid0(VALU_DEP_1) | instskip(SKIP_1) | instid1(VALU_DEP_2)
	v_lshlrev_b64 v[14:15], 2, v[6:7]
	v_add_nc_u32_e32 v6, 8, v6
	v_add_co_u32 v14, vcc_lo, s6, v14
	s_delay_alu instid0(VALU_DEP_3) | instskip(SKIP_3) | instid1(VALU_DEP_2)
	v_add_co_ci_u32_e32 v15, vcc_lo, s7, v15, vcc_lo
	global_load_b32 v7, v[14:15], off
	v_lshlrev_b64 v[14:15], 3, v[12:13]
	v_add_nc_u32_e32 v12, 0x100, v12
	v_add_co_u32 v14, vcc_lo, s8, v14
	s_delay_alu instid0(VALU_DEP_3) | instskip(SKIP_2) | instid1(VALU_DEP_1)
	v_add_co_ci_u32_e32 v15, vcc_lo, s9, v15, vcc_lo
	s_waitcnt vmcnt(0)
	v_subrev_nc_u32_e32 v7, s12, v7
	v_dual_mov_b32 v18, v13 :: v_dual_lshlrev_b32 v17, 4, v7
	s_delay_alu instid0(VALU_DEP_1)
	v_lshlrev_b64 v[21:22], 3, v[17:18]
	global_load_b128 v[17:20], v[14:15], off offset:16
	v_add_co_u32 v89, vcc_lo, s10, v21
	v_add_co_ci_u32_e32 v90, vcc_lo, s11, v22, vcc_lo
	s_clause 0x2
	global_load_b128 v[21:24], v[14:15], off
	global_load_b128 v[25:28], v[14:15], off offset:144
	global_load_b128 v[29:32], v[14:15], off offset:128
	s_clause 0x1
	global_load_b128 v[33:36], v[89:90], off
	global_load_b128 v[37:40], v[89:90], off offset:16
	s_clause 0x3
	global_load_b128 v[41:44], v[14:15], off offset:48
	global_load_b128 v[45:48], v[14:15], off offset:32
	;; [unrolled: 1-line block ×4, first 2 shown]
	s_clause 0x1
	global_load_b128 v[57:60], v[89:90], off offset:32
	global_load_b128 v[61:64], v[89:90], off offset:48
	s_clause 0x3
	global_load_b128 v[65:68], v[14:15], off offset:80
	global_load_b128 v[69:72], v[14:15], off offset:64
	;; [unrolled: 1-line block ×4, first 2 shown]
	s_clause 0x1
	global_load_b128 v[81:84], v[89:90], off offset:64
	global_load_b128 v[85:88], v[89:90], off offset:80
	v_cmp_ge_i32_e32 vcc_lo, v6, v16
	s_or_b32 s2, vcc_lo, s2
	s_waitcnt vmcnt(13)
	v_fma_f64 v[7:8], v[21:22], v[33:34], v[8:9]
	v_fma_f64 v[9:10], v[29:30], v[33:34], v[10:11]
	s_delay_alu instid0(VALU_DEP_2) | instskip(NEXT) | instid1(VALU_DEP_2)
	v_fma_f64 v[7:8], v[23:24], v[35:36], v[7:8]
	v_fma_f64 v[9:10], v[31:32], v[35:36], v[9:10]
	s_waitcnt vmcnt(12)
	s_delay_alu instid0(VALU_DEP_2) | instskip(NEXT) | instid1(VALU_DEP_2)
	v_fma_f64 v[7:8], v[17:18], v[37:38], v[7:8]
	v_fma_f64 v[9:10], v[25:26], v[37:38], v[9:10]
	s_delay_alu instid0(VALU_DEP_2) | instskip(NEXT) | instid1(VALU_DEP_2)
	v_fma_f64 v[37:38], v[19:20], v[39:40], v[7:8]
	v_fma_f64 v[39:40], v[27:28], v[39:40], v[9:10]
	s_clause 0x3
	global_load_b128 v[7:10], v[14:15], off offset:112
	global_load_b128 v[17:20], v[14:15], off offset:96
	;; [unrolled: 1-line block ×4, first 2 shown]
	s_clause 0x1
	global_load_b128 v[29:32], v[89:90], off offset:96
	global_load_b128 v[33:36], v[89:90], off offset:112
	s_waitcnt vmcnt(13)
	v_fma_f64 v[14:15], v[45:46], v[57:58], v[37:38]
	v_fma_f64 v[37:38], v[53:54], v[57:58], v[39:40]
	s_delay_alu instid0(VALU_DEP_2) | instskip(NEXT) | instid1(VALU_DEP_2)
	v_fma_f64 v[14:15], v[47:48], v[59:60], v[14:15]
	v_fma_f64 v[37:38], v[55:56], v[59:60], v[37:38]
	s_waitcnt vmcnt(12)
	s_delay_alu instid0(VALU_DEP_2) | instskip(NEXT) | instid1(VALU_DEP_2)
	v_fma_f64 v[14:15], v[41:42], v[61:62], v[14:15]
	v_fma_f64 v[37:38], v[49:50], v[61:62], v[37:38]
	s_delay_alu instid0(VALU_DEP_2) | instskip(NEXT) | instid1(VALU_DEP_2)
	v_fma_f64 v[14:15], v[43:44], v[63:64], v[14:15]
	v_fma_f64 v[37:38], v[51:52], v[63:64], v[37:38]
	s_waitcnt vmcnt(7)
	s_delay_alu instid0(VALU_DEP_2) | instskip(NEXT) | instid1(VALU_DEP_2)
	;; [unrolled: 7-line block ×5, first 2 shown]
	v_fma_f64 v[7:8], v[7:8], v[33:34], v[14:15]
	v_fma_f64 v[14:15], v[21:22], v[33:34], v[17:18]
	s_delay_alu instid0(VALU_DEP_2) | instskip(NEXT) | instid1(VALU_DEP_2)
	v_fma_f64 v[8:9], v[9:10], v[35:36], v[7:8]
	v_fma_f64 v[10:11], v[23:24], v[35:36], v[14:15]
	s_and_not1_b32 exec_lo, exec_lo, s2
	s_cbranch_execnz .LBB147_15
; %bb.16:
	s_or_b32 exec_lo, exec_lo, s2
.LBB147_17:
	s_delay_alu instid0(SALU_CYCLE_1)
	s_or_b32 exec_lo, exec_lo, s3
.LBB147_18:
	v_mbcnt_lo_u32_b32 v14, -1, 0
	s_delay_alu instid0(VALU_DEP_1) | instskip(NEXT) | instid1(VALU_DEP_1)
	v_xor_b32_e32 v6, 4, v14
	v_cmp_gt_i32_e32 vcc_lo, 32, v6
	v_cndmask_b32_e32 v6, v14, v6, vcc_lo
	s_delay_alu instid0(VALU_DEP_1)
	v_lshlrev_b32_e32 v13, 2, v6
	ds_bpermute_b32 v6, v13, v8
	ds_bpermute_b32 v7, v13, v9
	;; [unrolled: 1-line block ×4, first 2 shown]
	s_waitcnt lgkmcnt(2)
	v_add_f64 v[6:7], v[8:9], v[6:7]
	s_waitcnt lgkmcnt(0)
	v_add_f64 v[8:9], v[10:11], v[12:13]
	v_xor_b32_e32 v10, 2, v14
	s_delay_alu instid0(VALU_DEP_1) | instskip(SKIP_1) | instid1(VALU_DEP_1)
	v_cmp_gt_i32_e32 vcc_lo, 32, v10
	v_cndmask_b32_e32 v10, v14, v10, vcc_lo
	v_lshlrev_b32_e32 v13, 2, v10
	ds_bpermute_b32 v10, v13, v6
	ds_bpermute_b32 v11, v13, v7
	;; [unrolled: 1-line block ×4, first 2 shown]
	s_waitcnt lgkmcnt(2)
	v_add_f64 v[6:7], v[6:7], v[10:11]
	s_waitcnt lgkmcnt(0)
	v_add_f64 v[10:11], v[8:9], v[12:13]
	v_xor_b32_e32 v8, 1, v14
	s_delay_alu instid0(VALU_DEP_1) | instskip(SKIP_2) | instid1(VALU_DEP_2)
	v_cmp_gt_i32_e32 vcc_lo, 32, v8
	v_cndmask_b32_e32 v8, v14, v8, vcc_lo
	v_cmp_eq_u32_e32 vcc_lo, 7, v0
	v_lshlrev_b32_e32 v13, 2, v8
	ds_bpermute_b32 v8, v13, v6
	ds_bpermute_b32 v9, v13, v7
	;; [unrolled: 1-line block ×4, first 2 shown]
	s_and_b32 exec_lo, exec_lo, vcc_lo
	s_cbranch_execz .LBB147_23
; %bb.19:
	s_waitcnt lgkmcnt(2)
	v_add_f64 v[8:9], v[6:7], v[8:9]
	s_waitcnt lgkmcnt(0)
	v_add_f64 v[6:7], v[10:11], v[12:13]
	s_load_b64 s[0:1], s[0:1], 0x38
	s_mov_b32 s2, exec_lo
	v_cmpx_eq_f64_e32 0, v[3:4]
	s_xor_b32 s2, exec_lo, s2
	s_cbranch_execz .LBB147_21
; %bb.20:
	s_delay_alu instid0(VALU_DEP_3) | instskip(NEXT) | instid1(VALU_DEP_3)
	v_mul_f64 v[8:9], v[1:2], v[8:9]
	v_mul_f64 v[10:11], v[1:2], v[6:7]
	v_lshlrev_b32_e32 v0, 1, v5
                                        ; implicit-def: $vgpr5
                                        ; implicit-def: $vgpr3_vgpr4
                                        ; implicit-def: $vgpr6_vgpr7
	s_delay_alu instid0(VALU_DEP_1) | instskip(NEXT) | instid1(VALU_DEP_1)
	v_ashrrev_i32_e32 v1, 31, v0
	v_lshlrev_b64 v[0:1], 3, v[0:1]
	s_waitcnt lgkmcnt(0)
	s_delay_alu instid0(VALU_DEP_1) | instskip(NEXT) | instid1(VALU_DEP_2)
	v_add_co_u32 v0, vcc_lo, s0, v0
	v_add_co_ci_u32_e32 v1, vcc_lo, s1, v1, vcc_lo
	global_store_b128 v[0:1], v[8:11], off
                                        ; implicit-def: $vgpr1_vgpr2
                                        ; implicit-def: $vgpr8_vgpr9
.LBB147_21:
	s_and_not1_saveexec_b32 s2, s2
	s_cbranch_execz .LBB147_23
; %bb.22:
	v_lshlrev_b32_e32 v10, 1, v5
	s_delay_alu instid0(VALU_DEP_4) | instskip(NEXT) | instid1(VALU_DEP_4)
	v_mul_f64 v[8:9], v[1:2], v[8:9]
	v_mul_f64 v[5:6], v[1:2], v[6:7]
	s_delay_alu instid0(VALU_DEP_3) | instskip(NEXT) | instid1(VALU_DEP_1)
	v_ashrrev_i32_e32 v11, 31, v10
	v_lshlrev_b64 v[10:11], 3, v[10:11]
	s_waitcnt lgkmcnt(0)
	s_delay_alu instid0(VALU_DEP_1) | instskip(NEXT) | instid1(VALU_DEP_2)
	v_add_co_u32 v14, vcc_lo, s0, v10
	v_add_co_ci_u32_e32 v15, vcc_lo, s1, v11, vcc_lo
	global_load_b128 v[10:13], v[14:15], off
	s_waitcnt vmcnt(0)
	v_fma_f64 v[0:1], v[3:4], v[10:11], v[8:9]
	v_fma_f64 v[2:3], v[3:4], v[12:13], v[5:6]
	global_store_b128 v[14:15], v[0:3], off
.LBB147_23:
	s_nop 0
	s_sendmsg sendmsg(MSG_DEALLOC_VGPRS)
	s_endpgm
	.section	.rodata,"a",@progbits
	.p2align	6, 0x0
	.amdhsa_kernel _ZN9rocsparseL19gebsrmvn_2xn_kernelILj128ELj16ELj8EdEEvi20rocsparse_direction_NS_24const_host_device_scalarIT2_EEPKiS6_PKS3_S8_S4_PS3_21rocsparse_index_base_b
		.amdhsa_group_segment_fixed_size 0
		.amdhsa_private_segment_fixed_size 0
		.amdhsa_kernarg_size 72
		.amdhsa_user_sgpr_count 15
		.amdhsa_user_sgpr_dispatch_ptr 0
		.amdhsa_user_sgpr_queue_ptr 0
		.amdhsa_user_sgpr_kernarg_segment_ptr 1
		.amdhsa_user_sgpr_dispatch_id 0
		.amdhsa_user_sgpr_private_segment_size 0
		.amdhsa_wavefront_size32 1
		.amdhsa_uses_dynamic_stack 0
		.amdhsa_enable_private_segment 0
		.amdhsa_system_sgpr_workgroup_id_x 1
		.amdhsa_system_sgpr_workgroup_id_y 0
		.amdhsa_system_sgpr_workgroup_id_z 0
		.amdhsa_system_sgpr_workgroup_info 0
		.amdhsa_system_vgpr_workitem_id 0
		.amdhsa_next_free_vgpr 91
		.amdhsa_next_free_sgpr 16
		.amdhsa_reserve_vcc 1
		.amdhsa_float_round_mode_32 0
		.amdhsa_float_round_mode_16_64 0
		.amdhsa_float_denorm_mode_32 3
		.amdhsa_float_denorm_mode_16_64 3
		.amdhsa_dx10_clamp 1
		.amdhsa_ieee_mode 1
		.amdhsa_fp16_overflow 0
		.amdhsa_workgroup_processor_mode 1
		.amdhsa_memory_ordered 1
		.amdhsa_forward_progress 0
		.amdhsa_shared_vgpr_count 0
		.amdhsa_exception_fp_ieee_invalid_op 0
		.amdhsa_exception_fp_denorm_src 0
		.amdhsa_exception_fp_ieee_div_zero 0
		.amdhsa_exception_fp_ieee_overflow 0
		.amdhsa_exception_fp_ieee_underflow 0
		.amdhsa_exception_fp_ieee_inexact 0
		.amdhsa_exception_int_div_zero 0
	.end_amdhsa_kernel
	.section	.text._ZN9rocsparseL19gebsrmvn_2xn_kernelILj128ELj16ELj8EdEEvi20rocsparse_direction_NS_24const_host_device_scalarIT2_EEPKiS6_PKS3_S8_S4_PS3_21rocsparse_index_base_b,"axG",@progbits,_ZN9rocsparseL19gebsrmvn_2xn_kernelILj128ELj16ELj8EdEEvi20rocsparse_direction_NS_24const_host_device_scalarIT2_EEPKiS6_PKS3_S8_S4_PS3_21rocsparse_index_base_b,comdat
.Lfunc_end147:
	.size	_ZN9rocsparseL19gebsrmvn_2xn_kernelILj128ELj16ELj8EdEEvi20rocsparse_direction_NS_24const_host_device_scalarIT2_EEPKiS6_PKS3_S8_S4_PS3_21rocsparse_index_base_b, .Lfunc_end147-_ZN9rocsparseL19gebsrmvn_2xn_kernelILj128ELj16ELj8EdEEvi20rocsparse_direction_NS_24const_host_device_scalarIT2_EEPKiS6_PKS3_S8_S4_PS3_21rocsparse_index_base_b
                                        ; -- End function
	.section	.AMDGPU.csdata,"",@progbits
; Kernel info:
; codeLenInByte = 2312
; NumSgprs: 18
; NumVgprs: 91
; ScratchSize: 0
; MemoryBound: 1
; FloatMode: 240
; IeeeMode: 1
; LDSByteSize: 0 bytes/workgroup (compile time only)
; SGPRBlocks: 2
; VGPRBlocks: 11
; NumSGPRsForWavesPerEU: 18
; NumVGPRsForWavesPerEU: 91
; Occupancy: 16
; WaveLimiterHint : 1
; COMPUTE_PGM_RSRC2:SCRATCH_EN: 0
; COMPUTE_PGM_RSRC2:USER_SGPR: 15
; COMPUTE_PGM_RSRC2:TRAP_HANDLER: 0
; COMPUTE_PGM_RSRC2:TGID_X_EN: 1
; COMPUTE_PGM_RSRC2:TGID_Y_EN: 0
; COMPUTE_PGM_RSRC2:TGID_Z_EN: 0
; COMPUTE_PGM_RSRC2:TIDIG_COMP_CNT: 0
	.section	.text._ZN9rocsparseL19gebsrmvn_2xn_kernelILj128ELj16ELj16EdEEvi20rocsparse_direction_NS_24const_host_device_scalarIT2_EEPKiS6_PKS3_S8_S4_PS3_21rocsparse_index_base_b,"axG",@progbits,_ZN9rocsparseL19gebsrmvn_2xn_kernelILj128ELj16ELj16EdEEvi20rocsparse_direction_NS_24const_host_device_scalarIT2_EEPKiS6_PKS3_S8_S4_PS3_21rocsparse_index_base_b,comdat
	.globl	_ZN9rocsparseL19gebsrmvn_2xn_kernelILj128ELj16ELj16EdEEvi20rocsparse_direction_NS_24const_host_device_scalarIT2_EEPKiS6_PKS3_S8_S4_PS3_21rocsparse_index_base_b ; -- Begin function _ZN9rocsparseL19gebsrmvn_2xn_kernelILj128ELj16ELj16EdEEvi20rocsparse_direction_NS_24const_host_device_scalarIT2_EEPKiS6_PKS3_S8_S4_PS3_21rocsparse_index_base_b
	.p2align	8
	.type	_ZN9rocsparseL19gebsrmvn_2xn_kernelILj128ELj16ELj16EdEEvi20rocsparse_direction_NS_24const_host_device_scalarIT2_EEPKiS6_PKS3_S8_S4_PS3_21rocsparse_index_base_b,@function
_ZN9rocsparseL19gebsrmvn_2xn_kernelILj128ELj16ELj16EdEEvi20rocsparse_direction_NS_24const_host_device_scalarIT2_EEPKiS6_PKS3_S8_S4_PS3_21rocsparse_index_base_b: ; @_ZN9rocsparseL19gebsrmvn_2xn_kernelILj128ELj16ELj16EdEEvi20rocsparse_direction_NS_24const_host_device_scalarIT2_EEPKiS6_PKS3_S8_S4_PS3_21rocsparse_index_base_b
; %bb.0:
	s_clause 0x2
	s_load_b64 s[12:13], s[0:1], 0x40
	s_load_b64 s[4:5], s[0:1], 0x8
	;; [unrolled: 1-line block ×3, first 2 shown]
	s_waitcnt lgkmcnt(0)
	s_bitcmp1_b32 s13, 0
	v_dual_mov_b32 v1, s4 :: v_dual_mov_b32 v2, s5
	s_cselect_b32 s6, -1, 0
	s_delay_alu instid0(SALU_CYCLE_1)
	s_and_b32 vcc_lo, exec_lo, s6
	s_xor_b32 s6, s6, -1
	s_cbranch_vccnz .LBB148_2
; %bb.1:
	v_dual_mov_b32 v1, s4 :: v_dual_mov_b32 v2, s5
	flat_load_b64 v[1:2], v[1:2]
.LBB148_2:
	v_dual_mov_b32 v4, s3 :: v_dual_mov_b32 v3, s2
	s_and_not1_b32 vcc_lo, exec_lo, s6
	s_cbranch_vccnz .LBB148_4
; %bb.3:
	v_dual_mov_b32 v4, s3 :: v_dual_mov_b32 v3, s2
	flat_load_b64 v[3:4], v[3:4]
.LBB148_4:
	s_waitcnt vmcnt(0) lgkmcnt(0)
	v_cmp_neq_f64_e32 vcc_lo, 0, v[1:2]
	v_cmp_neq_f64_e64 s2, 1.0, v[3:4]
	s_delay_alu instid0(VALU_DEP_1) | instskip(NEXT) | instid1(SALU_CYCLE_1)
	s_or_b32 s2, vcc_lo, s2
	s_and_saveexec_b32 s3, s2
	s_cbranch_execz .LBB148_23
; %bb.5:
	s_load_b64 s[2:3], s[0:1], 0x0
	v_lshrrev_b32_e32 v5, 4, v0
	s_delay_alu instid0(VALU_DEP_1) | instskip(SKIP_1) | instid1(VALU_DEP_1)
	v_lshl_or_b32 v5, s15, 3, v5
	s_waitcnt lgkmcnt(0)
	v_cmp_gt_i32_e32 vcc_lo, s2, v5
	s_and_b32 exec_lo, exec_lo, vcc_lo
	s_cbranch_execz .LBB148_23
; %bb.6:
	s_load_b256 s[4:11], s[0:1], 0x10
	v_ashrrev_i32_e32 v6, 31, v5
	v_and_b32_e32 v0, 15, v0
	s_cmp_lg_u32 s3, 0
	s_delay_alu instid0(VALU_DEP_2) | instskip(SKIP_1) | instid1(VALU_DEP_1)
	v_lshlrev_b64 v[6:7], 2, v[5:6]
	s_waitcnt lgkmcnt(0)
	v_add_co_u32 v6, vcc_lo, s4, v6
	s_delay_alu instid0(VALU_DEP_2) | instskip(SKIP_4) | instid1(VALU_DEP_2)
	v_add_co_ci_u32_e32 v7, vcc_lo, s5, v7, vcc_lo
	global_load_b64 v[6:7], v[6:7], off
	s_waitcnt vmcnt(0)
	v_subrev_nc_u32_e32 v6, s12, v6
	v_subrev_nc_u32_e32 v16, s12, v7
	v_add_nc_u32_e32 v6, v6, v0
	s_delay_alu instid0(VALU_DEP_1)
	v_cmp_lt_i32_e64 s2, v6, v16
	s_cbranch_scc0 .LBB148_12
; %bb.7:
	v_mov_b32_e32 v8, 0
	v_mov_b32_e32 v9, 0
	s_delay_alu instid0(VALU_DEP_1)
	v_dual_mov_b32 v11, v9 :: v_dual_mov_b32 v10, v8
	s_and_saveexec_b32 s3, s2
	s_cbranch_execz .LBB148_11
; %bb.8:
	v_dual_mov_b32 v8, 0 :: v_dual_mov_b32 v13, 0
	v_dual_mov_b32 v9, 0 :: v_dual_lshlrev_b32 v12, 5, v6
	v_mov_b32_e32 v14, v6
	s_mov_b32 s4, 0
	s_delay_alu instid0(VALU_DEP_2)
	v_dual_mov_b32 v11, v9 :: v_dual_mov_b32 v10, v8
.LBB148_9:                              ; =>This Inner Loop Header: Depth=1
	s_delay_alu instid0(VALU_DEP_2) | instskip(NEXT) | instid1(VALU_DEP_1)
	v_ashrrev_i32_e32 v15, 31, v14
	v_lshlrev_b64 v[17:18], 2, v[14:15]
	v_add_nc_u32_e32 v14, 16, v14
	s_delay_alu instid0(VALU_DEP_2) | instskip(NEXT) | instid1(VALU_DEP_3)
	v_add_co_u32 v17, vcc_lo, s6, v17
	v_add_co_ci_u32_e32 v18, vcc_lo, s7, v18, vcc_lo
	global_load_b32 v7, v[17:18], off
	v_lshlrev_b64 v[17:18], 3, v[12:13]
	v_add_nc_u32_e32 v12, 0x200, v12
	s_delay_alu instid0(VALU_DEP_2) | instskip(NEXT) | instid1(VALU_DEP_3)
	v_add_co_u32 v81, vcc_lo, s8, v17
	v_add_co_ci_u32_e32 v82, vcc_lo, s9, v18, vcc_lo
	s_waitcnt vmcnt(0)
	v_subrev_nc_u32_e32 v7, s12, v7
	s_delay_alu instid0(VALU_DEP_1) | instskip(NEXT) | instid1(VALU_DEP_1)
	v_dual_mov_b32 v20, v13 :: v_dual_lshlrev_b32 v19, 4, v7
	v_lshlrev_b64 v[19:20], 3, v[19:20]
	s_delay_alu instid0(VALU_DEP_1) | instskip(NEXT) | instid1(VALU_DEP_2)
	v_add_co_u32 v83, vcc_lo, s10, v19
	v_add_co_ci_u32_e32 v84, vcc_lo, s11, v20, vcc_lo
	v_cmp_ge_i32_e32 vcc_lo, v14, v16
	s_clause 0x1
	global_load_b128 v[17:20], v[81:82], off offset:16
	global_load_b128 v[21:24], v[81:82], off
	s_clause 0x1
	global_load_b128 v[25:28], v[83:84], off
	global_load_b128 v[29:32], v[83:84], off offset:16
	s_clause 0x3
	global_load_b128 v[33:36], v[81:82], off offset:32
	global_load_b128 v[37:40], v[81:82], off offset:48
	;; [unrolled: 1-line block ×4, first 2 shown]
	s_clause 0x1
	global_load_b128 v[49:52], v[83:84], off offset:32
	global_load_b128 v[53:56], v[83:84], off offset:48
	s_clause 0x3
	global_load_b128 v[57:60], v[81:82], off offset:96
	global_load_b128 v[61:64], v[81:82], off offset:112
	;; [unrolled: 1-line block ×4, first 2 shown]
	s_clause 0x1
	global_load_b128 v[73:76], v[83:84], off offset:64
	global_load_b128 v[77:80], v[83:84], off offset:80
	s_or_b32 s4, vcc_lo, s4
	s_waitcnt vmcnt(13)
	v_fma_f64 v[7:8], v[21:22], v[25:26], v[8:9]
	v_fma_f64 v[9:10], v[23:24], v[25:26], v[10:11]
	s_delay_alu instid0(VALU_DEP_2) | instskip(NEXT) | instid1(VALU_DEP_2)
	v_fma_f64 v[21:22], v[17:18], v[27:28], v[7:8]
	v_fma_f64 v[23:24], v[19:20], v[27:28], v[9:10]
	s_clause 0x1
	global_load_b128 v[7:10], v[81:82], off offset:160
	global_load_b128 v[17:20], v[81:82], off offset:176
	s_waitcnt vmcnt(13)
	v_fma_f64 v[21:22], v[33:34], v[29:30], v[21:22]
	v_fma_f64 v[23:24], v[35:36], v[29:30], v[23:24]
	s_waitcnt vmcnt(12)
	s_delay_alu instid0(VALU_DEP_2) | instskip(NEXT) | instid1(VALU_DEP_2)
	v_fma_f64 v[37:38], v[37:38], v[31:32], v[21:22]
	v_fma_f64 v[39:40], v[39:40], v[31:32], v[23:24]
	s_clause 0x1
	global_load_b128 v[21:24], v[81:82], off offset:208
	global_load_b128 v[25:28], v[81:82], off offset:192
	s_clause 0x1
	global_load_b128 v[29:32], v[83:84], off offset:96
	global_load_b128 v[33:36], v[83:84], off offset:112
	s_waitcnt vmcnt(13)
	v_fma_f64 v[37:38], v[45:46], v[49:50], v[37:38]
	v_fma_f64 v[39:40], v[47:48], v[49:50], v[39:40]
	s_delay_alu instid0(VALU_DEP_2) | instskip(NEXT) | instid1(VALU_DEP_2)
	v_fma_f64 v[45:46], v[41:42], v[51:52], v[37:38]
	v_fma_f64 v[47:48], v[43:44], v[51:52], v[39:40]
	s_clause 0x1
	global_load_b128 v[37:40], v[81:82], off offset:224
	global_load_b128 v[41:44], v[81:82], off offset:240
	s_waitcnt vmcnt(13)
	v_fma_f64 v[45:46], v[57:58], v[53:54], v[45:46]
	v_fma_f64 v[47:48], v[59:60], v[53:54], v[47:48]
	s_waitcnt vmcnt(12)
	s_delay_alu instid0(VALU_DEP_2) | instskip(NEXT) | instid1(VALU_DEP_2)
	v_fma_f64 v[45:46], v[61:62], v[55:56], v[45:46]
	v_fma_f64 v[47:48], v[63:64], v[55:56], v[47:48]
	s_waitcnt vmcnt(9)
	s_delay_alu instid0(VALU_DEP_2) | instskip(NEXT) | instid1(VALU_DEP_2)
	v_fma_f64 v[45:46], v[69:70], v[73:74], v[45:46]
	v_fma_f64 v[47:48], v[71:72], v[73:74], v[47:48]
	s_delay_alu instid0(VALU_DEP_2) | instskip(NEXT) | instid1(VALU_DEP_2)
	v_fma_f64 v[45:46], v[65:66], v[75:76], v[45:46]
	v_fma_f64 v[47:48], v[67:68], v[75:76], v[47:48]
	s_waitcnt vmcnt(7)
	s_delay_alu instid0(VALU_DEP_2) | instskip(NEXT) | instid1(VALU_DEP_2)
	v_fma_f64 v[7:8], v[7:8], v[77:78], v[45:46]
	v_fma_f64 v[9:10], v[9:10], v[77:78], v[47:48]
	s_waitcnt vmcnt(6)
	;; [unrolled: 4-line block ×3, first 2 shown]
	s_delay_alu instid0(VALU_DEP_2) | instskip(NEXT) | instid1(VALU_DEP_2)
	v_fma_f64 v[7:8], v[25:26], v[29:30], v[7:8]
	v_fma_f64 v[9:10], v[27:28], v[29:30], v[9:10]
	s_delay_alu instid0(VALU_DEP_2) | instskip(NEXT) | instid1(VALU_DEP_2)
	v_fma_f64 v[7:8], v[21:22], v[31:32], v[7:8]
	v_fma_f64 v[9:10], v[23:24], v[31:32], v[9:10]
	s_waitcnt vmcnt(1)
	s_delay_alu instid0(VALU_DEP_2) | instskip(NEXT) | instid1(VALU_DEP_2)
	v_fma_f64 v[7:8], v[37:38], v[33:34], v[7:8]
	v_fma_f64 v[10:11], v[39:40], v[33:34], v[9:10]
	s_waitcnt vmcnt(0)
	s_delay_alu instid0(VALU_DEP_2) | instskip(NEXT) | instid1(VALU_DEP_2)
	v_fma_f64 v[8:9], v[41:42], v[35:36], v[7:8]
	v_fma_f64 v[10:11], v[43:44], v[35:36], v[10:11]
	s_and_not1_b32 exec_lo, exec_lo, s4
	s_cbranch_execnz .LBB148_9
; %bb.10:
	s_or_b32 exec_lo, exec_lo, s4
.LBB148_11:
	s_delay_alu instid0(SALU_CYCLE_1)
	s_or_b32 exec_lo, exec_lo, s3
	s_cbranch_execz .LBB148_13
	s_branch .LBB148_18
.LBB148_12:
                                        ; implicit-def: $vgpr8_vgpr9
                                        ; implicit-def: $vgpr10_vgpr11
.LBB148_13:
	v_mov_b32_e32 v8, 0
	v_mov_b32_e32 v9, 0
	s_delay_alu instid0(VALU_DEP_1)
	v_dual_mov_b32 v11, v9 :: v_dual_mov_b32 v10, v8
	s_and_saveexec_b32 s3, s2
	s_cbranch_execz .LBB148_17
; %bb.14:
	v_dual_mov_b32 v8, 0 :: v_dual_mov_b32 v13, 0
	v_dual_mov_b32 v9, 0 :: v_dual_lshlrev_b32 v12, 5, v6
	s_mov_b32 s2, 0
	s_delay_alu instid0(VALU_DEP_1)
	v_dual_mov_b32 v11, v9 :: v_dual_mov_b32 v10, v8
.LBB148_15:                             ; =>This Inner Loop Header: Depth=1
	v_ashrrev_i32_e32 v7, 31, v6
	s_delay_alu instid0(VALU_DEP_1) | instskip(SKIP_1) | instid1(VALU_DEP_2)
	v_lshlrev_b64 v[14:15], 2, v[6:7]
	v_add_nc_u32_e32 v6, 16, v6
	v_add_co_u32 v14, vcc_lo, s6, v14
	s_delay_alu instid0(VALU_DEP_3) | instskip(SKIP_3) | instid1(VALU_DEP_2)
	v_add_co_ci_u32_e32 v15, vcc_lo, s7, v15, vcc_lo
	global_load_b32 v7, v[14:15], off
	v_lshlrev_b64 v[14:15], 3, v[12:13]
	v_add_nc_u32_e32 v12, 0x200, v12
	v_add_co_u32 v14, vcc_lo, s8, v14
	s_delay_alu instid0(VALU_DEP_3) | instskip(SKIP_2) | instid1(VALU_DEP_1)
	v_add_co_ci_u32_e32 v15, vcc_lo, s9, v15, vcc_lo
	s_waitcnt vmcnt(0)
	v_subrev_nc_u32_e32 v7, s12, v7
	v_dual_mov_b32 v18, v13 :: v_dual_lshlrev_b32 v17, 4, v7
	s_delay_alu instid0(VALU_DEP_1)
	v_lshlrev_b64 v[21:22], 3, v[17:18]
	global_load_b128 v[17:20], v[14:15], off offset:16
	v_add_co_u32 v89, vcc_lo, s10, v21
	v_add_co_ci_u32_e32 v90, vcc_lo, s11, v22, vcc_lo
	s_clause 0x2
	global_load_b128 v[21:24], v[14:15], off
	global_load_b128 v[25:28], v[14:15], off offset:144
	global_load_b128 v[29:32], v[14:15], off offset:128
	s_clause 0x1
	global_load_b128 v[33:36], v[89:90], off
	global_load_b128 v[37:40], v[89:90], off offset:16
	s_clause 0x3
	global_load_b128 v[41:44], v[14:15], off offset:48
	global_load_b128 v[45:48], v[14:15], off offset:32
	;; [unrolled: 1-line block ×4, first 2 shown]
	s_clause 0x1
	global_load_b128 v[57:60], v[89:90], off offset:32
	global_load_b128 v[61:64], v[89:90], off offset:48
	s_clause 0x3
	global_load_b128 v[65:68], v[14:15], off offset:80
	global_load_b128 v[69:72], v[14:15], off offset:64
	global_load_b128 v[73:76], v[14:15], off offset:208
	global_load_b128 v[77:80], v[14:15], off offset:192
	s_clause 0x1
	global_load_b128 v[81:84], v[89:90], off offset:64
	global_load_b128 v[85:88], v[89:90], off offset:80
	v_cmp_ge_i32_e32 vcc_lo, v6, v16
	s_or_b32 s2, vcc_lo, s2
	s_waitcnt vmcnt(13)
	v_fma_f64 v[7:8], v[21:22], v[33:34], v[8:9]
	v_fma_f64 v[9:10], v[29:30], v[33:34], v[10:11]
	s_delay_alu instid0(VALU_DEP_2) | instskip(NEXT) | instid1(VALU_DEP_2)
	v_fma_f64 v[7:8], v[23:24], v[35:36], v[7:8]
	v_fma_f64 v[9:10], v[31:32], v[35:36], v[9:10]
	s_waitcnt vmcnt(12)
	s_delay_alu instid0(VALU_DEP_2) | instskip(NEXT) | instid1(VALU_DEP_2)
	v_fma_f64 v[7:8], v[17:18], v[37:38], v[7:8]
	v_fma_f64 v[9:10], v[25:26], v[37:38], v[9:10]
	s_delay_alu instid0(VALU_DEP_2) | instskip(NEXT) | instid1(VALU_DEP_2)
	v_fma_f64 v[37:38], v[19:20], v[39:40], v[7:8]
	v_fma_f64 v[39:40], v[27:28], v[39:40], v[9:10]
	s_clause 0x3
	global_load_b128 v[7:10], v[14:15], off offset:112
	global_load_b128 v[17:20], v[14:15], off offset:96
	;; [unrolled: 1-line block ×4, first 2 shown]
	s_clause 0x1
	global_load_b128 v[29:32], v[89:90], off offset:96
	global_load_b128 v[33:36], v[89:90], off offset:112
	s_waitcnt vmcnt(13)
	v_fma_f64 v[14:15], v[45:46], v[57:58], v[37:38]
	v_fma_f64 v[37:38], v[53:54], v[57:58], v[39:40]
	s_delay_alu instid0(VALU_DEP_2) | instskip(NEXT) | instid1(VALU_DEP_2)
	v_fma_f64 v[14:15], v[47:48], v[59:60], v[14:15]
	v_fma_f64 v[37:38], v[55:56], v[59:60], v[37:38]
	s_waitcnt vmcnt(12)
	s_delay_alu instid0(VALU_DEP_2) | instskip(NEXT) | instid1(VALU_DEP_2)
	v_fma_f64 v[14:15], v[41:42], v[61:62], v[14:15]
	v_fma_f64 v[37:38], v[49:50], v[61:62], v[37:38]
	s_delay_alu instid0(VALU_DEP_2) | instskip(NEXT) | instid1(VALU_DEP_2)
	v_fma_f64 v[14:15], v[43:44], v[63:64], v[14:15]
	v_fma_f64 v[37:38], v[51:52], v[63:64], v[37:38]
	s_waitcnt vmcnt(7)
	s_delay_alu instid0(VALU_DEP_2) | instskip(NEXT) | instid1(VALU_DEP_2)
	;; [unrolled: 7-line block ×5, first 2 shown]
	v_fma_f64 v[7:8], v[7:8], v[33:34], v[14:15]
	v_fma_f64 v[14:15], v[21:22], v[33:34], v[17:18]
	s_delay_alu instid0(VALU_DEP_2) | instskip(NEXT) | instid1(VALU_DEP_2)
	v_fma_f64 v[8:9], v[9:10], v[35:36], v[7:8]
	v_fma_f64 v[10:11], v[23:24], v[35:36], v[14:15]
	s_and_not1_b32 exec_lo, exec_lo, s2
	s_cbranch_execnz .LBB148_15
; %bb.16:
	s_or_b32 exec_lo, exec_lo, s2
.LBB148_17:
	s_delay_alu instid0(SALU_CYCLE_1)
	s_or_b32 exec_lo, exec_lo, s3
.LBB148_18:
	v_mbcnt_lo_u32_b32 v14, -1, 0
	s_delay_alu instid0(VALU_DEP_1) | instskip(NEXT) | instid1(VALU_DEP_1)
	v_xor_b32_e32 v6, 8, v14
	v_cmp_gt_i32_e32 vcc_lo, 32, v6
	v_cndmask_b32_e32 v6, v14, v6, vcc_lo
	s_delay_alu instid0(VALU_DEP_1)
	v_lshlrev_b32_e32 v13, 2, v6
	ds_bpermute_b32 v6, v13, v8
	ds_bpermute_b32 v7, v13, v9
	ds_bpermute_b32 v12, v13, v10
	ds_bpermute_b32 v13, v13, v11
	s_waitcnt lgkmcnt(2)
	v_add_f64 v[6:7], v[8:9], v[6:7]
	s_waitcnt lgkmcnt(0)
	v_add_f64 v[8:9], v[10:11], v[12:13]
	v_xor_b32_e32 v10, 4, v14
	s_delay_alu instid0(VALU_DEP_1) | instskip(SKIP_1) | instid1(VALU_DEP_1)
	v_cmp_gt_i32_e32 vcc_lo, 32, v10
	v_cndmask_b32_e32 v10, v14, v10, vcc_lo
	v_lshlrev_b32_e32 v13, 2, v10
	ds_bpermute_b32 v10, v13, v6
	ds_bpermute_b32 v11, v13, v7
	;; [unrolled: 1-line block ×4, first 2 shown]
	s_waitcnt lgkmcnt(2)
	v_add_f64 v[6:7], v[6:7], v[10:11]
	v_xor_b32_e32 v10, 2, v14
	s_waitcnt lgkmcnt(0)
	v_add_f64 v[8:9], v[8:9], v[12:13]
	s_delay_alu instid0(VALU_DEP_2) | instskip(SKIP_1) | instid1(VALU_DEP_1)
	v_cmp_gt_i32_e32 vcc_lo, 32, v10
	v_cndmask_b32_e32 v10, v14, v10, vcc_lo
	v_lshlrev_b32_e32 v13, 2, v10
	ds_bpermute_b32 v10, v13, v6
	ds_bpermute_b32 v11, v13, v7
	;; [unrolled: 1-line block ×4, first 2 shown]
	s_waitcnt lgkmcnt(2)
	v_add_f64 v[6:7], v[6:7], v[10:11]
	s_waitcnt lgkmcnt(0)
	v_add_f64 v[10:11], v[8:9], v[12:13]
	v_xor_b32_e32 v8, 1, v14
	s_delay_alu instid0(VALU_DEP_1) | instskip(SKIP_2) | instid1(VALU_DEP_2)
	v_cmp_gt_i32_e32 vcc_lo, 32, v8
	v_cndmask_b32_e32 v8, v14, v8, vcc_lo
	v_cmp_eq_u32_e32 vcc_lo, 15, v0
	v_lshlrev_b32_e32 v13, 2, v8
	ds_bpermute_b32 v8, v13, v6
	ds_bpermute_b32 v9, v13, v7
	ds_bpermute_b32 v12, v13, v10
	ds_bpermute_b32 v13, v13, v11
	s_and_b32 exec_lo, exec_lo, vcc_lo
	s_cbranch_execz .LBB148_23
; %bb.19:
	s_waitcnt lgkmcnt(2)
	v_add_f64 v[8:9], v[6:7], v[8:9]
	s_waitcnt lgkmcnt(0)
	v_add_f64 v[6:7], v[10:11], v[12:13]
	s_load_b64 s[0:1], s[0:1], 0x38
	s_mov_b32 s2, exec_lo
	v_cmpx_eq_f64_e32 0, v[3:4]
	s_xor_b32 s2, exec_lo, s2
	s_cbranch_execz .LBB148_21
; %bb.20:
	s_delay_alu instid0(VALU_DEP_3) | instskip(NEXT) | instid1(VALU_DEP_3)
	v_mul_f64 v[8:9], v[1:2], v[8:9]
	v_mul_f64 v[10:11], v[1:2], v[6:7]
	v_lshlrev_b32_e32 v0, 1, v5
                                        ; implicit-def: $vgpr5
                                        ; implicit-def: $vgpr3_vgpr4
                                        ; implicit-def: $vgpr6_vgpr7
	s_delay_alu instid0(VALU_DEP_1) | instskip(NEXT) | instid1(VALU_DEP_1)
	v_ashrrev_i32_e32 v1, 31, v0
	v_lshlrev_b64 v[0:1], 3, v[0:1]
	s_waitcnt lgkmcnt(0)
	s_delay_alu instid0(VALU_DEP_1) | instskip(NEXT) | instid1(VALU_DEP_2)
	v_add_co_u32 v0, vcc_lo, s0, v0
	v_add_co_ci_u32_e32 v1, vcc_lo, s1, v1, vcc_lo
	global_store_b128 v[0:1], v[8:11], off
                                        ; implicit-def: $vgpr1_vgpr2
                                        ; implicit-def: $vgpr8_vgpr9
.LBB148_21:
	s_and_not1_saveexec_b32 s2, s2
	s_cbranch_execz .LBB148_23
; %bb.22:
	v_lshlrev_b32_e32 v10, 1, v5
	s_delay_alu instid0(VALU_DEP_4) | instskip(NEXT) | instid1(VALU_DEP_4)
	v_mul_f64 v[8:9], v[1:2], v[8:9]
	v_mul_f64 v[5:6], v[1:2], v[6:7]
	s_delay_alu instid0(VALU_DEP_3) | instskip(NEXT) | instid1(VALU_DEP_1)
	v_ashrrev_i32_e32 v11, 31, v10
	v_lshlrev_b64 v[10:11], 3, v[10:11]
	s_waitcnt lgkmcnt(0)
	s_delay_alu instid0(VALU_DEP_1) | instskip(NEXT) | instid1(VALU_DEP_2)
	v_add_co_u32 v14, vcc_lo, s0, v10
	v_add_co_ci_u32_e32 v15, vcc_lo, s1, v11, vcc_lo
	global_load_b128 v[10:13], v[14:15], off
	s_waitcnt vmcnt(0)
	v_fma_f64 v[0:1], v[3:4], v[10:11], v[8:9]
	v_fma_f64 v[2:3], v[3:4], v[12:13], v[5:6]
	global_store_b128 v[14:15], v[0:3], off
.LBB148_23:
	s_nop 0
	s_sendmsg sendmsg(MSG_DEALLOC_VGPRS)
	s_endpgm
	.section	.rodata,"a",@progbits
	.p2align	6, 0x0
	.amdhsa_kernel _ZN9rocsparseL19gebsrmvn_2xn_kernelILj128ELj16ELj16EdEEvi20rocsparse_direction_NS_24const_host_device_scalarIT2_EEPKiS6_PKS3_S8_S4_PS3_21rocsparse_index_base_b
		.amdhsa_group_segment_fixed_size 0
		.amdhsa_private_segment_fixed_size 0
		.amdhsa_kernarg_size 72
		.amdhsa_user_sgpr_count 15
		.amdhsa_user_sgpr_dispatch_ptr 0
		.amdhsa_user_sgpr_queue_ptr 0
		.amdhsa_user_sgpr_kernarg_segment_ptr 1
		.amdhsa_user_sgpr_dispatch_id 0
		.amdhsa_user_sgpr_private_segment_size 0
		.amdhsa_wavefront_size32 1
		.amdhsa_uses_dynamic_stack 0
		.amdhsa_enable_private_segment 0
		.amdhsa_system_sgpr_workgroup_id_x 1
		.amdhsa_system_sgpr_workgroup_id_y 0
		.amdhsa_system_sgpr_workgroup_id_z 0
		.amdhsa_system_sgpr_workgroup_info 0
		.amdhsa_system_vgpr_workitem_id 0
		.amdhsa_next_free_vgpr 91
		.amdhsa_next_free_sgpr 16
		.amdhsa_reserve_vcc 1
		.amdhsa_float_round_mode_32 0
		.amdhsa_float_round_mode_16_64 0
		.amdhsa_float_denorm_mode_32 3
		.amdhsa_float_denorm_mode_16_64 3
		.amdhsa_dx10_clamp 1
		.amdhsa_ieee_mode 1
		.amdhsa_fp16_overflow 0
		.amdhsa_workgroup_processor_mode 1
		.amdhsa_memory_ordered 1
		.amdhsa_forward_progress 0
		.amdhsa_shared_vgpr_count 0
		.amdhsa_exception_fp_ieee_invalid_op 0
		.amdhsa_exception_fp_denorm_src 0
		.amdhsa_exception_fp_ieee_div_zero 0
		.amdhsa_exception_fp_ieee_overflow 0
		.amdhsa_exception_fp_ieee_underflow 0
		.amdhsa_exception_fp_ieee_inexact 0
		.amdhsa_exception_int_div_zero 0
	.end_amdhsa_kernel
	.section	.text._ZN9rocsparseL19gebsrmvn_2xn_kernelILj128ELj16ELj16EdEEvi20rocsparse_direction_NS_24const_host_device_scalarIT2_EEPKiS6_PKS3_S8_S4_PS3_21rocsparse_index_base_b,"axG",@progbits,_ZN9rocsparseL19gebsrmvn_2xn_kernelILj128ELj16ELj16EdEEvi20rocsparse_direction_NS_24const_host_device_scalarIT2_EEPKiS6_PKS3_S8_S4_PS3_21rocsparse_index_base_b,comdat
.Lfunc_end148:
	.size	_ZN9rocsparseL19gebsrmvn_2xn_kernelILj128ELj16ELj16EdEEvi20rocsparse_direction_NS_24const_host_device_scalarIT2_EEPKiS6_PKS3_S8_S4_PS3_21rocsparse_index_base_b, .Lfunc_end148-_ZN9rocsparseL19gebsrmvn_2xn_kernelILj128ELj16ELj16EdEEvi20rocsparse_direction_NS_24const_host_device_scalarIT2_EEPKiS6_PKS3_S8_S4_PS3_21rocsparse_index_base_b
                                        ; -- End function
	.section	.AMDGPU.csdata,"",@progbits
; Kernel info:
; codeLenInByte = 2388
; NumSgprs: 18
; NumVgprs: 91
; ScratchSize: 0
; MemoryBound: 1
; FloatMode: 240
; IeeeMode: 1
; LDSByteSize: 0 bytes/workgroup (compile time only)
; SGPRBlocks: 2
; VGPRBlocks: 11
; NumSGPRsForWavesPerEU: 18
; NumVGPRsForWavesPerEU: 91
; Occupancy: 16
; WaveLimiterHint : 1
; COMPUTE_PGM_RSRC2:SCRATCH_EN: 0
; COMPUTE_PGM_RSRC2:USER_SGPR: 15
; COMPUTE_PGM_RSRC2:TRAP_HANDLER: 0
; COMPUTE_PGM_RSRC2:TGID_X_EN: 1
; COMPUTE_PGM_RSRC2:TGID_Y_EN: 0
; COMPUTE_PGM_RSRC2:TGID_Z_EN: 0
; COMPUTE_PGM_RSRC2:TIDIG_COMP_CNT: 0
	.section	.text._ZN9rocsparseL19gebsrmvn_2xn_kernelILj128ELj16ELj32EdEEvi20rocsparse_direction_NS_24const_host_device_scalarIT2_EEPKiS6_PKS3_S8_S4_PS3_21rocsparse_index_base_b,"axG",@progbits,_ZN9rocsparseL19gebsrmvn_2xn_kernelILj128ELj16ELj32EdEEvi20rocsparse_direction_NS_24const_host_device_scalarIT2_EEPKiS6_PKS3_S8_S4_PS3_21rocsparse_index_base_b,comdat
	.globl	_ZN9rocsparseL19gebsrmvn_2xn_kernelILj128ELj16ELj32EdEEvi20rocsparse_direction_NS_24const_host_device_scalarIT2_EEPKiS6_PKS3_S8_S4_PS3_21rocsparse_index_base_b ; -- Begin function _ZN9rocsparseL19gebsrmvn_2xn_kernelILj128ELj16ELj32EdEEvi20rocsparse_direction_NS_24const_host_device_scalarIT2_EEPKiS6_PKS3_S8_S4_PS3_21rocsparse_index_base_b
	.p2align	8
	.type	_ZN9rocsparseL19gebsrmvn_2xn_kernelILj128ELj16ELj32EdEEvi20rocsparse_direction_NS_24const_host_device_scalarIT2_EEPKiS6_PKS3_S8_S4_PS3_21rocsparse_index_base_b,@function
_ZN9rocsparseL19gebsrmvn_2xn_kernelILj128ELj16ELj32EdEEvi20rocsparse_direction_NS_24const_host_device_scalarIT2_EEPKiS6_PKS3_S8_S4_PS3_21rocsparse_index_base_b: ; @_ZN9rocsparseL19gebsrmvn_2xn_kernelILj128ELj16ELj32EdEEvi20rocsparse_direction_NS_24const_host_device_scalarIT2_EEPKiS6_PKS3_S8_S4_PS3_21rocsparse_index_base_b
; %bb.0:
	s_clause 0x2
	s_load_b64 s[12:13], s[0:1], 0x40
	s_load_b64 s[4:5], s[0:1], 0x8
	;; [unrolled: 1-line block ×3, first 2 shown]
	s_waitcnt lgkmcnt(0)
	s_bitcmp1_b32 s13, 0
	v_dual_mov_b32 v1, s4 :: v_dual_mov_b32 v2, s5
	s_cselect_b32 s6, -1, 0
	s_delay_alu instid0(SALU_CYCLE_1)
	s_and_b32 vcc_lo, exec_lo, s6
	s_xor_b32 s6, s6, -1
	s_cbranch_vccnz .LBB149_2
; %bb.1:
	v_dual_mov_b32 v1, s4 :: v_dual_mov_b32 v2, s5
	flat_load_b64 v[1:2], v[1:2]
.LBB149_2:
	v_dual_mov_b32 v4, s3 :: v_dual_mov_b32 v3, s2
	s_and_not1_b32 vcc_lo, exec_lo, s6
	s_cbranch_vccnz .LBB149_4
; %bb.3:
	v_dual_mov_b32 v4, s3 :: v_dual_mov_b32 v3, s2
	flat_load_b64 v[3:4], v[3:4]
.LBB149_4:
	s_waitcnt vmcnt(0) lgkmcnt(0)
	v_cmp_neq_f64_e32 vcc_lo, 0, v[1:2]
	v_cmp_neq_f64_e64 s2, 1.0, v[3:4]
	s_delay_alu instid0(VALU_DEP_1) | instskip(NEXT) | instid1(SALU_CYCLE_1)
	s_or_b32 s2, vcc_lo, s2
	s_and_saveexec_b32 s3, s2
	s_cbranch_execz .LBB149_23
; %bb.5:
	s_load_b64 s[2:3], s[0:1], 0x0
	v_lshrrev_b32_e32 v5, 5, v0
	s_delay_alu instid0(VALU_DEP_1) | instskip(SKIP_1) | instid1(VALU_DEP_1)
	v_lshl_or_b32 v5, s15, 2, v5
	s_waitcnt lgkmcnt(0)
	v_cmp_gt_i32_e32 vcc_lo, s2, v5
	s_and_b32 exec_lo, exec_lo, vcc_lo
	s_cbranch_execz .LBB149_23
; %bb.6:
	s_load_b256 s[4:11], s[0:1], 0x10
	v_ashrrev_i32_e32 v6, 31, v5
	v_and_b32_e32 v0, 31, v0
	s_cmp_lg_u32 s3, 0
	s_delay_alu instid0(VALU_DEP_2) | instskip(SKIP_1) | instid1(VALU_DEP_1)
	v_lshlrev_b64 v[6:7], 2, v[5:6]
	s_waitcnt lgkmcnt(0)
	v_add_co_u32 v6, vcc_lo, s4, v6
	s_delay_alu instid0(VALU_DEP_2) | instskip(SKIP_4) | instid1(VALU_DEP_2)
	v_add_co_ci_u32_e32 v7, vcc_lo, s5, v7, vcc_lo
	global_load_b64 v[6:7], v[6:7], off
	s_waitcnt vmcnt(0)
	v_subrev_nc_u32_e32 v6, s12, v6
	v_subrev_nc_u32_e32 v16, s12, v7
	v_add_nc_u32_e32 v6, v6, v0
	s_delay_alu instid0(VALU_DEP_1)
	v_cmp_lt_i32_e64 s2, v6, v16
	s_cbranch_scc0 .LBB149_12
; %bb.7:
	v_mov_b32_e32 v8, 0
	v_mov_b32_e32 v9, 0
	s_delay_alu instid0(VALU_DEP_1)
	v_dual_mov_b32 v11, v9 :: v_dual_mov_b32 v10, v8
	s_and_saveexec_b32 s3, s2
	s_cbranch_execz .LBB149_11
; %bb.8:
	v_dual_mov_b32 v8, 0 :: v_dual_mov_b32 v13, 0
	v_dual_mov_b32 v9, 0 :: v_dual_lshlrev_b32 v12, 5, v6
	v_mov_b32_e32 v14, v6
	s_mov_b32 s4, 0
	s_delay_alu instid0(VALU_DEP_2)
	v_dual_mov_b32 v11, v9 :: v_dual_mov_b32 v10, v8
.LBB149_9:                              ; =>This Inner Loop Header: Depth=1
	s_delay_alu instid0(VALU_DEP_2) | instskip(NEXT) | instid1(VALU_DEP_1)
	v_ashrrev_i32_e32 v15, 31, v14
	v_lshlrev_b64 v[17:18], 2, v[14:15]
	v_add_nc_u32_e32 v14, 32, v14
	s_delay_alu instid0(VALU_DEP_2) | instskip(NEXT) | instid1(VALU_DEP_3)
	v_add_co_u32 v17, vcc_lo, s6, v17
	v_add_co_ci_u32_e32 v18, vcc_lo, s7, v18, vcc_lo
	global_load_b32 v7, v[17:18], off
	v_lshlrev_b64 v[17:18], 3, v[12:13]
	v_add_nc_u32_e32 v12, 0x400, v12
	s_delay_alu instid0(VALU_DEP_2) | instskip(NEXT) | instid1(VALU_DEP_3)
	v_add_co_u32 v81, vcc_lo, s8, v17
	v_add_co_ci_u32_e32 v82, vcc_lo, s9, v18, vcc_lo
	s_waitcnt vmcnt(0)
	v_subrev_nc_u32_e32 v7, s12, v7
	s_delay_alu instid0(VALU_DEP_1) | instskip(NEXT) | instid1(VALU_DEP_1)
	v_dual_mov_b32 v20, v13 :: v_dual_lshlrev_b32 v19, 4, v7
	v_lshlrev_b64 v[19:20], 3, v[19:20]
	s_delay_alu instid0(VALU_DEP_1) | instskip(NEXT) | instid1(VALU_DEP_2)
	v_add_co_u32 v83, vcc_lo, s10, v19
	v_add_co_ci_u32_e32 v84, vcc_lo, s11, v20, vcc_lo
	v_cmp_ge_i32_e32 vcc_lo, v14, v16
	s_clause 0x1
	global_load_b128 v[17:20], v[81:82], off offset:16
	global_load_b128 v[21:24], v[81:82], off
	s_clause 0x1
	global_load_b128 v[25:28], v[83:84], off
	global_load_b128 v[29:32], v[83:84], off offset:16
	s_clause 0x3
	global_load_b128 v[33:36], v[81:82], off offset:32
	global_load_b128 v[37:40], v[81:82], off offset:48
	;; [unrolled: 1-line block ×4, first 2 shown]
	s_clause 0x1
	global_load_b128 v[49:52], v[83:84], off offset:32
	global_load_b128 v[53:56], v[83:84], off offset:48
	s_clause 0x3
	global_load_b128 v[57:60], v[81:82], off offset:96
	global_load_b128 v[61:64], v[81:82], off offset:112
	;; [unrolled: 1-line block ×4, first 2 shown]
	s_clause 0x1
	global_load_b128 v[73:76], v[83:84], off offset:64
	global_load_b128 v[77:80], v[83:84], off offset:80
	s_or_b32 s4, vcc_lo, s4
	s_waitcnt vmcnt(13)
	v_fma_f64 v[7:8], v[21:22], v[25:26], v[8:9]
	v_fma_f64 v[9:10], v[23:24], v[25:26], v[10:11]
	s_delay_alu instid0(VALU_DEP_2) | instskip(NEXT) | instid1(VALU_DEP_2)
	v_fma_f64 v[21:22], v[17:18], v[27:28], v[7:8]
	v_fma_f64 v[23:24], v[19:20], v[27:28], v[9:10]
	s_clause 0x1
	global_load_b128 v[7:10], v[81:82], off offset:160
	global_load_b128 v[17:20], v[81:82], off offset:176
	s_waitcnt vmcnt(13)
	v_fma_f64 v[21:22], v[33:34], v[29:30], v[21:22]
	v_fma_f64 v[23:24], v[35:36], v[29:30], v[23:24]
	s_waitcnt vmcnt(12)
	s_delay_alu instid0(VALU_DEP_2) | instskip(NEXT) | instid1(VALU_DEP_2)
	v_fma_f64 v[37:38], v[37:38], v[31:32], v[21:22]
	v_fma_f64 v[39:40], v[39:40], v[31:32], v[23:24]
	s_clause 0x1
	global_load_b128 v[21:24], v[81:82], off offset:208
	global_load_b128 v[25:28], v[81:82], off offset:192
	s_clause 0x1
	global_load_b128 v[29:32], v[83:84], off offset:96
	global_load_b128 v[33:36], v[83:84], off offset:112
	s_waitcnt vmcnt(13)
	v_fma_f64 v[37:38], v[45:46], v[49:50], v[37:38]
	v_fma_f64 v[39:40], v[47:48], v[49:50], v[39:40]
	s_delay_alu instid0(VALU_DEP_2) | instskip(NEXT) | instid1(VALU_DEP_2)
	v_fma_f64 v[45:46], v[41:42], v[51:52], v[37:38]
	v_fma_f64 v[47:48], v[43:44], v[51:52], v[39:40]
	s_clause 0x1
	global_load_b128 v[37:40], v[81:82], off offset:224
	global_load_b128 v[41:44], v[81:82], off offset:240
	s_waitcnt vmcnt(13)
	v_fma_f64 v[45:46], v[57:58], v[53:54], v[45:46]
	v_fma_f64 v[47:48], v[59:60], v[53:54], v[47:48]
	s_waitcnt vmcnt(12)
	s_delay_alu instid0(VALU_DEP_2) | instskip(NEXT) | instid1(VALU_DEP_2)
	v_fma_f64 v[45:46], v[61:62], v[55:56], v[45:46]
	v_fma_f64 v[47:48], v[63:64], v[55:56], v[47:48]
	s_waitcnt vmcnt(9)
	s_delay_alu instid0(VALU_DEP_2) | instskip(NEXT) | instid1(VALU_DEP_2)
	v_fma_f64 v[45:46], v[69:70], v[73:74], v[45:46]
	v_fma_f64 v[47:48], v[71:72], v[73:74], v[47:48]
	s_delay_alu instid0(VALU_DEP_2) | instskip(NEXT) | instid1(VALU_DEP_2)
	v_fma_f64 v[45:46], v[65:66], v[75:76], v[45:46]
	v_fma_f64 v[47:48], v[67:68], v[75:76], v[47:48]
	s_waitcnt vmcnt(7)
	s_delay_alu instid0(VALU_DEP_2) | instskip(NEXT) | instid1(VALU_DEP_2)
	v_fma_f64 v[7:8], v[7:8], v[77:78], v[45:46]
	v_fma_f64 v[9:10], v[9:10], v[77:78], v[47:48]
	s_waitcnt vmcnt(6)
	;; [unrolled: 4-line block ×3, first 2 shown]
	s_delay_alu instid0(VALU_DEP_2) | instskip(NEXT) | instid1(VALU_DEP_2)
	v_fma_f64 v[7:8], v[25:26], v[29:30], v[7:8]
	v_fma_f64 v[9:10], v[27:28], v[29:30], v[9:10]
	s_delay_alu instid0(VALU_DEP_2) | instskip(NEXT) | instid1(VALU_DEP_2)
	v_fma_f64 v[7:8], v[21:22], v[31:32], v[7:8]
	v_fma_f64 v[9:10], v[23:24], v[31:32], v[9:10]
	s_waitcnt vmcnt(1)
	s_delay_alu instid0(VALU_DEP_2) | instskip(NEXT) | instid1(VALU_DEP_2)
	v_fma_f64 v[7:8], v[37:38], v[33:34], v[7:8]
	v_fma_f64 v[10:11], v[39:40], v[33:34], v[9:10]
	s_waitcnt vmcnt(0)
	s_delay_alu instid0(VALU_DEP_2) | instskip(NEXT) | instid1(VALU_DEP_2)
	v_fma_f64 v[8:9], v[41:42], v[35:36], v[7:8]
	v_fma_f64 v[10:11], v[43:44], v[35:36], v[10:11]
	s_and_not1_b32 exec_lo, exec_lo, s4
	s_cbranch_execnz .LBB149_9
; %bb.10:
	s_or_b32 exec_lo, exec_lo, s4
.LBB149_11:
	s_delay_alu instid0(SALU_CYCLE_1)
	s_or_b32 exec_lo, exec_lo, s3
	s_cbranch_execz .LBB149_13
	s_branch .LBB149_18
.LBB149_12:
                                        ; implicit-def: $vgpr8_vgpr9
                                        ; implicit-def: $vgpr10_vgpr11
.LBB149_13:
	v_mov_b32_e32 v8, 0
	v_mov_b32_e32 v9, 0
	s_delay_alu instid0(VALU_DEP_1)
	v_dual_mov_b32 v11, v9 :: v_dual_mov_b32 v10, v8
	s_and_saveexec_b32 s3, s2
	s_cbranch_execz .LBB149_17
; %bb.14:
	v_dual_mov_b32 v8, 0 :: v_dual_mov_b32 v13, 0
	v_dual_mov_b32 v9, 0 :: v_dual_lshlrev_b32 v12, 5, v6
	s_mov_b32 s2, 0
	s_delay_alu instid0(VALU_DEP_1)
	v_dual_mov_b32 v11, v9 :: v_dual_mov_b32 v10, v8
.LBB149_15:                             ; =>This Inner Loop Header: Depth=1
	v_ashrrev_i32_e32 v7, 31, v6
	s_delay_alu instid0(VALU_DEP_1) | instskip(SKIP_1) | instid1(VALU_DEP_2)
	v_lshlrev_b64 v[14:15], 2, v[6:7]
	v_add_nc_u32_e32 v6, 32, v6
	v_add_co_u32 v14, vcc_lo, s6, v14
	s_delay_alu instid0(VALU_DEP_3) | instskip(SKIP_3) | instid1(VALU_DEP_2)
	v_add_co_ci_u32_e32 v15, vcc_lo, s7, v15, vcc_lo
	global_load_b32 v7, v[14:15], off
	v_lshlrev_b64 v[14:15], 3, v[12:13]
	v_add_nc_u32_e32 v12, 0x400, v12
	v_add_co_u32 v14, vcc_lo, s8, v14
	s_delay_alu instid0(VALU_DEP_3) | instskip(SKIP_2) | instid1(VALU_DEP_1)
	v_add_co_ci_u32_e32 v15, vcc_lo, s9, v15, vcc_lo
	s_waitcnt vmcnt(0)
	v_subrev_nc_u32_e32 v7, s12, v7
	v_dual_mov_b32 v18, v13 :: v_dual_lshlrev_b32 v17, 4, v7
	s_delay_alu instid0(VALU_DEP_1)
	v_lshlrev_b64 v[21:22], 3, v[17:18]
	global_load_b128 v[17:20], v[14:15], off offset:16
	v_add_co_u32 v89, vcc_lo, s10, v21
	v_add_co_ci_u32_e32 v90, vcc_lo, s11, v22, vcc_lo
	s_clause 0x2
	global_load_b128 v[21:24], v[14:15], off
	global_load_b128 v[25:28], v[14:15], off offset:144
	global_load_b128 v[29:32], v[14:15], off offset:128
	s_clause 0x1
	global_load_b128 v[33:36], v[89:90], off
	global_load_b128 v[37:40], v[89:90], off offset:16
	s_clause 0x3
	global_load_b128 v[41:44], v[14:15], off offset:48
	global_load_b128 v[45:48], v[14:15], off offset:32
	global_load_b128 v[49:52], v[14:15], off offset:176
	global_load_b128 v[53:56], v[14:15], off offset:160
	s_clause 0x1
	global_load_b128 v[57:60], v[89:90], off offset:32
	global_load_b128 v[61:64], v[89:90], off offset:48
	s_clause 0x3
	global_load_b128 v[65:68], v[14:15], off offset:80
	global_load_b128 v[69:72], v[14:15], off offset:64
	;; [unrolled: 1-line block ×4, first 2 shown]
	s_clause 0x1
	global_load_b128 v[81:84], v[89:90], off offset:64
	global_load_b128 v[85:88], v[89:90], off offset:80
	v_cmp_ge_i32_e32 vcc_lo, v6, v16
	s_or_b32 s2, vcc_lo, s2
	s_waitcnt vmcnt(13)
	v_fma_f64 v[7:8], v[21:22], v[33:34], v[8:9]
	v_fma_f64 v[9:10], v[29:30], v[33:34], v[10:11]
	s_delay_alu instid0(VALU_DEP_2) | instskip(NEXT) | instid1(VALU_DEP_2)
	v_fma_f64 v[7:8], v[23:24], v[35:36], v[7:8]
	v_fma_f64 v[9:10], v[31:32], v[35:36], v[9:10]
	s_waitcnt vmcnt(12)
	s_delay_alu instid0(VALU_DEP_2) | instskip(NEXT) | instid1(VALU_DEP_2)
	v_fma_f64 v[7:8], v[17:18], v[37:38], v[7:8]
	v_fma_f64 v[9:10], v[25:26], v[37:38], v[9:10]
	s_delay_alu instid0(VALU_DEP_2) | instskip(NEXT) | instid1(VALU_DEP_2)
	v_fma_f64 v[37:38], v[19:20], v[39:40], v[7:8]
	v_fma_f64 v[39:40], v[27:28], v[39:40], v[9:10]
	s_clause 0x3
	global_load_b128 v[7:10], v[14:15], off offset:112
	global_load_b128 v[17:20], v[14:15], off offset:96
	;; [unrolled: 1-line block ×4, first 2 shown]
	s_clause 0x1
	global_load_b128 v[29:32], v[89:90], off offset:96
	global_load_b128 v[33:36], v[89:90], off offset:112
	s_waitcnt vmcnt(13)
	v_fma_f64 v[14:15], v[45:46], v[57:58], v[37:38]
	v_fma_f64 v[37:38], v[53:54], v[57:58], v[39:40]
	s_delay_alu instid0(VALU_DEP_2) | instskip(NEXT) | instid1(VALU_DEP_2)
	v_fma_f64 v[14:15], v[47:48], v[59:60], v[14:15]
	v_fma_f64 v[37:38], v[55:56], v[59:60], v[37:38]
	s_waitcnt vmcnt(12)
	s_delay_alu instid0(VALU_DEP_2) | instskip(NEXT) | instid1(VALU_DEP_2)
	v_fma_f64 v[14:15], v[41:42], v[61:62], v[14:15]
	v_fma_f64 v[37:38], v[49:50], v[61:62], v[37:38]
	s_delay_alu instid0(VALU_DEP_2) | instskip(NEXT) | instid1(VALU_DEP_2)
	v_fma_f64 v[14:15], v[43:44], v[63:64], v[14:15]
	v_fma_f64 v[37:38], v[51:52], v[63:64], v[37:38]
	s_waitcnt vmcnt(7)
	s_delay_alu instid0(VALU_DEP_2) | instskip(NEXT) | instid1(VALU_DEP_2)
	;; [unrolled: 7-line block ×5, first 2 shown]
	v_fma_f64 v[7:8], v[7:8], v[33:34], v[14:15]
	v_fma_f64 v[14:15], v[21:22], v[33:34], v[17:18]
	s_delay_alu instid0(VALU_DEP_2) | instskip(NEXT) | instid1(VALU_DEP_2)
	v_fma_f64 v[8:9], v[9:10], v[35:36], v[7:8]
	v_fma_f64 v[10:11], v[23:24], v[35:36], v[14:15]
	s_and_not1_b32 exec_lo, exec_lo, s2
	s_cbranch_execnz .LBB149_15
; %bb.16:
	s_or_b32 exec_lo, exec_lo, s2
.LBB149_17:
	s_delay_alu instid0(SALU_CYCLE_1)
	s_or_b32 exec_lo, exec_lo, s3
.LBB149_18:
	v_mbcnt_lo_u32_b32 v14, -1, 0
	s_delay_alu instid0(VALU_DEP_1) | instskip(NEXT) | instid1(VALU_DEP_1)
	v_xor_b32_e32 v6, 16, v14
	v_cmp_gt_i32_e32 vcc_lo, 32, v6
	v_cndmask_b32_e32 v6, v14, v6, vcc_lo
	s_delay_alu instid0(VALU_DEP_1)
	v_lshlrev_b32_e32 v13, 2, v6
	ds_bpermute_b32 v6, v13, v8
	ds_bpermute_b32 v7, v13, v9
	;; [unrolled: 1-line block ×4, first 2 shown]
	s_waitcnt lgkmcnt(2)
	v_add_f64 v[6:7], v[8:9], v[6:7]
	s_waitcnt lgkmcnt(0)
	v_add_f64 v[8:9], v[10:11], v[12:13]
	v_xor_b32_e32 v10, 8, v14
	s_delay_alu instid0(VALU_DEP_1) | instskip(SKIP_1) | instid1(VALU_DEP_1)
	v_cmp_gt_i32_e32 vcc_lo, 32, v10
	v_cndmask_b32_e32 v10, v14, v10, vcc_lo
	v_lshlrev_b32_e32 v13, 2, v10
	ds_bpermute_b32 v10, v13, v6
	ds_bpermute_b32 v11, v13, v7
	ds_bpermute_b32 v12, v13, v8
	ds_bpermute_b32 v13, v13, v9
	s_waitcnt lgkmcnt(2)
	v_add_f64 v[6:7], v[6:7], v[10:11]
	v_xor_b32_e32 v10, 4, v14
	s_waitcnt lgkmcnt(0)
	v_add_f64 v[8:9], v[8:9], v[12:13]
	s_delay_alu instid0(VALU_DEP_2) | instskip(SKIP_1) | instid1(VALU_DEP_1)
	v_cmp_gt_i32_e32 vcc_lo, 32, v10
	v_cndmask_b32_e32 v10, v14, v10, vcc_lo
	v_lshlrev_b32_e32 v13, 2, v10
	ds_bpermute_b32 v10, v13, v6
	ds_bpermute_b32 v11, v13, v7
	;; [unrolled: 1-line block ×4, first 2 shown]
	s_waitcnt lgkmcnt(2)
	v_add_f64 v[6:7], v[6:7], v[10:11]
	v_xor_b32_e32 v10, 2, v14
	s_waitcnt lgkmcnt(0)
	v_add_f64 v[8:9], v[8:9], v[12:13]
	s_delay_alu instid0(VALU_DEP_2) | instskip(SKIP_1) | instid1(VALU_DEP_1)
	v_cmp_gt_i32_e32 vcc_lo, 32, v10
	v_cndmask_b32_e32 v10, v14, v10, vcc_lo
	v_lshlrev_b32_e32 v13, 2, v10
	ds_bpermute_b32 v10, v13, v6
	ds_bpermute_b32 v11, v13, v7
	;; [unrolled: 1-line block ×4, first 2 shown]
	s_waitcnt lgkmcnt(2)
	v_add_f64 v[6:7], v[6:7], v[10:11]
	s_waitcnt lgkmcnt(0)
	v_add_f64 v[10:11], v[8:9], v[12:13]
	v_xor_b32_e32 v8, 1, v14
	s_delay_alu instid0(VALU_DEP_1) | instskip(SKIP_2) | instid1(VALU_DEP_2)
	v_cmp_gt_i32_e32 vcc_lo, 32, v8
	v_cndmask_b32_e32 v8, v14, v8, vcc_lo
	v_cmp_eq_u32_e32 vcc_lo, 31, v0
	v_lshlrev_b32_e32 v13, 2, v8
	ds_bpermute_b32 v8, v13, v6
	ds_bpermute_b32 v9, v13, v7
	;; [unrolled: 1-line block ×4, first 2 shown]
	s_and_b32 exec_lo, exec_lo, vcc_lo
	s_cbranch_execz .LBB149_23
; %bb.19:
	s_waitcnt lgkmcnt(2)
	v_add_f64 v[8:9], v[6:7], v[8:9]
	s_waitcnt lgkmcnt(0)
	v_add_f64 v[6:7], v[10:11], v[12:13]
	s_load_b64 s[0:1], s[0:1], 0x38
	s_mov_b32 s2, exec_lo
	v_cmpx_eq_f64_e32 0, v[3:4]
	s_xor_b32 s2, exec_lo, s2
	s_cbranch_execz .LBB149_21
; %bb.20:
	s_delay_alu instid0(VALU_DEP_3) | instskip(NEXT) | instid1(VALU_DEP_3)
	v_mul_f64 v[8:9], v[1:2], v[8:9]
	v_mul_f64 v[10:11], v[1:2], v[6:7]
	v_lshlrev_b32_e32 v0, 1, v5
                                        ; implicit-def: $vgpr5
                                        ; implicit-def: $vgpr3_vgpr4
                                        ; implicit-def: $vgpr6_vgpr7
	s_delay_alu instid0(VALU_DEP_1) | instskip(NEXT) | instid1(VALU_DEP_1)
	v_ashrrev_i32_e32 v1, 31, v0
	v_lshlrev_b64 v[0:1], 3, v[0:1]
	s_waitcnt lgkmcnt(0)
	s_delay_alu instid0(VALU_DEP_1) | instskip(NEXT) | instid1(VALU_DEP_2)
	v_add_co_u32 v0, vcc_lo, s0, v0
	v_add_co_ci_u32_e32 v1, vcc_lo, s1, v1, vcc_lo
	global_store_b128 v[0:1], v[8:11], off
                                        ; implicit-def: $vgpr1_vgpr2
                                        ; implicit-def: $vgpr8_vgpr9
.LBB149_21:
	s_and_not1_saveexec_b32 s2, s2
	s_cbranch_execz .LBB149_23
; %bb.22:
	v_lshlrev_b32_e32 v10, 1, v5
	s_delay_alu instid0(VALU_DEP_4) | instskip(NEXT) | instid1(VALU_DEP_4)
	v_mul_f64 v[8:9], v[1:2], v[8:9]
	v_mul_f64 v[5:6], v[1:2], v[6:7]
	s_delay_alu instid0(VALU_DEP_3) | instskip(NEXT) | instid1(VALU_DEP_1)
	v_ashrrev_i32_e32 v11, 31, v10
	v_lshlrev_b64 v[10:11], 3, v[10:11]
	s_waitcnt lgkmcnt(0)
	s_delay_alu instid0(VALU_DEP_1) | instskip(NEXT) | instid1(VALU_DEP_2)
	v_add_co_u32 v14, vcc_lo, s0, v10
	v_add_co_ci_u32_e32 v15, vcc_lo, s1, v11, vcc_lo
	global_load_b128 v[10:13], v[14:15], off
	s_waitcnt vmcnt(0)
	v_fma_f64 v[0:1], v[3:4], v[10:11], v[8:9]
	v_fma_f64 v[2:3], v[3:4], v[12:13], v[5:6]
	global_store_b128 v[14:15], v[0:3], off
.LBB149_23:
	s_nop 0
	s_sendmsg sendmsg(MSG_DEALLOC_VGPRS)
	s_endpgm
	.section	.rodata,"a",@progbits
	.p2align	6, 0x0
	.amdhsa_kernel _ZN9rocsparseL19gebsrmvn_2xn_kernelILj128ELj16ELj32EdEEvi20rocsparse_direction_NS_24const_host_device_scalarIT2_EEPKiS6_PKS3_S8_S4_PS3_21rocsparse_index_base_b
		.amdhsa_group_segment_fixed_size 0
		.amdhsa_private_segment_fixed_size 0
		.amdhsa_kernarg_size 72
		.amdhsa_user_sgpr_count 15
		.amdhsa_user_sgpr_dispatch_ptr 0
		.amdhsa_user_sgpr_queue_ptr 0
		.amdhsa_user_sgpr_kernarg_segment_ptr 1
		.amdhsa_user_sgpr_dispatch_id 0
		.amdhsa_user_sgpr_private_segment_size 0
		.amdhsa_wavefront_size32 1
		.amdhsa_uses_dynamic_stack 0
		.amdhsa_enable_private_segment 0
		.amdhsa_system_sgpr_workgroup_id_x 1
		.amdhsa_system_sgpr_workgroup_id_y 0
		.amdhsa_system_sgpr_workgroup_id_z 0
		.amdhsa_system_sgpr_workgroup_info 0
		.amdhsa_system_vgpr_workitem_id 0
		.amdhsa_next_free_vgpr 91
		.amdhsa_next_free_sgpr 16
		.amdhsa_reserve_vcc 1
		.amdhsa_float_round_mode_32 0
		.amdhsa_float_round_mode_16_64 0
		.amdhsa_float_denorm_mode_32 3
		.amdhsa_float_denorm_mode_16_64 3
		.amdhsa_dx10_clamp 1
		.amdhsa_ieee_mode 1
		.amdhsa_fp16_overflow 0
		.amdhsa_workgroup_processor_mode 1
		.amdhsa_memory_ordered 1
		.amdhsa_forward_progress 0
		.amdhsa_shared_vgpr_count 0
		.amdhsa_exception_fp_ieee_invalid_op 0
		.amdhsa_exception_fp_denorm_src 0
		.amdhsa_exception_fp_ieee_div_zero 0
		.amdhsa_exception_fp_ieee_overflow 0
		.amdhsa_exception_fp_ieee_underflow 0
		.amdhsa_exception_fp_ieee_inexact 0
		.amdhsa_exception_int_div_zero 0
	.end_amdhsa_kernel
	.section	.text._ZN9rocsparseL19gebsrmvn_2xn_kernelILj128ELj16ELj32EdEEvi20rocsparse_direction_NS_24const_host_device_scalarIT2_EEPKiS6_PKS3_S8_S4_PS3_21rocsparse_index_base_b,"axG",@progbits,_ZN9rocsparseL19gebsrmvn_2xn_kernelILj128ELj16ELj32EdEEvi20rocsparse_direction_NS_24const_host_device_scalarIT2_EEPKiS6_PKS3_S8_S4_PS3_21rocsparse_index_base_b,comdat
.Lfunc_end149:
	.size	_ZN9rocsparseL19gebsrmvn_2xn_kernelILj128ELj16ELj32EdEEvi20rocsparse_direction_NS_24const_host_device_scalarIT2_EEPKiS6_PKS3_S8_S4_PS3_21rocsparse_index_base_b, .Lfunc_end149-_ZN9rocsparseL19gebsrmvn_2xn_kernelILj128ELj16ELj32EdEEvi20rocsparse_direction_NS_24const_host_device_scalarIT2_EEPKiS6_PKS3_S8_S4_PS3_21rocsparse_index_base_b
                                        ; -- End function
	.section	.AMDGPU.csdata,"",@progbits
; Kernel info:
; codeLenInByte = 2464
; NumSgprs: 18
; NumVgprs: 91
; ScratchSize: 0
; MemoryBound: 1
; FloatMode: 240
; IeeeMode: 1
; LDSByteSize: 0 bytes/workgroup (compile time only)
; SGPRBlocks: 2
; VGPRBlocks: 11
; NumSGPRsForWavesPerEU: 18
; NumVGPRsForWavesPerEU: 91
; Occupancy: 16
; WaveLimiterHint : 1
; COMPUTE_PGM_RSRC2:SCRATCH_EN: 0
; COMPUTE_PGM_RSRC2:USER_SGPR: 15
; COMPUTE_PGM_RSRC2:TRAP_HANDLER: 0
; COMPUTE_PGM_RSRC2:TGID_X_EN: 1
; COMPUTE_PGM_RSRC2:TGID_Y_EN: 0
; COMPUTE_PGM_RSRC2:TGID_Z_EN: 0
; COMPUTE_PGM_RSRC2:TIDIG_COMP_CNT: 0
	.section	.text._ZN9rocsparseL19gebsrmvn_2xn_kernelILj128ELj16ELj64EdEEvi20rocsparse_direction_NS_24const_host_device_scalarIT2_EEPKiS6_PKS3_S8_S4_PS3_21rocsparse_index_base_b,"axG",@progbits,_ZN9rocsparseL19gebsrmvn_2xn_kernelILj128ELj16ELj64EdEEvi20rocsparse_direction_NS_24const_host_device_scalarIT2_EEPKiS6_PKS3_S8_S4_PS3_21rocsparse_index_base_b,comdat
	.globl	_ZN9rocsparseL19gebsrmvn_2xn_kernelILj128ELj16ELj64EdEEvi20rocsparse_direction_NS_24const_host_device_scalarIT2_EEPKiS6_PKS3_S8_S4_PS3_21rocsparse_index_base_b ; -- Begin function _ZN9rocsparseL19gebsrmvn_2xn_kernelILj128ELj16ELj64EdEEvi20rocsparse_direction_NS_24const_host_device_scalarIT2_EEPKiS6_PKS3_S8_S4_PS3_21rocsparse_index_base_b
	.p2align	8
	.type	_ZN9rocsparseL19gebsrmvn_2xn_kernelILj128ELj16ELj64EdEEvi20rocsparse_direction_NS_24const_host_device_scalarIT2_EEPKiS6_PKS3_S8_S4_PS3_21rocsparse_index_base_b,@function
_ZN9rocsparseL19gebsrmvn_2xn_kernelILj128ELj16ELj64EdEEvi20rocsparse_direction_NS_24const_host_device_scalarIT2_EEPKiS6_PKS3_S8_S4_PS3_21rocsparse_index_base_b: ; @_ZN9rocsparseL19gebsrmvn_2xn_kernelILj128ELj16ELj64EdEEvi20rocsparse_direction_NS_24const_host_device_scalarIT2_EEPKiS6_PKS3_S8_S4_PS3_21rocsparse_index_base_b
; %bb.0:
	s_clause 0x2
	s_load_b64 s[12:13], s[0:1], 0x40
	s_load_b64 s[4:5], s[0:1], 0x8
	;; [unrolled: 1-line block ×3, first 2 shown]
	s_waitcnt lgkmcnt(0)
	s_bitcmp1_b32 s13, 0
	v_dual_mov_b32 v1, s4 :: v_dual_mov_b32 v2, s5
	s_cselect_b32 s6, -1, 0
	s_delay_alu instid0(SALU_CYCLE_1)
	s_and_b32 vcc_lo, exec_lo, s6
	s_xor_b32 s6, s6, -1
	s_cbranch_vccnz .LBB150_2
; %bb.1:
	v_dual_mov_b32 v1, s4 :: v_dual_mov_b32 v2, s5
	flat_load_b64 v[1:2], v[1:2]
.LBB150_2:
	v_dual_mov_b32 v4, s3 :: v_dual_mov_b32 v3, s2
	s_and_not1_b32 vcc_lo, exec_lo, s6
	s_cbranch_vccnz .LBB150_4
; %bb.3:
	v_dual_mov_b32 v4, s3 :: v_dual_mov_b32 v3, s2
	flat_load_b64 v[3:4], v[3:4]
.LBB150_4:
	s_waitcnt vmcnt(0) lgkmcnt(0)
	v_cmp_neq_f64_e32 vcc_lo, 0, v[1:2]
	v_cmp_neq_f64_e64 s2, 1.0, v[3:4]
	s_delay_alu instid0(VALU_DEP_1) | instskip(NEXT) | instid1(SALU_CYCLE_1)
	s_or_b32 s2, vcc_lo, s2
	s_and_saveexec_b32 s3, s2
	s_cbranch_execz .LBB150_23
; %bb.5:
	s_load_b64 s[2:3], s[0:1], 0x0
	v_lshrrev_b32_e32 v5, 6, v0
	s_delay_alu instid0(VALU_DEP_1) | instskip(SKIP_1) | instid1(VALU_DEP_1)
	v_lshl_or_b32 v5, s15, 1, v5
	s_waitcnt lgkmcnt(0)
	v_cmp_gt_i32_e32 vcc_lo, s2, v5
	s_and_b32 exec_lo, exec_lo, vcc_lo
	s_cbranch_execz .LBB150_23
; %bb.6:
	s_load_b256 s[4:11], s[0:1], 0x10
	v_ashrrev_i32_e32 v6, 31, v5
	v_and_b32_e32 v0, 63, v0
	s_cmp_lg_u32 s3, 0
	s_delay_alu instid0(VALU_DEP_2) | instskip(SKIP_1) | instid1(VALU_DEP_1)
	v_lshlrev_b64 v[6:7], 2, v[5:6]
	s_waitcnt lgkmcnt(0)
	v_add_co_u32 v6, vcc_lo, s4, v6
	s_delay_alu instid0(VALU_DEP_2) | instskip(SKIP_4) | instid1(VALU_DEP_2)
	v_add_co_ci_u32_e32 v7, vcc_lo, s5, v7, vcc_lo
	global_load_b64 v[6:7], v[6:7], off
	s_waitcnt vmcnt(0)
	v_subrev_nc_u32_e32 v6, s12, v6
	v_subrev_nc_u32_e32 v16, s12, v7
	v_add_nc_u32_e32 v6, v6, v0
	s_delay_alu instid0(VALU_DEP_1)
	v_cmp_lt_i32_e64 s2, v6, v16
	s_cbranch_scc0 .LBB150_12
; %bb.7:
	v_mov_b32_e32 v8, 0
	v_mov_b32_e32 v9, 0
	s_delay_alu instid0(VALU_DEP_1)
	v_dual_mov_b32 v11, v9 :: v_dual_mov_b32 v10, v8
	s_and_saveexec_b32 s3, s2
	s_cbranch_execz .LBB150_11
; %bb.8:
	v_dual_mov_b32 v8, 0 :: v_dual_mov_b32 v13, 0
	v_dual_mov_b32 v9, 0 :: v_dual_lshlrev_b32 v12, 5, v6
	v_mov_b32_e32 v14, v6
	s_mov_b32 s4, 0
	s_delay_alu instid0(VALU_DEP_2)
	v_dual_mov_b32 v11, v9 :: v_dual_mov_b32 v10, v8
.LBB150_9:                              ; =>This Inner Loop Header: Depth=1
	s_delay_alu instid0(VALU_DEP_2) | instskip(NEXT) | instid1(VALU_DEP_1)
	v_ashrrev_i32_e32 v15, 31, v14
	v_lshlrev_b64 v[17:18], 2, v[14:15]
	v_add_nc_u32_e32 v14, 64, v14
	s_delay_alu instid0(VALU_DEP_2) | instskip(NEXT) | instid1(VALU_DEP_3)
	v_add_co_u32 v17, vcc_lo, s6, v17
	v_add_co_ci_u32_e32 v18, vcc_lo, s7, v18, vcc_lo
	global_load_b32 v7, v[17:18], off
	v_lshlrev_b64 v[17:18], 3, v[12:13]
	v_add_nc_u32_e32 v12, 0x800, v12
	s_delay_alu instid0(VALU_DEP_2) | instskip(NEXT) | instid1(VALU_DEP_3)
	v_add_co_u32 v81, vcc_lo, s8, v17
	v_add_co_ci_u32_e32 v82, vcc_lo, s9, v18, vcc_lo
	s_waitcnt vmcnt(0)
	v_subrev_nc_u32_e32 v7, s12, v7
	s_delay_alu instid0(VALU_DEP_1) | instskip(NEXT) | instid1(VALU_DEP_1)
	v_dual_mov_b32 v20, v13 :: v_dual_lshlrev_b32 v19, 4, v7
	v_lshlrev_b64 v[19:20], 3, v[19:20]
	s_delay_alu instid0(VALU_DEP_1) | instskip(NEXT) | instid1(VALU_DEP_2)
	v_add_co_u32 v83, vcc_lo, s10, v19
	v_add_co_ci_u32_e32 v84, vcc_lo, s11, v20, vcc_lo
	v_cmp_ge_i32_e32 vcc_lo, v14, v16
	s_clause 0x1
	global_load_b128 v[17:20], v[81:82], off offset:16
	global_load_b128 v[21:24], v[81:82], off
	s_clause 0x1
	global_load_b128 v[25:28], v[83:84], off
	global_load_b128 v[29:32], v[83:84], off offset:16
	s_clause 0x3
	global_load_b128 v[33:36], v[81:82], off offset:32
	global_load_b128 v[37:40], v[81:82], off offset:48
	global_load_b128 v[41:44], v[81:82], off offset:80
	global_load_b128 v[45:48], v[81:82], off offset:64
	s_clause 0x1
	global_load_b128 v[49:52], v[83:84], off offset:32
	global_load_b128 v[53:56], v[83:84], off offset:48
	s_clause 0x3
	global_load_b128 v[57:60], v[81:82], off offset:96
	global_load_b128 v[61:64], v[81:82], off offset:112
	;; [unrolled: 1-line block ×4, first 2 shown]
	s_clause 0x1
	global_load_b128 v[73:76], v[83:84], off offset:64
	global_load_b128 v[77:80], v[83:84], off offset:80
	s_or_b32 s4, vcc_lo, s4
	s_waitcnt vmcnt(13)
	v_fma_f64 v[7:8], v[21:22], v[25:26], v[8:9]
	v_fma_f64 v[9:10], v[23:24], v[25:26], v[10:11]
	s_delay_alu instid0(VALU_DEP_2) | instskip(NEXT) | instid1(VALU_DEP_2)
	v_fma_f64 v[21:22], v[17:18], v[27:28], v[7:8]
	v_fma_f64 v[23:24], v[19:20], v[27:28], v[9:10]
	s_clause 0x1
	global_load_b128 v[7:10], v[81:82], off offset:160
	global_load_b128 v[17:20], v[81:82], off offset:176
	s_waitcnt vmcnt(13)
	v_fma_f64 v[21:22], v[33:34], v[29:30], v[21:22]
	v_fma_f64 v[23:24], v[35:36], v[29:30], v[23:24]
	s_waitcnt vmcnt(12)
	s_delay_alu instid0(VALU_DEP_2) | instskip(NEXT) | instid1(VALU_DEP_2)
	v_fma_f64 v[37:38], v[37:38], v[31:32], v[21:22]
	v_fma_f64 v[39:40], v[39:40], v[31:32], v[23:24]
	s_clause 0x1
	global_load_b128 v[21:24], v[81:82], off offset:208
	global_load_b128 v[25:28], v[81:82], off offset:192
	s_clause 0x1
	global_load_b128 v[29:32], v[83:84], off offset:96
	global_load_b128 v[33:36], v[83:84], off offset:112
	s_waitcnt vmcnt(13)
	v_fma_f64 v[37:38], v[45:46], v[49:50], v[37:38]
	v_fma_f64 v[39:40], v[47:48], v[49:50], v[39:40]
	s_delay_alu instid0(VALU_DEP_2) | instskip(NEXT) | instid1(VALU_DEP_2)
	v_fma_f64 v[45:46], v[41:42], v[51:52], v[37:38]
	v_fma_f64 v[47:48], v[43:44], v[51:52], v[39:40]
	s_clause 0x1
	global_load_b128 v[37:40], v[81:82], off offset:224
	global_load_b128 v[41:44], v[81:82], off offset:240
	s_waitcnt vmcnt(13)
	v_fma_f64 v[45:46], v[57:58], v[53:54], v[45:46]
	v_fma_f64 v[47:48], v[59:60], v[53:54], v[47:48]
	s_waitcnt vmcnt(12)
	s_delay_alu instid0(VALU_DEP_2) | instskip(NEXT) | instid1(VALU_DEP_2)
	v_fma_f64 v[45:46], v[61:62], v[55:56], v[45:46]
	v_fma_f64 v[47:48], v[63:64], v[55:56], v[47:48]
	s_waitcnt vmcnt(9)
	s_delay_alu instid0(VALU_DEP_2) | instskip(NEXT) | instid1(VALU_DEP_2)
	v_fma_f64 v[45:46], v[69:70], v[73:74], v[45:46]
	v_fma_f64 v[47:48], v[71:72], v[73:74], v[47:48]
	s_delay_alu instid0(VALU_DEP_2) | instskip(NEXT) | instid1(VALU_DEP_2)
	v_fma_f64 v[45:46], v[65:66], v[75:76], v[45:46]
	v_fma_f64 v[47:48], v[67:68], v[75:76], v[47:48]
	s_waitcnt vmcnt(7)
	s_delay_alu instid0(VALU_DEP_2) | instskip(NEXT) | instid1(VALU_DEP_2)
	v_fma_f64 v[7:8], v[7:8], v[77:78], v[45:46]
	v_fma_f64 v[9:10], v[9:10], v[77:78], v[47:48]
	s_waitcnt vmcnt(6)
	;; [unrolled: 4-line block ×3, first 2 shown]
	s_delay_alu instid0(VALU_DEP_2) | instskip(NEXT) | instid1(VALU_DEP_2)
	v_fma_f64 v[7:8], v[25:26], v[29:30], v[7:8]
	v_fma_f64 v[9:10], v[27:28], v[29:30], v[9:10]
	s_delay_alu instid0(VALU_DEP_2) | instskip(NEXT) | instid1(VALU_DEP_2)
	v_fma_f64 v[7:8], v[21:22], v[31:32], v[7:8]
	v_fma_f64 v[9:10], v[23:24], v[31:32], v[9:10]
	s_waitcnt vmcnt(1)
	s_delay_alu instid0(VALU_DEP_2) | instskip(NEXT) | instid1(VALU_DEP_2)
	v_fma_f64 v[7:8], v[37:38], v[33:34], v[7:8]
	v_fma_f64 v[10:11], v[39:40], v[33:34], v[9:10]
	s_waitcnt vmcnt(0)
	s_delay_alu instid0(VALU_DEP_2) | instskip(NEXT) | instid1(VALU_DEP_2)
	v_fma_f64 v[8:9], v[41:42], v[35:36], v[7:8]
	v_fma_f64 v[10:11], v[43:44], v[35:36], v[10:11]
	s_and_not1_b32 exec_lo, exec_lo, s4
	s_cbranch_execnz .LBB150_9
; %bb.10:
	s_or_b32 exec_lo, exec_lo, s4
.LBB150_11:
	s_delay_alu instid0(SALU_CYCLE_1)
	s_or_b32 exec_lo, exec_lo, s3
	s_cbranch_execz .LBB150_13
	s_branch .LBB150_18
.LBB150_12:
                                        ; implicit-def: $vgpr8_vgpr9
                                        ; implicit-def: $vgpr10_vgpr11
.LBB150_13:
	v_mov_b32_e32 v8, 0
	v_mov_b32_e32 v9, 0
	s_delay_alu instid0(VALU_DEP_1)
	v_dual_mov_b32 v11, v9 :: v_dual_mov_b32 v10, v8
	s_and_saveexec_b32 s3, s2
	s_cbranch_execz .LBB150_17
; %bb.14:
	v_dual_mov_b32 v8, 0 :: v_dual_mov_b32 v13, 0
	v_dual_mov_b32 v9, 0 :: v_dual_lshlrev_b32 v12, 5, v6
	s_mov_b32 s2, 0
	s_delay_alu instid0(VALU_DEP_1)
	v_dual_mov_b32 v11, v9 :: v_dual_mov_b32 v10, v8
.LBB150_15:                             ; =>This Inner Loop Header: Depth=1
	v_ashrrev_i32_e32 v7, 31, v6
	s_delay_alu instid0(VALU_DEP_1) | instskip(SKIP_1) | instid1(VALU_DEP_2)
	v_lshlrev_b64 v[14:15], 2, v[6:7]
	v_add_nc_u32_e32 v6, 64, v6
	v_add_co_u32 v14, vcc_lo, s6, v14
	s_delay_alu instid0(VALU_DEP_3) | instskip(SKIP_3) | instid1(VALU_DEP_2)
	v_add_co_ci_u32_e32 v15, vcc_lo, s7, v15, vcc_lo
	global_load_b32 v7, v[14:15], off
	v_lshlrev_b64 v[14:15], 3, v[12:13]
	v_add_nc_u32_e32 v12, 0x800, v12
	v_add_co_u32 v14, vcc_lo, s8, v14
	s_delay_alu instid0(VALU_DEP_3) | instskip(SKIP_2) | instid1(VALU_DEP_1)
	v_add_co_ci_u32_e32 v15, vcc_lo, s9, v15, vcc_lo
	s_waitcnt vmcnt(0)
	v_subrev_nc_u32_e32 v7, s12, v7
	v_dual_mov_b32 v18, v13 :: v_dual_lshlrev_b32 v17, 4, v7
	s_delay_alu instid0(VALU_DEP_1)
	v_lshlrev_b64 v[21:22], 3, v[17:18]
	global_load_b128 v[17:20], v[14:15], off offset:16
	v_add_co_u32 v89, vcc_lo, s10, v21
	v_add_co_ci_u32_e32 v90, vcc_lo, s11, v22, vcc_lo
	s_clause 0x2
	global_load_b128 v[21:24], v[14:15], off
	global_load_b128 v[25:28], v[14:15], off offset:144
	global_load_b128 v[29:32], v[14:15], off offset:128
	s_clause 0x1
	global_load_b128 v[33:36], v[89:90], off
	global_load_b128 v[37:40], v[89:90], off offset:16
	s_clause 0x3
	global_load_b128 v[41:44], v[14:15], off offset:48
	global_load_b128 v[45:48], v[14:15], off offset:32
	;; [unrolled: 1-line block ×4, first 2 shown]
	s_clause 0x1
	global_load_b128 v[57:60], v[89:90], off offset:32
	global_load_b128 v[61:64], v[89:90], off offset:48
	s_clause 0x3
	global_load_b128 v[65:68], v[14:15], off offset:80
	global_load_b128 v[69:72], v[14:15], off offset:64
	;; [unrolled: 1-line block ×4, first 2 shown]
	s_clause 0x1
	global_load_b128 v[81:84], v[89:90], off offset:64
	global_load_b128 v[85:88], v[89:90], off offset:80
	v_cmp_ge_i32_e32 vcc_lo, v6, v16
	s_or_b32 s2, vcc_lo, s2
	s_waitcnt vmcnt(13)
	v_fma_f64 v[7:8], v[21:22], v[33:34], v[8:9]
	v_fma_f64 v[9:10], v[29:30], v[33:34], v[10:11]
	s_delay_alu instid0(VALU_DEP_2) | instskip(NEXT) | instid1(VALU_DEP_2)
	v_fma_f64 v[7:8], v[23:24], v[35:36], v[7:8]
	v_fma_f64 v[9:10], v[31:32], v[35:36], v[9:10]
	s_waitcnt vmcnt(12)
	s_delay_alu instid0(VALU_DEP_2) | instskip(NEXT) | instid1(VALU_DEP_2)
	v_fma_f64 v[7:8], v[17:18], v[37:38], v[7:8]
	v_fma_f64 v[9:10], v[25:26], v[37:38], v[9:10]
	s_delay_alu instid0(VALU_DEP_2) | instskip(NEXT) | instid1(VALU_DEP_2)
	v_fma_f64 v[37:38], v[19:20], v[39:40], v[7:8]
	v_fma_f64 v[39:40], v[27:28], v[39:40], v[9:10]
	s_clause 0x3
	global_load_b128 v[7:10], v[14:15], off offset:112
	global_load_b128 v[17:20], v[14:15], off offset:96
	;; [unrolled: 1-line block ×4, first 2 shown]
	s_clause 0x1
	global_load_b128 v[29:32], v[89:90], off offset:96
	global_load_b128 v[33:36], v[89:90], off offset:112
	s_waitcnt vmcnt(13)
	v_fma_f64 v[14:15], v[45:46], v[57:58], v[37:38]
	v_fma_f64 v[37:38], v[53:54], v[57:58], v[39:40]
	s_delay_alu instid0(VALU_DEP_2) | instskip(NEXT) | instid1(VALU_DEP_2)
	v_fma_f64 v[14:15], v[47:48], v[59:60], v[14:15]
	v_fma_f64 v[37:38], v[55:56], v[59:60], v[37:38]
	s_waitcnt vmcnt(12)
	s_delay_alu instid0(VALU_DEP_2) | instskip(NEXT) | instid1(VALU_DEP_2)
	v_fma_f64 v[14:15], v[41:42], v[61:62], v[14:15]
	v_fma_f64 v[37:38], v[49:50], v[61:62], v[37:38]
	s_delay_alu instid0(VALU_DEP_2) | instskip(NEXT) | instid1(VALU_DEP_2)
	v_fma_f64 v[14:15], v[43:44], v[63:64], v[14:15]
	v_fma_f64 v[37:38], v[51:52], v[63:64], v[37:38]
	s_waitcnt vmcnt(7)
	s_delay_alu instid0(VALU_DEP_2) | instskip(NEXT) | instid1(VALU_DEP_2)
	;; [unrolled: 7-line block ×5, first 2 shown]
	v_fma_f64 v[7:8], v[7:8], v[33:34], v[14:15]
	v_fma_f64 v[14:15], v[21:22], v[33:34], v[17:18]
	s_delay_alu instid0(VALU_DEP_2) | instskip(NEXT) | instid1(VALU_DEP_2)
	v_fma_f64 v[8:9], v[9:10], v[35:36], v[7:8]
	v_fma_f64 v[10:11], v[23:24], v[35:36], v[14:15]
	s_and_not1_b32 exec_lo, exec_lo, s2
	s_cbranch_execnz .LBB150_15
; %bb.16:
	s_or_b32 exec_lo, exec_lo, s2
.LBB150_17:
	s_delay_alu instid0(SALU_CYCLE_1)
	s_or_b32 exec_lo, exec_lo, s3
.LBB150_18:
	v_mbcnt_lo_u32_b32 v14, -1, 0
	s_delay_alu instid0(VALU_DEP_1) | instskip(NEXT) | instid1(VALU_DEP_1)
	v_or_b32_e32 v6, 32, v14
	v_cmp_gt_i32_e32 vcc_lo, 32, v6
	v_cndmask_b32_e32 v6, v14, v6, vcc_lo
	s_delay_alu instid0(VALU_DEP_1)
	v_lshlrev_b32_e32 v13, 2, v6
	ds_bpermute_b32 v6, v13, v8
	ds_bpermute_b32 v7, v13, v9
	ds_bpermute_b32 v12, v13, v10
	ds_bpermute_b32 v13, v13, v11
	s_waitcnt lgkmcnt(2)
	v_add_f64 v[6:7], v[8:9], v[6:7]
	s_waitcnt lgkmcnt(0)
	v_add_f64 v[8:9], v[10:11], v[12:13]
	v_xor_b32_e32 v10, 16, v14
	s_delay_alu instid0(VALU_DEP_1) | instskip(SKIP_1) | instid1(VALU_DEP_1)
	v_cmp_gt_i32_e32 vcc_lo, 32, v10
	v_cndmask_b32_e32 v10, v14, v10, vcc_lo
	v_lshlrev_b32_e32 v13, 2, v10
	ds_bpermute_b32 v10, v13, v6
	ds_bpermute_b32 v11, v13, v7
	ds_bpermute_b32 v12, v13, v8
	ds_bpermute_b32 v13, v13, v9
	s_waitcnt lgkmcnt(2)
	v_add_f64 v[6:7], v[6:7], v[10:11]
	v_xor_b32_e32 v10, 8, v14
	s_waitcnt lgkmcnt(0)
	v_add_f64 v[8:9], v[8:9], v[12:13]
	s_delay_alu instid0(VALU_DEP_2) | instskip(SKIP_1) | instid1(VALU_DEP_1)
	v_cmp_gt_i32_e32 vcc_lo, 32, v10
	v_cndmask_b32_e32 v10, v14, v10, vcc_lo
	v_lshlrev_b32_e32 v13, 2, v10
	ds_bpermute_b32 v10, v13, v6
	ds_bpermute_b32 v11, v13, v7
	ds_bpermute_b32 v12, v13, v8
	ds_bpermute_b32 v13, v13, v9
	s_waitcnt lgkmcnt(2)
	v_add_f64 v[6:7], v[6:7], v[10:11]
	v_xor_b32_e32 v10, 4, v14
	s_waitcnt lgkmcnt(0)
	v_add_f64 v[8:9], v[8:9], v[12:13]
	s_delay_alu instid0(VALU_DEP_2) | instskip(SKIP_1) | instid1(VALU_DEP_1)
	;; [unrolled: 13-line block ×3, first 2 shown]
	v_cmp_gt_i32_e32 vcc_lo, 32, v10
	v_cndmask_b32_e32 v10, v14, v10, vcc_lo
	v_lshlrev_b32_e32 v13, 2, v10
	ds_bpermute_b32 v10, v13, v6
	ds_bpermute_b32 v11, v13, v7
	;; [unrolled: 1-line block ×4, first 2 shown]
	s_waitcnt lgkmcnt(2)
	v_add_f64 v[6:7], v[6:7], v[10:11]
	s_waitcnt lgkmcnt(0)
	v_add_f64 v[10:11], v[8:9], v[12:13]
	v_xor_b32_e32 v8, 1, v14
	s_delay_alu instid0(VALU_DEP_1) | instskip(SKIP_2) | instid1(VALU_DEP_2)
	v_cmp_gt_i32_e32 vcc_lo, 32, v8
	v_cndmask_b32_e32 v8, v14, v8, vcc_lo
	v_cmp_eq_u32_e32 vcc_lo, 63, v0
	v_lshlrev_b32_e32 v13, 2, v8
	ds_bpermute_b32 v8, v13, v6
	ds_bpermute_b32 v9, v13, v7
	;; [unrolled: 1-line block ×4, first 2 shown]
	s_and_b32 exec_lo, exec_lo, vcc_lo
	s_cbranch_execz .LBB150_23
; %bb.19:
	s_waitcnt lgkmcnt(2)
	v_add_f64 v[8:9], v[6:7], v[8:9]
	s_waitcnt lgkmcnt(0)
	v_add_f64 v[6:7], v[10:11], v[12:13]
	s_load_b64 s[0:1], s[0:1], 0x38
	s_mov_b32 s2, exec_lo
	v_cmpx_eq_f64_e32 0, v[3:4]
	s_xor_b32 s2, exec_lo, s2
	s_cbranch_execz .LBB150_21
; %bb.20:
	s_delay_alu instid0(VALU_DEP_3) | instskip(NEXT) | instid1(VALU_DEP_3)
	v_mul_f64 v[8:9], v[1:2], v[8:9]
	v_mul_f64 v[10:11], v[1:2], v[6:7]
	v_lshlrev_b32_e32 v0, 1, v5
                                        ; implicit-def: $vgpr5
                                        ; implicit-def: $vgpr3_vgpr4
                                        ; implicit-def: $vgpr6_vgpr7
	s_delay_alu instid0(VALU_DEP_1) | instskip(NEXT) | instid1(VALU_DEP_1)
	v_ashrrev_i32_e32 v1, 31, v0
	v_lshlrev_b64 v[0:1], 3, v[0:1]
	s_waitcnt lgkmcnt(0)
	s_delay_alu instid0(VALU_DEP_1) | instskip(NEXT) | instid1(VALU_DEP_2)
	v_add_co_u32 v0, vcc_lo, s0, v0
	v_add_co_ci_u32_e32 v1, vcc_lo, s1, v1, vcc_lo
	global_store_b128 v[0:1], v[8:11], off
                                        ; implicit-def: $vgpr1_vgpr2
                                        ; implicit-def: $vgpr8_vgpr9
.LBB150_21:
	s_and_not1_saveexec_b32 s2, s2
	s_cbranch_execz .LBB150_23
; %bb.22:
	v_lshlrev_b32_e32 v10, 1, v5
	s_delay_alu instid0(VALU_DEP_4) | instskip(NEXT) | instid1(VALU_DEP_4)
	v_mul_f64 v[8:9], v[1:2], v[8:9]
	v_mul_f64 v[5:6], v[1:2], v[6:7]
	s_delay_alu instid0(VALU_DEP_3) | instskip(NEXT) | instid1(VALU_DEP_1)
	v_ashrrev_i32_e32 v11, 31, v10
	v_lshlrev_b64 v[10:11], 3, v[10:11]
	s_waitcnt lgkmcnt(0)
	s_delay_alu instid0(VALU_DEP_1) | instskip(NEXT) | instid1(VALU_DEP_2)
	v_add_co_u32 v14, vcc_lo, s0, v10
	v_add_co_ci_u32_e32 v15, vcc_lo, s1, v11, vcc_lo
	global_load_b128 v[10:13], v[14:15], off
	s_waitcnt vmcnt(0)
	v_fma_f64 v[0:1], v[3:4], v[10:11], v[8:9]
	v_fma_f64 v[2:3], v[3:4], v[12:13], v[5:6]
	global_store_b128 v[14:15], v[0:3], off
.LBB150_23:
	s_nop 0
	s_sendmsg sendmsg(MSG_DEALLOC_VGPRS)
	s_endpgm
	.section	.rodata,"a",@progbits
	.p2align	6, 0x0
	.amdhsa_kernel _ZN9rocsparseL19gebsrmvn_2xn_kernelILj128ELj16ELj64EdEEvi20rocsparse_direction_NS_24const_host_device_scalarIT2_EEPKiS6_PKS3_S8_S4_PS3_21rocsparse_index_base_b
		.amdhsa_group_segment_fixed_size 0
		.amdhsa_private_segment_fixed_size 0
		.amdhsa_kernarg_size 72
		.amdhsa_user_sgpr_count 15
		.amdhsa_user_sgpr_dispatch_ptr 0
		.amdhsa_user_sgpr_queue_ptr 0
		.amdhsa_user_sgpr_kernarg_segment_ptr 1
		.amdhsa_user_sgpr_dispatch_id 0
		.amdhsa_user_sgpr_private_segment_size 0
		.amdhsa_wavefront_size32 1
		.amdhsa_uses_dynamic_stack 0
		.amdhsa_enable_private_segment 0
		.amdhsa_system_sgpr_workgroup_id_x 1
		.amdhsa_system_sgpr_workgroup_id_y 0
		.amdhsa_system_sgpr_workgroup_id_z 0
		.amdhsa_system_sgpr_workgroup_info 0
		.amdhsa_system_vgpr_workitem_id 0
		.amdhsa_next_free_vgpr 91
		.amdhsa_next_free_sgpr 16
		.amdhsa_reserve_vcc 1
		.amdhsa_float_round_mode_32 0
		.amdhsa_float_round_mode_16_64 0
		.amdhsa_float_denorm_mode_32 3
		.amdhsa_float_denorm_mode_16_64 3
		.amdhsa_dx10_clamp 1
		.amdhsa_ieee_mode 1
		.amdhsa_fp16_overflow 0
		.amdhsa_workgroup_processor_mode 1
		.amdhsa_memory_ordered 1
		.amdhsa_forward_progress 0
		.amdhsa_shared_vgpr_count 0
		.amdhsa_exception_fp_ieee_invalid_op 0
		.amdhsa_exception_fp_denorm_src 0
		.amdhsa_exception_fp_ieee_div_zero 0
		.amdhsa_exception_fp_ieee_overflow 0
		.amdhsa_exception_fp_ieee_underflow 0
		.amdhsa_exception_fp_ieee_inexact 0
		.amdhsa_exception_int_div_zero 0
	.end_amdhsa_kernel
	.section	.text._ZN9rocsparseL19gebsrmvn_2xn_kernelILj128ELj16ELj64EdEEvi20rocsparse_direction_NS_24const_host_device_scalarIT2_EEPKiS6_PKS3_S8_S4_PS3_21rocsparse_index_base_b,"axG",@progbits,_ZN9rocsparseL19gebsrmvn_2xn_kernelILj128ELj16ELj64EdEEvi20rocsparse_direction_NS_24const_host_device_scalarIT2_EEPKiS6_PKS3_S8_S4_PS3_21rocsparse_index_base_b,comdat
.Lfunc_end150:
	.size	_ZN9rocsparseL19gebsrmvn_2xn_kernelILj128ELj16ELj64EdEEvi20rocsparse_direction_NS_24const_host_device_scalarIT2_EEPKiS6_PKS3_S8_S4_PS3_21rocsparse_index_base_b, .Lfunc_end150-_ZN9rocsparseL19gebsrmvn_2xn_kernelILj128ELj16ELj64EdEEvi20rocsparse_direction_NS_24const_host_device_scalarIT2_EEPKiS6_PKS3_S8_S4_PS3_21rocsparse_index_base_b
                                        ; -- End function
	.section	.AMDGPU.csdata,"",@progbits
; Kernel info:
; codeLenInByte = 2540
; NumSgprs: 18
; NumVgprs: 91
; ScratchSize: 0
; MemoryBound: 1
; FloatMode: 240
; IeeeMode: 1
; LDSByteSize: 0 bytes/workgroup (compile time only)
; SGPRBlocks: 2
; VGPRBlocks: 11
; NumSGPRsForWavesPerEU: 18
; NumVGPRsForWavesPerEU: 91
; Occupancy: 16
; WaveLimiterHint : 1
; COMPUTE_PGM_RSRC2:SCRATCH_EN: 0
; COMPUTE_PGM_RSRC2:USER_SGPR: 15
; COMPUTE_PGM_RSRC2:TRAP_HANDLER: 0
; COMPUTE_PGM_RSRC2:TGID_X_EN: 1
; COMPUTE_PGM_RSRC2:TGID_Y_EN: 0
; COMPUTE_PGM_RSRC2:TGID_Z_EN: 0
; COMPUTE_PGM_RSRC2:TIDIG_COMP_CNT: 0
	.section	.text._ZN9rocsparseL23gebsrmvn_general_kernelILj32ELj32EdEEvi20rocsparse_direction_NS_24const_host_device_scalarIT1_EEPKiS6_PKS3_iiS8_S4_PS3_21rocsparse_index_base_b,"axG",@progbits,_ZN9rocsparseL23gebsrmvn_general_kernelILj32ELj32EdEEvi20rocsparse_direction_NS_24const_host_device_scalarIT1_EEPKiS6_PKS3_iiS8_S4_PS3_21rocsparse_index_base_b,comdat
	.globl	_ZN9rocsparseL23gebsrmvn_general_kernelILj32ELj32EdEEvi20rocsparse_direction_NS_24const_host_device_scalarIT1_EEPKiS6_PKS3_iiS8_S4_PS3_21rocsparse_index_base_b ; -- Begin function _ZN9rocsparseL23gebsrmvn_general_kernelILj32ELj32EdEEvi20rocsparse_direction_NS_24const_host_device_scalarIT1_EEPKiS6_PKS3_iiS8_S4_PS3_21rocsparse_index_base_b
	.p2align	8
	.type	_ZN9rocsparseL23gebsrmvn_general_kernelILj32ELj32EdEEvi20rocsparse_direction_NS_24const_host_device_scalarIT1_EEPKiS6_PKS3_iiS8_S4_PS3_21rocsparse_index_base_b,@function
_ZN9rocsparseL23gebsrmvn_general_kernelILj32ELj32EdEEvi20rocsparse_direction_NS_24const_host_device_scalarIT1_EEPKiS6_PKS3_iiS8_S4_PS3_21rocsparse_index_base_b: ; @_ZN9rocsparseL23gebsrmvn_general_kernelILj32ELj32EdEEvi20rocsparse_direction_NS_24const_host_device_scalarIT1_EEPKiS6_PKS3_iiS8_S4_PS3_21rocsparse_index_base_b
; %bb.0:
	s_clause 0x2
	s_load_b64 s[8:9], s[0:1], 0x48
	s_load_b64 s[4:5], s[0:1], 0x8
	;; [unrolled: 1-line block ×3, first 2 shown]
	s_mov_b32 s18, s15
	s_waitcnt lgkmcnt(0)
	s_bitcmp1_b32 s9, 0
	v_dual_mov_b32 v1, s4 :: v_dual_mov_b32 v2, s5
	s_cselect_b32 s6, -1, 0
	s_delay_alu instid0(SALU_CYCLE_1)
	s_and_b32 vcc_lo, exec_lo, s6
	s_xor_b32 s6, s6, -1
	s_cbranch_vccnz .LBB151_2
; %bb.1:
	v_dual_mov_b32 v1, s4 :: v_dual_mov_b32 v2, s5
	flat_load_b64 v[1:2], v[1:2]
.LBB151_2:
	v_dual_mov_b32 v4, s3 :: v_dual_mov_b32 v3, s2
	s_and_not1_b32 vcc_lo, exec_lo, s6
	s_cbranch_vccnz .LBB151_4
; %bb.3:
	v_dual_mov_b32 v4, s3 :: v_dual_mov_b32 v3, s2
	flat_load_b64 v[3:4], v[3:4]
.LBB151_4:
	s_waitcnt vmcnt(0) lgkmcnt(0)
	v_cmp_neq_f64_e32 vcc_lo, 0, v[1:2]
	v_cmp_neq_f64_e64 s2, 1.0, v[3:4]
	s_delay_alu instid0(VALU_DEP_1) | instskip(NEXT) | instid1(SALU_CYCLE_1)
	s_or_b32 s2, vcc_lo, s2
	s_and_saveexec_b32 s3, s2
	s_cbranch_execz .LBB151_24
; %bb.5:
	s_load_b64 s[10:11], s[0:1], 0x28
	s_mov_b32 s3, 0
	s_waitcnt lgkmcnt(0)
	s_cmp_gt_i32 s10, 0
	s_cselect_b32 s2, -1, 0
	s_delay_alu instid0(SALU_CYCLE_1)
	s_and_b32 exec_lo, exec_lo, s2
	s_cbranch_execz .LBB151_24
; %bb.6:
	s_clause 0x3
	s_load_b128 s[4:7], s[0:1], 0x10
	s_load_b64 s[12:13], s[0:1], 0x20
	s_load_b64 s[14:15], s[0:1], 0x30
	;; [unrolled: 1-line block ×3, first 2 shown]
	v_mbcnt_lo_u32_b32 v6, -1, 0
	s_ashr_i32 s19, s18, 31
	s_load_b32 s22, s[0:1], 0x4
	v_cmp_eq_f64_e64 s1, 0, v[3:4]
	s_lshl_b64 s[20:21], s[18:19], 2
	v_xor_b32_e32 v7, 16, v6
	v_xor_b32_e32 v8, 8, v6
	;; [unrolled: 1-line block ×5, first 2 shown]
	v_cmp_gt_i32_e32 vcc_lo, 32, v7
	v_cmp_gt_i32_e64 s0, s11, v0
	v_cmp_eq_u32_e64 s2, 31, v0
	s_mul_i32 s18, s18, s10
	v_cndmask_b32_e32 v7, v6, v7, vcc_lo
	s_waitcnt lgkmcnt(0)
	s_add_u32 s4, s4, s20
	s_addc_u32 s5, s5, s21
	v_cmp_gt_i32_e32 vcc_lo, 32, v8
	s_load_b64 s[4:5], s[4:5], 0x0
	v_dual_mov_b32 v5, 0 :: v_dual_cndmask_b32 v8, v6, v8
	v_cmp_gt_i32_e32 vcc_lo, 32, v9
	v_cndmask_b32_e32 v9, v6, v9, vcc_lo
	v_cmp_gt_i32_e32 vcc_lo, 32, v10
	s_delay_alu instid0(VALU_DEP_2)
	v_dual_cndmask_b32 v13, v6, v10 :: v_dual_lshlrev_b32 v12, 2, v9
	v_lshlrev_b32_e32 v10, 2, v7
	v_cmp_gt_i32_e32 vcc_lo, 32, v11
	s_waitcnt lgkmcnt(0)
	s_sub_i32 s9, s4, s8
	s_sub_i32 s19, s5, s8
	s_mul_i32 s20, s10, s9
	v_dual_cndmask_b32 v6, v6, v11 :: v_dual_lshlrev_b32 v11, 2, v8
	s_cmp_lt_i32 s4, s5
	s_mul_i32 s4, s11, s20
	v_lshlrev_b32_e32 v13, 2, v13
	s_delay_alu instid0(VALU_DEP_2)
	v_dual_mov_b32 v15, s4 :: v_dual_lshlrev_b32 v14, 2, v6
	s_cselect_b32 s20, -1, 0
	s_cmp_lg_u32 s22, 0
	s_mul_i32 s22, s11, s10
	s_cselect_b32 s21, -1, 0
	s_branch .LBB151_8
.LBB151_7:                              ;   in Loop: Header=BB151_8 Depth=1
	s_or_b32 exec_lo, exec_lo, s4
	v_add_nc_u32_e32 v5, 1, v5
	v_add_nc_u32_e32 v15, s11, v15
	s_delay_alu instid0(VALU_DEP_2) | instskip(SKIP_1) | instid1(SALU_CYCLE_1)
	v_cmp_le_i32_e32 vcc_lo, s10, v5
	s_or_b32 s3, vcc_lo, s3
	s_and_not1_b32 exec_lo, exec_lo, s3
	s_cbranch_execz .LBB151_24
.LBB151_8:                              ; =>This Loop Header: Depth=1
                                        ;     Child Loop BB151_12 Depth 2
                                        ;       Child Loop BB151_15 Depth 3
	v_mov_b32_e32 v6, 0
	v_mov_b32_e32 v7, 0
	s_and_not1_b32 vcc_lo, exec_lo, s20
	s_cbranch_vccnz .LBB151_19
; %bb.9:                                ;   in Loop: Header=BB151_8 Depth=1
	v_mov_b32_e32 v6, 0
	v_dual_mov_b32 v7, 0 :: v_dual_mov_b32 v16, v15
	s_mov_b32 s4, s9
	s_branch .LBB151_12
.LBB151_10:                             ;   in Loop: Header=BB151_12 Depth=2
	s_set_inst_prefetch_distance 0x2
	s_or_b32 exec_lo, exec_lo, s24
.LBB151_11:                             ;   in Loop: Header=BB151_12 Depth=2
	s_delay_alu instid0(SALU_CYCLE_1) | instskip(SKIP_2) | instid1(SALU_CYCLE_1)
	s_or_b32 exec_lo, exec_lo, s23
	v_add_nc_u32_e32 v16, s22, v16
	s_add_i32 s4, s4, 1
	s_cmp_ge_i32 s4, s19
	s_cbranch_scc1 .LBB151_19
.LBB151_12:                             ;   Parent Loop BB151_8 Depth=1
                                        ; =>  This Loop Header: Depth=2
                                        ;       Child Loop BB151_15 Depth 3
	s_and_saveexec_b32 s23, s0
	s_cbranch_execz .LBB151_11
; %bb.13:                               ;   in Loop: Header=BB151_12 Depth=2
	s_ashr_i32 s5, s4, 31
	v_mov_b32_e32 v17, v0
	s_lshl_b64 s[24:25], s[4:5], 2
	s_delay_alu instid0(SALU_CYCLE_1)
	s_add_u32 s24, s6, s24
	s_addc_u32 s25, s7, s25
	s_load_b32 s5, s[24:25], 0x0
	s_mov_b32 s24, 0
	s_waitcnt lgkmcnt(0)
	s_sub_i32 s25, s5, s8
	s_mul_i32 s5, s4, s11
	s_mul_i32 s25, s25, s11
	s_set_inst_prefetch_distance 0x1
	s_branch .LBB151_15
	.p2align	6
.LBB151_14:                             ;   in Loop: Header=BB151_15 Depth=3
	v_add_nc_u32_e32 v18, s25, v17
	s_delay_alu instid0(VALU_DEP_2) | instskip(SKIP_1) | instid1(VALU_DEP_3)
	v_ashrrev_i32_e32 v9, 31, v8
	v_add_nc_u32_e32 v17, 32, v17
	v_ashrrev_i32_e32 v19, 31, v18
	s_delay_alu instid0(VALU_DEP_3) | instskip(NEXT) | instid1(VALU_DEP_2)
	v_lshlrev_b64 v[8:9], 3, v[8:9]
	v_lshlrev_b64 v[18:19], 3, v[18:19]
	s_delay_alu instid0(VALU_DEP_2) | instskip(NEXT) | instid1(VALU_DEP_3)
	v_add_co_u32 v8, vcc_lo, s12, v8
	v_add_co_ci_u32_e32 v9, vcc_lo, s13, v9, vcc_lo
	s_delay_alu instid0(VALU_DEP_3) | instskip(NEXT) | instid1(VALU_DEP_4)
	v_add_co_u32 v18, vcc_lo, s14, v18
	v_add_co_ci_u32_e32 v19, vcc_lo, s15, v19, vcc_lo
	v_cmp_le_i32_e32 vcc_lo, s11, v17
	global_load_b64 v[8:9], v[8:9], off
	global_load_b64 v[18:19], v[18:19], off
	s_or_b32 s24, vcc_lo, s24
	s_waitcnt vmcnt(0)
	v_fma_f64 v[6:7], v[8:9], v[18:19], v[6:7]
	s_and_not1_b32 exec_lo, exec_lo, s24
	s_cbranch_execz .LBB151_10
.LBB151_15:                             ;   Parent Loop BB151_8 Depth=1
                                        ;     Parent Loop BB151_12 Depth=2
                                        ; =>    This Inner Loop Header: Depth=3
	s_and_b32 vcc_lo, exec_lo, s21
	s_cbranch_vccz .LBB151_17
; %bb.16:                               ;   in Loop: Header=BB151_15 Depth=3
	v_add_nc_u32_e32 v18, s5, v17
	s_delay_alu instid0(VALU_DEP_1)
	v_mad_u64_u32 v[8:9], null, v18, s10, v[5:6]
	s_cbranch_execnz .LBB151_14
	s_branch .LBB151_18
	.p2align	6
.LBB151_17:                             ;   in Loop: Header=BB151_15 Depth=3
                                        ; implicit-def: $vgpr8
.LBB151_18:                             ;   in Loop: Header=BB151_15 Depth=3
	v_add_nc_u32_e32 v8, v16, v17
	s_branch .LBB151_14
.LBB151_19:                             ;   in Loop: Header=BB151_8 Depth=1
	s_waitcnt lgkmcnt(1)
	ds_bpermute_b32 v8, v10, v6
	s_waitcnt lgkmcnt(1)
	ds_bpermute_b32 v9, v10, v7
	s_waitcnt lgkmcnt(0)
	v_add_f64 v[6:7], v[6:7], v[8:9]
	ds_bpermute_b32 v8, v11, v6
	ds_bpermute_b32 v9, v11, v7
	s_waitcnt lgkmcnt(0)
	v_add_f64 v[6:7], v[6:7], v[8:9]
	ds_bpermute_b32 v8, v12, v6
	;; [unrolled: 4-line block ×4, first 2 shown]
	ds_bpermute_b32 v9, v14, v7
	s_and_saveexec_b32 s4, s2
	s_cbranch_execz .LBB151_7
; %bb.20:                               ;   in Loop: Header=BB151_8 Depth=1
	s_waitcnt lgkmcnt(0)
	v_add_f64 v[6:7], v[6:7], v[8:9]
	v_add_nc_u32_e32 v8, s18, v5
	s_delay_alu instid0(VALU_DEP_1) | instskip(NEXT) | instid1(VALU_DEP_3)
	v_ashrrev_i32_e32 v9, 31, v8
	v_mul_f64 v[6:7], v[1:2], v[6:7]
	s_and_saveexec_b32 s5, s1
	s_delay_alu instid0(SALU_CYCLE_1)
	s_xor_b32 s5, exec_lo, s5
	s_cbranch_execz .LBB151_22
; %bb.21:                               ;   in Loop: Header=BB151_8 Depth=1
	v_lshlrev_b64 v[8:9], 3, v[8:9]
	s_delay_alu instid0(VALU_DEP_1) | instskip(NEXT) | instid1(VALU_DEP_2)
	v_add_co_u32 v8, vcc_lo, s16, v8
	v_add_co_ci_u32_e32 v9, vcc_lo, s17, v9, vcc_lo
	global_store_b64 v[8:9], v[6:7], off
                                        ; implicit-def: $vgpr8
                                        ; implicit-def: $vgpr6_vgpr7
.LBB151_22:                             ;   in Loop: Header=BB151_8 Depth=1
	s_and_not1_saveexec_b32 s5, s5
	s_cbranch_execz .LBB151_7
; %bb.23:                               ;   in Loop: Header=BB151_8 Depth=1
	v_lshlrev_b64 v[8:9], 3, v[8:9]
	s_delay_alu instid0(VALU_DEP_1) | instskip(NEXT) | instid1(VALU_DEP_2)
	v_add_co_u32 v8, vcc_lo, s16, v8
	v_add_co_ci_u32_e32 v9, vcc_lo, s17, v9, vcc_lo
	global_load_b64 v[16:17], v[8:9], off
	s_waitcnt vmcnt(0)
	v_fma_f64 v[6:7], v[3:4], v[16:17], v[6:7]
	global_store_b64 v[8:9], v[6:7], off
	s_branch .LBB151_7
.LBB151_24:
	s_nop 0
	s_sendmsg sendmsg(MSG_DEALLOC_VGPRS)
	s_endpgm
	.section	.rodata,"a",@progbits
	.p2align	6, 0x0
	.amdhsa_kernel _ZN9rocsparseL23gebsrmvn_general_kernelILj32ELj32EdEEvi20rocsparse_direction_NS_24const_host_device_scalarIT1_EEPKiS6_PKS3_iiS8_S4_PS3_21rocsparse_index_base_b
		.amdhsa_group_segment_fixed_size 0
		.amdhsa_private_segment_fixed_size 0
		.amdhsa_kernarg_size 80
		.amdhsa_user_sgpr_count 15
		.amdhsa_user_sgpr_dispatch_ptr 0
		.amdhsa_user_sgpr_queue_ptr 0
		.amdhsa_user_sgpr_kernarg_segment_ptr 1
		.amdhsa_user_sgpr_dispatch_id 0
		.amdhsa_user_sgpr_private_segment_size 0
		.amdhsa_wavefront_size32 1
		.amdhsa_uses_dynamic_stack 0
		.amdhsa_enable_private_segment 0
		.amdhsa_system_sgpr_workgroup_id_x 1
		.amdhsa_system_sgpr_workgroup_id_y 0
		.amdhsa_system_sgpr_workgroup_id_z 0
		.amdhsa_system_sgpr_workgroup_info 0
		.amdhsa_system_vgpr_workitem_id 0
		.amdhsa_next_free_vgpr 20
		.amdhsa_next_free_sgpr 26
		.amdhsa_reserve_vcc 1
		.amdhsa_float_round_mode_32 0
		.amdhsa_float_round_mode_16_64 0
		.amdhsa_float_denorm_mode_32 3
		.amdhsa_float_denorm_mode_16_64 3
		.amdhsa_dx10_clamp 1
		.amdhsa_ieee_mode 1
		.amdhsa_fp16_overflow 0
		.amdhsa_workgroup_processor_mode 1
		.amdhsa_memory_ordered 1
		.amdhsa_forward_progress 0
		.amdhsa_shared_vgpr_count 0
		.amdhsa_exception_fp_ieee_invalid_op 0
		.amdhsa_exception_fp_denorm_src 0
		.amdhsa_exception_fp_ieee_div_zero 0
		.amdhsa_exception_fp_ieee_overflow 0
		.amdhsa_exception_fp_ieee_underflow 0
		.amdhsa_exception_fp_ieee_inexact 0
		.amdhsa_exception_int_div_zero 0
	.end_amdhsa_kernel
	.section	.text._ZN9rocsparseL23gebsrmvn_general_kernelILj32ELj32EdEEvi20rocsparse_direction_NS_24const_host_device_scalarIT1_EEPKiS6_PKS3_iiS8_S4_PS3_21rocsparse_index_base_b,"axG",@progbits,_ZN9rocsparseL23gebsrmvn_general_kernelILj32ELj32EdEEvi20rocsparse_direction_NS_24const_host_device_scalarIT1_EEPKiS6_PKS3_iiS8_S4_PS3_21rocsparse_index_base_b,comdat
.Lfunc_end151:
	.size	_ZN9rocsparseL23gebsrmvn_general_kernelILj32ELj32EdEEvi20rocsparse_direction_NS_24const_host_device_scalarIT1_EEPKiS6_PKS3_iiS8_S4_PS3_21rocsparse_index_base_b, .Lfunc_end151-_ZN9rocsparseL23gebsrmvn_general_kernelILj32ELj32EdEEvi20rocsparse_direction_NS_24const_host_device_scalarIT1_EEPKiS6_PKS3_iiS8_S4_PS3_21rocsparse_index_base_b
                                        ; -- End function
	.section	.AMDGPU.csdata,"",@progbits
; Kernel info:
; codeLenInByte = 1056
; NumSgprs: 28
; NumVgprs: 20
; ScratchSize: 0
; MemoryBound: 0
; FloatMode: 240
; IeeeMode: 1
; LDSByteSize: 0 bytes/workgroup (compile time only)
; SGPRBlocks: 3
; VGPRBlocks: 2
; NumSGPRsForWavesPerEU: 28
; NumVGPRsForWavesPerEU: 20
; Occupancy: 16
; WaveLimiterHint : 1
; COMPUTE_PGM_RSRC2:SCRATCH_EN: 0
; COMPUTE_PGM_RSRC2:USER_SGPR: 15
; COMPUTE_PGM_RSRC2:TRAP_HANDLER: 0
; COMPUTE_PGM_RSRC2:TGID_X_EN: 1
; COMPUTE_PGM_RSRC2:TGID_Y_EN: 0
; COMPUTE_PGM_RSRC2:TGID_Z_EN: 0
; COMPUTE_PGM_RSRC2:TIDIG_COMP_CNT: 0
	.section	.text._ZN9rocsparseL19gebsrmvn_2xn_kernelILj128ELj1ELj4E21rocsparse_complex_numIfEEEvi20rocsparse_direction_NS_24const_host_device_scalarIT2_EEPKiS8_PKS5_SA_S6_PS5_21rocsparse_index_base_b,"axG",@progbits,_ZN9rocsparseL19gebsrmvn_2xn_kernelILj128ELj1ELj4E21rocsparse_complex_numIfEEEvi20rocsparse_direction_NS_24const_host_device_scalarIT2_EEPKiS8_PKS5_SA_S6_PS5_21rocsparse_index_base_b,comdat
	.globl	_ZN9rocsparseL19gebsrmvn_2xn_kernelILj128ELj1ELj4E21rocsparse_complex_numIfEEEvi20rocsparse_direction_NS_24const_host_device_scalarIT2_EEPKiS8_PKS5_SA_S6_PS5_21rocsparse_index_base_b ; -- Begin function _ZN9rocsparseL19gebsrmvn_2xn_kernelILj128ELj1ELj4E21rocsparse_complex_numIfEEEvi20rocsparse_direction_NS_24const_host_device_scalarIT2_EEPKiS8_PKS5_SA_S6_PS5_21rocsparse_index_base_b
	.p2align	8
	.type	_ZN9rocsparseL19gebsrmvn_2xn_kernelILj128ELj1ELj4E21rocsparse_complex_numIfEEEvi20rocsparse_direction_NS_24const_host_device_scalarIT2_EEPKiS8_PKS5_SA_S6_PS5_21rocsparse_index_base_b,@function
_ZN9rocsparseL19gebsrmvn_2xn_kernelILj128ELj1ELj4E21rocsparse_complex_numIfEEEvi20rocsparse_direction_NS_24const_host_device_scalarIT2_EEPKiS8_PKS5_SA_S6_PS5_21rocsparse_index_base_b: ; @_ZN9rocsparseL19gebsrmvn_2xn_kernelILj128ELj1ELj4E21rocsparse_complex_numIfEEEvi20rocsparse_direction_NS_24const_host_device_scalarIT2_EEPKiS8_PKS5_SA_S6_PS5_21rocsparse_index_base_b
; %bb.0:
	s_clause 0x2
	s_load_b64 s[12:13], s[0:1], 0x40
	s_load_b64 s[4:5], s[0:1], 0x8
	;; [unrolled: 1-line block ×3, first 2 shown]
	s_waitcnt lgkmcnt(0)
	s_bitcmp1_b32 s13, 0
	v_mov_b32_e32 v7, s4
	s_cselect_b32 s6, -1, 0
	s_delay_alu instid0(SALU_CYCLE_1)
	s_and_b32 vcc_lo, exec_lo, s6
	s_xor_b32 s6, s6, -1
	s_cbranch_vccz .LBB152_15
; %bb.1:
	v_cndmask_b32_e64 v1, 0, 1, s6
	v_mov_b32_e32 v8, s5
	s_and_not1_b32 vcc_lo, exec_lo, s6
	s_cbranch_vccz .LBB152_16
.LBB152_2:
	s_delay_alu instid0(VALU_DEP_2)
	v_cmp_ne_u32_e32 vcc_lo, 1, v1
	v_mov_b32_e32 v9, s2
	s_cbranch_vccz .LBB152_17
.LBB152_3:
	v_cmp_ne_u32_e32 vcc_lo, 1, v1
	v_mov_b32_e32 v10, s3
	s_cbranch_vccnz .LBB152_5
.LBB152_4:
	v_dual_mov_b32 v1, s2 :: v_dual_mov_b32 v2, s3
	flat_load_b32 v10, v[1:2] offset:4
.LBB152_5:
	s_waitcnt vmcnt(0) lgkmcnt(0)
	v_cmp_eq_f32_e32 vcc_lo, 0, v7
	v_cmp_eq_f32_e64 s2, 0, v8
	s_delay_alu instid0(VALU_DEP_1)
	s_and_b32 s4, vcc_lo, s2
	s_mov_b32 s2, -1
	s_and_saveexec_b32 s3, s4
; %bb.6:
	v_cmp_neq_f32_e32 vcc_lo, 1.0, v9
	v_cmp_neq_f32_e64 s2, 0, v10
	s_delay_alu instid0(VALU_DEP_1) | instskip(NEXT) | instid1(SALU_CYCLE_1)
	s_or_b32 s2, vcc_lo, s2
	s_or_not1_b32 s2, s2, exec_lo
; %bb.7:
	s_or_b32 exec_lo, exec_lo, s3
	s_and_saveexec_b32 s3, s2
	s_cbranch_execz .LBB152_29
; %bb.8:
	s_load_b64 s[2:3], s[0:1], 0x0
	v_lshrrev_b32_e32 v1, 2, v0
	s_delay_alu instid0(VALU_DEP_1) | instskip(SKIP_1) | instid1(VALU_DEP_1)
	v_lshl_or_b32 v1, s15, 5, v1
	s_waitcnt lgkmcnt(0)
	v_cmp_gt_i32_e32 vcc_lo, s2, v1
	s_and_b32 exec_lo, exec_lo, vcc_lo
	s_cbranch_execz .LBB152_29
; %bb.9:
	s_load_b256 s[4:11], s[0:1], 0x10
	v_ashrrev_i32_e32 v2, 31, v1
	v_and_b32_e32 v0, 3, v0
	s_cmp_lg_u32 s3, 0
	s_delay_alu instid0(VALU_DEP_2) | instskip(SKIP_1) | instid1(VALU_DEP_1)
	v_lshlrev_b64 v[2:3], 2, v[1:2]
	s_waitcnt lgkmcnt(0)
	v_add_co_u32 v2, vcc_lo, s4, v2
	s_delay_alu instid0(VALU_DEP_2) | instskip(SKIP_4) | instid1(VALU_DEP_2)
	v_add_co_ci_u32_e32 v3, vcc_lo, s5, v3, vcc_lo
	global_load_b64 v[2:3], v[2:3], off
	s_waitcnt vmcnt(0)
	v_subrev_nc_u32_e32 v2, s12, v2
	v_subrev_nc_u32_e32 v15, s12, v3
	v_add_nc_u32_e32 v2, v2, v0
	s_delay_alu instid0(VALU_DEP_1)
	v_cmp_lt_i32_e64 s2, v2, v15
	s_cbranch_scc0 .LBB152_18
; %bb.10:
	v_dual_mov_b32 v11, 0 :: v_dual_mov_b32 v12, 0
	v_dual_mov_b32 v13, 0 :: v_dual_mov_b32 v14, 0
	s_mov_b32 s3, 0
	s_and_saveexec_b32 s4, s2
	s_cbranch_execz .LBB152_14
; %bb.11:
	v_dual_mov_b32 v4, 0 :: v_dual_lshlrev_b32 v3, 1, v2
	v_mov_b32_e32 v5, v2
	s_mov_b32 s5, 0
	s_delay_alu instid0(VALU_DEP_2)
	v_mov_b32_e32 v12, v4
	v_mov_b32_e32 v11, v4
	;; [unrolled: 1-line block ×4, first 2 shown]
	s_set_inst_prefetch_distance 0x1
	.p2align	6
.LBB152_12:                             ; =>This Inner Loop Header: Depth=1
	v_ashrrev_i32_e32 v6, 31, v5
	v_mov_b32_e32 v18, v4
	s_delay_alu instid0(VALU_DEP_2) | instskip(NEXT) | instid1(VALU_DEP_1)
	v_lshlrev_b64 v[16:17], 2, v[5:6]
	v_add_co_u32 v16, vcc_lo, s6, v16
	s_delay_alu instid0(VALU_DEP_2) | instskip(SKIP_3) | instid1(VALU_DEP_2)
	v_add_co_ci_u32_e32 v17, vcc_lo, s7, v17, vcc_lo
	global_load_b32 v6, v[16:17], off
	v_lshlrev_b64 v[16:17], 3, v[3:4]
	v_add_nc_u32_e32 v3, 8, v3
	v_add_co_u32 v19, vcc_lo, s8, v16
	s_delay_alu instid0(VALU_DEP_3) | instskip(SKIP_2) | instid1(VALU_DEP_1)
	v_add_co_ci_u32_e32 v20, vcc_lo, s9, v17, vcc_lo
	s_waitcnt vmcnt(0)
	v_subrev_nc_u32_e32 v17, s12, v6
	v_lshlrev_b64 v[16:17], 3, v[17:18]
	s_delay_alu instid0(VALU_DEP_1) | instskip(NEXT) | instid1(VALU_DEP_2)
	v_add_co_u32 v21, vcc_lo, s10, v16
	v_add_co_ci_u32_e32 v22, vcc_lo, s11, v17, vcc_lo
	global_load_b128 v[16:19], v[19:20], off
	global_load_b64 v[20:21], v[21:22], off
	s_waitcnt vmcnt(0)
	v_dual_fmac_f32 v12, v16, v20 :: v_dual_add_nc_u32 v5, 4, v5
	v_fmac_f32_e32 v13, v18, v20
	v_fmac_f32_e32 v14, v19, v20
	;; [unrolled: 1-line block ×3, first 2 shown]
	s_delay_alu instid0(VALU_DEP_4)
	v_cmp_ge_i32_e32 vcc_lo, v5, v15
	v_fma_f32 v12, -v17, v21, v12
	v_fma_f32 v13, -v19, v21, v13
	v_fmac_f32_e32 v14, v18, v21
	v_fmac_f32_e32 v11, v16, v21
	s_or_b32 s5, vcc_lo, s5
	s_delay_alu instid0(SALU_CYCLE_1)
	s_and_not1_b32 exec_lo, exec_lo, s5
	s_cbranch_execnz .LBB152_12
; %bb.13:
	s_set_inst_prefetch_distance 0x2
	s_or_b32 exec_lo, exec_lo, s5
.LBB152_14:
	s_delay_alu instid0(SALU_CYCLE_1) | instskip(NEXT) | instid1(SALU_CYCLE_1)
	s_or_b32 exec_lo, exec_lo, s4
	s_and_not1_b32 vcc_lo, exec_lo, s3
	s_cbranch_vccz .LBB152_19
	s_branch .LBB152_24
.LBB152_15:
	v_dual_mov_b32 v1, s4 :: v_dual_mov_b32 v2, s5
	flat_load_b32 v7, v[1:2]
	v_cndmask_b32_e64 v1, 0, 1, s6
	v_mov_b32_e32 v8, s5
	s_and_not1_b32 vcc_lo, exec_lo, s6
	s_cbranch_vccnz .LBB152_2
.LBB152_16:
	v_dual_mov_b32 v2, s4 :: v_dual_mov_b32 v3, s5
	flat_load_b32 v8, v[2:3] offset:4
	v_cmp_ne_u32_e32 vcc_lo, 1, v1
	v_mov_b32_e32 v9, s2
	s_cbranch_vccnz .LBB152_3
.LBB152_17:
	v_dual_mov_b32 v2, s2 :: v_dual_mov_b32 v3, s3
	flat_load_b32 v9, v[2:3]
	v_cmp_ne_u32_e32 vcc_lo, 1, v1
	v_mov_b32_e32 v10, s3
	s_cbranch_vccz .LBB152_4
	s_branch .LBB152_5
.LBB152_18:
                                        ; implicit-def: $vgpr11
                                        ; implicit-def: $vgpr12
                                        ; implicit-def: $vgpr13
                                        ; implicit-def: $vgpr14
.LBB152_19:
	v_dual_mov_b32 v11, 0 :: v_dual_mov_b32 v12, 0
	v_dual_mov_b32 v13, 0 :: v_dual_mov_b32 v14, 0
	s_delay_alu instid0(VALU_DEP_3)
	s_and_saveexec_b32 s3, s2
	s_cbranch_execz .LBB152_23
; %bb.20:
	v_dual_mov_b32 v5, 0 :: v_dual_lshlrev_b32 v4, 1, v2
	s_mov_b32 s2, 0
	s_delay_alu instid0(VALU_DEP_1)
	v_mov_b32_e32 v11, v5
	v_mov_b32_e32 v12, v5
	;; [unrolled: 1-line block ×4, first 2 shown]
	s_set_inst_prefetch_distance 0x1
	.p2align	6
.LBB152_21:                             ; =>This Inner Loop Header: Depth=1
	v_ashrrev_i32_e32 v3, 31, v2
	v_mov_b32_e32 v18, v5
	s_delay_alu instid0(VALU_DEP_2) | instskip(NEXT) | instid1(VALU_DEP_1)
	v_lshlrev_b64 v[16:17], 2, v[2:3]
	v_add_co_u32 v16, vcc_lo, s6, v16
	s_delay_alu instid0(VALU_DEP_2) | instskip(SKIP_3) | instid1(VALU_DEP_2)
	v_add_co_ci_u32_e32 v17, vcc_lo, s7, v17, vcc_lo
	global_load_b32 v3, v[16:17], off
	v_lshlrev_b64 v[16:17], 3, v[4:5]
	v_add_nc_u32_e32 v4, 8, v4
	v_add_co_u32 v19, vcc_lo, s8, v16
	s_delay_alu instid0(VALU_DEP_3) | instskip(SKIP_2) | instid1(VALU_DEP_1)
	v_add_co_ci_u32_e32 v20, vcc_lo, s9, v17, vcc_lo
	s_waitcnt vmcnt(0)
	v_subrev_nc_u32_e32 v17, s12, v3
	v_lshlrev_b64 v[16:17], 3, v[17:18]
	s_delay_alu instid0(VALU_DEP_1) | instskip(NEXT) | instid1(VALU_DEP_2)
	v_add_co_u32 v21, vcc_lo, s10, v16
	v_add_co_ci_u32_e32 v22, vcc_lo, s11, v17, vcc_lo
	global_load_b128 v[16:19], v[19:20], off
	global_load_b64 v[20:21], v[21:22], off
	s_waitcnt vmcnt(0)
	v_dual_fmac_f32 v11, v17, v20 :: v_dual_add_nc_u32 v2, 4, v2
	v_fmac_f32_e32 v12, v16, v20
	v_fmac_f32_e32 v13, v18, v20
	;; [unrolled: 1-line block ×3, first 2 shown]
	s_delay_alu instid0(VALU_DEP_4)
	v_cmp_ge_i32_e32 vcc_lo, v2, v15
	v_fmac_f32_e32 v11, v16, v21
	v_fma_f32 v12, -v17, v21, v12
	v_fma_f32 v13, -v19, v21, v13
	v_fmac_f32_e32 v14, v18, v21
	s_or_b32 s2, vcc_lo, s2
	s_delay_alu instid0(SALU_CYCLE_1)
	s_and_not1_b32 exec_lo, exec_lo, s2
	s_cbranch_execnz .LBB152_21
; %bb.22:
	s_set_inst_prefetch_distance 0x2
	s_or_b32 exec_lo, exec_lo, s2
.LBB152_23:
	s_delay_alu instid0(SALU_CYCLE_1)
	s_or_b32 exec_lo, exec_lo, s3
.LBB152_24:
	v_mbcnt_lo_u32_b32 v2, -1, 0
	s_delay_alu instid0(VALU_DEP_1) | instskip(SKIP_1) | instid1(VALU_DEP_2)
	v_xor_b32_e32 v3, 2, v2
	v_xor_b32_e32 v15, 1, v2
	v_cmp_gt_i32_e32 vcc_lo, 32, v3
	v_cndmask_b32_e32 v3, v2, v3, vcc_lo
	s_delay_alu instid0(VALU_DEP_3) | instskip(NEXT) | instid1(VALU_DEP_2)
	v_cmp_gt_i32_e32 vcc_lo, 32, v15
	v_lshlrev_b32_e32 v3, 2, v3
	v_cndmask_b32_e32 v2, v2, v15, vcc_lo
	v_cmp_eq_u32_e32 vcc_lo, 3, v0
	ds_bpermute_b32 v6, v3, v13
	v_lshlrev_b32_e32 v15, 2, v2
	s_waitcnt lgkmcnt(0)
	v_add_f32_e32 v2, v13, v6
	ds_bpermute_b32 v4, v3, v12
	ds_bpermute_b32 v5, v3, v11
	;; [unrolled: 1-line block ×4, first 2 shown]
	s_waitcnt lgkmcnt(2)
	v_dual_add_f32 v4, v12, v4 :: v_dual_add_f32 v5, v11, v5
	s_waitcnt lgkmcnt(1)
	v_add_f32_e32 v3, v14, v3
	ds_bpermute_b32 v12, v15, v4
	ds_bpermute_b32 v13, v15, v5
	;; [unrolled: 1-line block ×3, first 2 shown]
	s_and_b32 exec_lo, exec_lo, vcc_lo
	s_cbranch_execz .LBB152_29
; %bb.25:
	s_load_b64 s[2:3], s[0:1], 0x38
	v_cmp_eq_f32_e32 vcc_lo, 0, v9
	v_cmp_eq_f32_e64 s0, 0, v10
	s_waitcnt lgkmcnt(0)
	v_dual_add_f32 v0, v4, v12 :: v_dual_add_f32 v3, v3, v11
	v_add_f32_e32 v4, v5, v13
	v_add_f32_e32 v2, v2, v6
	s_and_b32 s0, vcc_lo, s0
	s_delay_alu instid0(SALU_CYCLE_1) | instskip(NEXT) | instid1(SALU_CYCLE_1)
	s_and_saveexec_b32 s1, s0
	s_xor_b32 s0, exec_lo, s1
	s_cbranch_execz .LBB152_27
; %bb.26:
	v_dual_mul_f32 v10, v4, v7 :: v_dual_lshlrev_b32 v5, 1, v1
	v_mul_f32_e64 v9, v4, -v8
	v_mul_f32_e64 v11, v3, -v8
	v_mul_f32_e32 v12, v3, v7
	s_delay_alu instid0(VALU_DEP_4)
	v_ashrrev_i32_e32 v6, 31, v5
	v_fmac_f32_e32 v10, v8, v0
	v_fmac_f32_e32 v9, v7, v0
	;; [unrolled: 1-line block ×4, first 2 shown]
	v_lshlrev_b64 v[4:5], 3, v[5:6]
                                        ; implicit-def: $vgpr7
                                        ; implicit-def: $vgpr8
                                        ; implicit-def: $vgpr2
                                        ; implicit-def: $vgpr3
	s_delay_alu instid0(VALU_DEP_1) | instskip(NEXT) | instid1(VALU_DEP_2)
	v_add_co_u32 v0, vcc_lo, s2, v4
	v_add_co_ci_u32_e32 v1, vcc_lo, s3, v5, vcc_lo
                                        ; implicit-def: $vgpr4
	global_store_b128 v[0:1], v[9:12], off
                                        ; implicit-def: $vgpr9
                                        ; implicit-def: $vgpr10
                                        ; implicit-def: $vgpr1
                                        ; implicit-def: $vgpr0
.LBB152_27:
	s_and_not1_saveexec_b32 s0, s0
	s_cbranch_execz .LBB152_29
; %bb.28:
	v_lshlrev_b32_e32 v5, 1, v1
	v_mul_f32_e64 v15, v4, -v8
	v_mul_f32_e32 v1, v4, v7
	v_mul_f32_e64 v4, v3, -v8
	v_mul_f32_e32 v3, v3, v7
	s_delay_alu instid0(VALU_DEP_4) | instskip(NEXT) | instid1(VALU_DEP_3)
	v_fmac_f32_e32 v15, v7, v0
	v_fmac_f32_e32 v4, v7, v2
	v_ashrrev_i32_e32 v6, 31, v5
	s_delay_alu instid0(VALU_DEP_4) | instskip(NEXT) | instid1(VALU_DEP_2)
	v_fmac_f32_e32 v3, v8, v2
	v_lshlrev_b64 v[5:6], 3, v[5:6]
	s_delay_alu instid0(VALU_DEP_1) | instskip(NEXT) | instid1(VALU_DEP_2)
	v_add_co_u32 v5, vcc_lo, s2, v5
	v_add_co_ci_u32_e32 v6, vcc_lo, s3, v6, vcc_lo
	global_load_b128 v[11:14], v[5:6], off
	s_waitcnt vmcnt(0)
	v_dual_fmac_f32 v4, v9, v13 :: v_dual_fmac_f32 v1, v8, v0
	v_fmac_f32_e32 v15, v9, v11
	v_fmac_f32_e32 v3, v10, v13
	s_delay_alu instid0(VALU_DEP_3) | instskip(NEXT) | instid1(VALU_DEP_4)
	v_fma_f32 v2, -v10, v14, v4
	v_fmac_f32_e32 v1, v10, v11
	s_delay_alu instid0(VALU_DEP_4) | instskip(NEXT) | instid1(VALU_DEP_4)
	v_fma_f32 v0, -v10, v12, v15
	v_fmac_f32_e32 v3, v9, v14
	s_delay_alu instid0(VALU_DEP_3)
	v_fmac_f32_e32 v1, v9, v12
	global_store_b128 v[5:6], v[0:3], off
.LBB152_29:
	s_nop 0
	s_sendmsg sendmsg(MSG_DEALLOC_VGPRS)
	s_endpgm
	.section	.rodata,"a",@progbits
	.p2align	6, 0x0
	.amdhsa_kernel _ZN9rocsparseL19gebsrmvn_2xn_kernelILj128ELj1ELj4E21rocsparse_complex_numIfEEEvi20rocsparse_direction_NS_24const_host_device_scalarIT2_EEPKiS8_PKS5_SA_S6_PS5_21rocsparse_index_base_b
		.amdhsa_group_segment_fixed_size 0
		.amdhsa_private_segment_fixed_size 0
		.amdhsa_kernarg_size 72
		.amdhsa_user_sgpr_count 15
		.amdhsa_user_sgpr_dispatch_ptr 0
		.amdhsa_user_sgpr_queue_ptr 0
		.amdhsa_user_sgpr_kernarg_segment_ptr 1
		.amdhsa_user_sgpr_dispatch_id 0
		.amdhsa_user_sgpr_private_segment_size 0
		.amdhsa_wavefront_size32 1
		.amdhsa_uses_dynamic_stack 0
		.amdhsa_enable_private_segment 0
		.amdhsa_system_sgpr_workgroup_id_x 1
		.amdhsa_system_sgpr_workgroup_id_y 0
		.amdhsa_system_sgpr_workgroup_id_z 0
		.amdhsa_system_sgpr_workgroup_info 0
		.amdhsa_system_vgpr_workitem_id 0
		.amdhsa_next_free_vgpr 23
		.amdhsa_next_free_sgpr 16
		.amdhsa_reserve_vcc 1
		.amdhsa_float_round_mode_32 0
		.amdhsa_float_round_mode_16_64 0
		.amdhsa_float_denorm_mode_32 3
		.amdhsa_float_denorm_mode_16_64 3
		.amdhsa_dx10_clamp 1
		.amdhsa_ieee_mode 1
		.amdhsa_fp16_overflow 0
		.amdhsa_workgroup_processor_mode 1
		.amdhsa_memory_ordered 1
		.amdhsa_forward_progress 0
		.amdhsa_shared_vgpr_count 0
		.amdhsa_exception_fp_ieee_invalid_op 0
		.amdhsa_exception_fp_denorm_src 0
		.amdhsa_exception_fp_ieee_div_zero 0
		.amdhsa_exception_fp_ieee_overflow 0
		.amdhsa_exception_fp_ieee_underflow 0
		.amdhsa_exception_fp_ieee_inexact 0
		.amdhsa_exception_int_div_zero 0
	.end_amdhsa_kernel
	.section	.text._ZN9rocsparseL19gebsrmvn_2xn_kernelILj128ELj1ELj4E21rocsparse_complex_numIfEEEvi20rocsparse_direction_NS_24const_host_device_scalarIT2_EEPKiS8_PKS5_SA_S6_PS5_21rocsparse_index_base_b,"axG",@progbits,_ZN9rocsparseL19gebsrmvn_2xn_kernelILj128ELj1ELj4E21rocsparse_complex_numIfEEEvi20rocsparse_direction_NS_24const_host_device_scalarIT2_EEPKiS8_PKS5_SA_S6_PS5_21rocsparse_index_base_b,comdat
.Lfunc_end152:
	.size	_ZN9rocsparseL19gebsrmvn_2xn_kernelILj128ELj1ELj4E21rocsparse_complex_numIfEEEvi20rocsparse_direction_NS_24const_host_device_scalarIT2_EEPKiS8_PKS5_SA_S6_PS5_21rocsparse_index_base_b, .Lfunc_end152-_ZN9rocsparseL19gebsrmvn_2xn_kernelILj128ELj1ELj4E21rocsparse_complex_numIfEEEvi20rocsparse_direction_NS_24const_host_device_scalarIT2_EEPKiS8_PKS5_SA_S6_PS5_21rocsparse_index_base_b
                                        ; -- End function
	.section	.AMDGPU.csdata,"",@progbits
; Kernel info:
; codeLenInByte = 1448
; NumSgprs: 18
; NumVgprs: 23
; ScratchSize: 0
; MemoryBound: 0
; FloatMode: 240
; IeeeMode: 1
; LDSByteSize: 0 bytes/workgroup (compile time only)
; SGPRBlocks: 2
; VGPRBlocks: 2
; NumSGPRsForWavesPerEU: 18
; NumVGPRsForWavesPerEU: 23
; Occupancy: 16
; WaveLimiterHint : 1
; COMPUTE_PGM_RSRC2:SCRATCH_EN: 0
; COMPUTE_PGM_RSRC2:USER_SGPR: 15
; COMPUTE_PGM_RSRC2:TRAP_HANDLER: 0
; COMPUTE_PGM_RSRC2:TGID_X_EN: 1
; COMPUTE_PGM_RSRC2:TGID_Y_EN: 0
; COMPUTE_PGM_RSRC2:TGID_Z_EN: 0
; COMPUTE_PGM_RSRC2:TIDIG_COMP_CNT: 0
	.section	.text._ZN9rocsparseL19gebsrmvn_2xn_kernelILj128ELj1ELj8E21rocsparse_complex_numIfEEEvi20rocsparse_direction_NS_24const_host_device_scalarIT2_EEPKiS8_PKS5_SA_S6_PS5_21rocsparse_index_base_b,"axG",@progbits,_ZN9rocsparseL19gebsrmvn_2xn_kernelILj128ELj1ELj8E21rocsparse_complex_numIfEEEvi20rocsparse_direction_NS_24const_host_device_scalarIT2_EEPKiS8_PKS5_SA_S6_PS5_21rocsparse_index_base_b,comdat
	.globl	_ZN9rocsparseL19gebsrmvn_2xn_kernelILj128ELj1ELj8E21rocsparse_complex_numIfEEEvi20rocsparse_direction_NS_24const_host_device_scalarIT2_EEPKiS8_PKS5_SA_S6_PS5_21rocsparse_index_base_b ; -- Begin function _ZN9rocsparseL19gebsrmvn_2xn_kernelILj128ELj1ELj8E21rocsparse_complex_numIfEEEvi20rocsparse_direction_NS_24const_host_device_scalarIT2_EEPKiS8_PKS5_SA_S6_PS5_21rocsparse_index_base_b
	.p2align	8
	.type	_ZN9rocsparseL19gebsrmvn_2xn_kernelILj128ELj1ELj8E21rocsparse_complex_numIfEEEvi20rocsparse_direction_NS_24const_host_device_scalarIT2_EEPKiS8_PKS5_SA_S6_PS5_21rocsparse_index_base_b,@function
_ZN9rocsparseL19gebsrmvn_2xn_kernelILj128ELj1ELj8E21rocsparse_complex_numIfEEEvi20rocsparse_direction_NS_24const_host_device_scalarIT2_EEPKiS8_PKS5_SA_S6_PS5_21rocsparse_index_base_b: ; @_ZN9rocsparseL19gebsrmvn_2xn_kernelILj128ELj1ELj8E21rocsparse_complex_numIfEEEvi20rocsparse_direction_NS_24const_host_device_scalarIT2_EEPKiS8_PKS5_SA_S6_PS5_21rocsparse_index_base_b
; %bb.0:
	s_clause 0x2
	s_load_b64 s[12:13], s[0:1], 0x40
	s_load_b64 s[4:5], s[0:1], 0x8
	s_load_b64 s[2:3], s[0:1], 0x30
	s_waitcnt lgkmcnt(0)
	s_bitcmp1_b32 s13, 0
	v_mov_b32_e32 v7, s4
	s_cselect_b32 s6, -1, 0
	s_delay_alu instid0(SALU_CYCLE_1)
	s_and_b32 vcc_lo, exec_lo, s6
	s_xor_b32 s6, s6, -1
	s_cbranch_vccz .LBB153_15
; %bb.1:
	v_cndmask_b32_e64 v1, 0, 1, s6
	v_mov_b32_e32 v8, s5
	s_and_not1_b32 vcc_lo, exec_lo, s6
	s_cbranch_vccz .LBB153_16
.LBB153_2:
	s_delay_alu instid0(VALU_DEP_2)
	v_cmp_ne_u32_e32 vcc_lo, 1, v1
	v_mov_b32_e32 v9, s2
	s_cbranch_vccz .LBB153_17
.LBB153_3:
	v_cmp_ne_u32_e32 vcc_lo, 1, v1
	v_mov_b32_e32 v10, s3
	s_cbranch_vccnz .LBB153_5
.LBB153_4:
	v_dual_mov_b32 v1, s2 :: v_dual_mov_b32 v2, s3
	flat_load_b32 v10, v[1:2] offset:4
.LBB153_5:
	s_waitcnt vmcnt(0) lgkmcnt(0)
	v_cmp_eq_f32_e32 vcc_lo, 0, v7
	v_cmp_eq_f32_e64 s2, 0, v8
	s_delay_alu instid0(VALU_DEP_1)
	s_and_b32 s4, vcc_lo, s2
	s_mov_b32 s2, -1
	s_and_saveexec_b32 s3, s4
; %bb.6:
	v_cmp_neq_f32_e32 vcc_lo, 1.0, v9
	v_cmp_neq_f32_e64 s2, 0, v10
	s_delay_alu instid0(VALU_DEP_1) | instskip(NEXT) | instid1(SALU_CYCLE_1)
	s_or_b32 s2, vcc_lo, s2
	s_or_not1_b32 s2, s2, exec_lo
; %bb.7:
	s_or_b32 exec_lo, exec_lo, s3
	s_and_saveexec_b32 s3, s2
	s_cbranch_execz .LBB153_29
; %bb.8:
	s_load_b64 s[2:3], s[0:1], 0x0
	v_lshrrev_b32_e32 v1, 3, v0
	s_delay_alu instid0(VALU_DEP_1) | instskip(SKIP_1) | instid1(VALU_DEP_1)
	v_lshl_or_b32 v1, s15, 4, v1
	s_waitcnt lgkmcnt(0)
	v_cmp_gt_i32_e32 vcc_lo, s2, v1
	s_and_b32 exec_lo, exec_lo, vcc_lo
	s_cbranch_execz .LBB153_29
; %bb.9:
	s_load_b256 s[4:11], s[0:1], 0x10
	v_ashrrev_i32_e32 v2, 31, v1
	v_and_b32_e32 v0, 7, v0
	s_cmp_lg_u32 s3, 0
	s_delay_alu instid0(VALU_DEP_2) | instskip(SKIP_1) | instid1(VALU_DEP_1)
	v_lshlrev_b64 v[2:3], 2, v[1:2]
	s_waitcnt lgkmcnt(0)
	v_add_co_u32 v2, vcc_lo, s4, v2
	s_delay_alu instid0(VALU_DEP_2) | instskip(SKIP_4) | instid1(VALU_DEP_2)
	v_add_co_ci_u32_e32 v3, vcc_lo, s5, v3, vcc_lo
	global_load_b64 v[2:3], v[2:3], off
	s_waitcnt vmcnt(0)
	v_subrev_nc_u32_e32 v2, s12, v2
	v_subrev_nc_u32_e32 v15, s12, v3
	v_add_nc_u32_e32 v2, v2, v0
	s_delay_alu instid0(VALU_DEP_1)
	v_cmp_lt_i32_e64 s2, v2, v15
	s_cbranch_scc0 .LBB153_18
; %bb.10:
	v_dual_mov_b32 v11, 0 :: v_dual_mov_b32 v12, 0
	v_dual_mov_b32 v13, 0 :: v_dual_mov_b32 v14, 0
	s_mov_b32 s3, 0
	s_and_saveexec_b32 s4, s2
	s_cbranch_execz .LBB153_14
; %bb.11:
	v_dual_mov_b32 v4, 0 :: v_dual_lshlrev_b32 v3, 1, v2
	v_mov_b32_e32 v5, v2
	s_mov_b32 s5, 0
	s_delay_alu instid0(VALU_DEP_2)
	v_mov_b32_e32 v12, v4
	v_mov_b32_e32 v11, v4
	;; [unrolled: 1-line block ×4, first 2 shown]
	s_set_inst_prefetch_distance 0x1
	.p2align	6
.LBB153_12:                             ; =>This Inner Loop Header: Depth=1
	v_ashrrev_i32_e32 v6, 31, v5
	v_mov_b32_e32 v18, v4
	s_delay_alu instid0(VALU_DEP_2) | instskip(NEXT) | instid1(VALU_DEP_1)
	v_lshlrev_b64 v[16:17], 2, v[5:6]
	v_add_co_u32 v16, vcc_lo, s6, v16
	s_delay_alu instid0(VALU_DEP_2) | instskip(SKIP_3) | instid1(VALU_DEP_2)
	v_add_co_ci_u32_e32 v17, vcc_lo, s7, v17, vcc_lo
	global_load_b32 v6, v[16:17], off
	v_lshlrev_b64 v[16:17], 3, v[3:4]
	v_add_nc_u32_e32 v3, 16, v3
	v_add_co_u32 v19, vcc_lo, s8, v16
	s_delay_alu instid0(VALU_DEP_3) | instskip(SKIP_2) | instid1(VALU_DEP_1)
	v_add_co_ci_u32_e32 v20, vcc_lo, s9, v17, vcc_lo
	s_waitcnt vmcnt(0)
	v_subrev_nc_u32_e32 v17, s12, v6
	v_lshlrev_b64 v[16:17], 3, v[17:18]
	s_delay_alu instid0(VALU_DEP_1) | instskip(NEXT) | instid1(VALU_DEP_2)
	v_add_co_u32 v21, vcc_lo, s10, v16
	v_add_co_ci_u32_e32 v22, vcc_lo, s11, v17, vcc_lo
	global_load_b128 v[16:19], v[19:20], off
	global_load_b64 v[20:21], v[21:22], off
	s_waitcnt vmcnt(0)
	v_dual_fmac_f32 v12, v16, v20 :: v_dual_add_nc_u32 v5, 8, v5
	v_fmac_f32_e32 v13, v18, v20
	v_fmac_f32_e32 v14, v19, v20
	;; [unrolled: 1-line block ×3, first 2 shown]
	s_delay_alu instid0(VALU_DEP_4)
	v_cmp_ge_i32_e32 vcc_lo, v5, v15
	v_fma_f32 v12, -v17, v21, v12
	v_fma_f32 v13, -v19, v21, v13
	v_fmac_f32_e32 v14, v18, v21
	v_fmac_f32_e32 v11, v16, v21
	s_or_b32 s5, vcc_lo, s5
	s_delay_alu instid0(SALU_CYCLE_1)
	s_and_not1_b32 exec_lo, exec_lo, s5
	s_cbranch_execnz .LBB153_12
; %bb.13:
	s_set_inst_prefetch_distance 0x2
	s_or_b32 exec_lo, exec_lo, s5
.LBB153_14:
	s_delay_alu instid0(SALU_CYCLE_1) | instskip(NEXT) | instid1(SALU_CYCLE_1)
	s_or_b32 exec_lo, exec_lo, s4
	s_and_not1_b32 vcc_lo, exec_lo, s3
	s_cbranch_vccz .LBB153_19
	s_branch .LBB153_24
.LBB153_15:
	v_dual_mov_b32 v1, s4 :: v_dual_mov_b32 v2, s5
	flat_load_b32 v7, v[1:2]
	v_cndmask_b32_e64 v1, 0, 1, s6
	v_mov_b32_e32 v8, s5
	s_and_not1_b32 vcc_lo, exec_lo, s6
	s_cbranch_vccnz .LBB153_2
.LBB153_16:
	v_dual_mov_b32 v2, s4 :: v_dual_mov_b32 v3, s5
	flat_load_b32 v8, v[2:3] offset:4
	v_cmp_ne_u32_e32 vcc_lo, 1, v1
	v_mov_b32_e32 v9, s2
	s_cbranch_vccnz .LBB153_3
.LBB153_17:
	v_dual_mov_b32 v2, s2 :: v_dual_mov_b32 v3, s3
	flat_load_b32 v9, v[2:3]
	v_cmp_ne_u32_e32 vcc_lo, 1, v1
	v_mov_b32_e32 v10, s3
	s_cbranch_vccz .LBB153_4
	s_branch .LBB153_5
.LBB153_18:
                                        ; implicit-def: $vgpr11
                                        ; implicit-def: $vgpr12
                                        ; implicit-def: $vgpr13
                                        ; implicit-def: $vgpr14
.LBB153_19:
	v_dual_mov_b32 v11, 0 :: v_dual_mov_b32 v12, 0
	v_dual_mov_b32 v13, 0 :: v_dual_mov_b32 v14, 0
	s_delay_alu instid0(VALU_DEP_3)
	s_and_saveexec_b32 s3, s2
	s_cbranch_execz .LBB153_23
; %bb.20:
	v_dual_mov_b32 v5, 0 :: v_dual_lshlrev_b32 v4, 1, v2
	s_mov_b32 s2, 0
	s_delay_alu instid0(VALU_DEP_1)
	v_mov_b32_e32 v11, v5
	v_mov_b32_e32 v12, v5
	;; [unrolled: 1-line block ×4, first 2 shown]
	s_set_inst_prefetch_distance 0x1
	.p2align	6
.LBB153_21:                             ; =>This Inner Loop Header: Depth=1
	v_ashrrev_i32_e32 v3, 31, v2
	v_mov_b32_e32 v18, v5
	s_delay_alu instid0(VALU_DEP_2) | instskip(NEXT) | instid1(VALU_DEP_1)
	v_lshlrev_b64 v[16:17], 2, v[2:3]
	v_add_co_u32 v16, vcc_lo, s6, v16
	s_delay_alu instid0(VALU_DEP_2) | instskip(SKIP_3) | instid1(VALU_DEP_2)
	v_add_co_ci_u32_e32 v17, vcc_lo, s7, v17, vcc_lo
	global_load_b32 v3, v[16:17], off
	v_lshlrev_b64 v[16:17], 3, v[4:5]
	v_add_nc_u32_e32 v4, 16, v4
	v_add_co_u32 v19, vcc_lo, s8, v16
	s_delay_alu instid0(VALU_DEP_3) | instskip(SKIP_2) | instid1(VALU_DEP_1)
	v_add_co_ci_u32_e32 v20, vcc_lo, s9, v17, vcc_lo
	s_waitcnt vmcnt(0)
	v_subrev_nc_u32_e32 v17, s12, v3
	v_lshlrev_b64 v[16:17], 3, v[17:18]
	s_delay_alu instid0(VALU_DEP_1) | instskip(NEXT) | instid1(VALU_DEP_2)
	v_add_co_u32 v21, vcc_lo, s10, v16
	v_add_co_ci_u32_e32 v22, vcc_lo, s11, v17, vcc_lo
	global_load_b128 v[16:19], v[19:20], off
	global_load_b64 v[20:21], v[21:22], off
	s_waitcnt vmcnt(0)
	v_dual_fmac_f32 v11, v17, v20 :: v_dual_add_nc_u32 v2, 8, v2
	v_fmac_f32_e32 v12, v16, v20
	v_fmac_f32_e32 v13, v18, v20
	;; [unrolled: 1-line block ×3, first 2 shown]
	s_delay_alu instid0(VALU_DEP_4)
	v_cmp_ge_i32_e32 vcc_lo, v2, v15
	v_fmac_f32_e32 v11, v16, v21
	v_fma_f32 v12, -v17, v21, v12
	v_fma_f32 v13, -v19, v21, v13
	v_fmac_f32_e32 v14, v18, v21
	s_or_b32 s2, vcc_lo, s2
	s_delay_alu instid0(SALU_CYCLE_1)
	s_and_not1_b32 exec_lo, exec_lo, s2
	s_cbranch_execnz .LBB153_21
; %bb.22:
	s_set_inst_prefetch_distance 0x2
	s_or_b32 exec_lo, exec_lo, s2
.LBB153_23:
	s_delay_alu instid0(SALU_CYCLE_1)
	s_or_b32 exec_lo, exec_lo, s3
.LBB153_24:
	v_mbcnt_lo_u32_b32 v2, -1, 0
	s_delay_alu instid0(VALU_DEP_1) | instskip(SKIP_1) | instid1(VALU_DEP_2)
	v_xor_b32_e32 v3, 4, v2
	v_xor_b32_e32 v15, 2, v2
	v_cmp_gt_i32_e32 vcc_lo, 32, v3
	v_cndmask_b32_e32 v3, v2, v3, vcc_lo
	s_delay_alu instid0(VALU_DEP_3) | instskip(NEXT) | instid1(VALU_DEP_2)
	v_cmp_gt_i32_e32 vcc_lo, 32, v15
	v_lshlrev_b32_e32 v3, 2, v3
	v_cndmask_b32_e32 v15, v2, v15, vcc_lo
	ds_bpermute_b32 v6, v3, v13
	s_waitcnt lgkmcnt(0)
	v_add_f32_e32 v6, v13, v6
	ds_bpermute_b32 v4, v3, v12
	ds_bpermute_b32 v5, v3, v11
	;; [unrolled: 1-line block ×3, first 2 shown]
	v_lshlrev_b32_e32 v15, 2, v15
	ds_bpermute_b32 v13, v15, v6
	s_waitcnt lgkmcnt(2)
	v_dual_add_f32 v4, v12, v4 :: v_dual_add_f32 v5, v11, v5
	s_waitcnt lgkmcnt(1)
	v_add_f32_e32 v3, v14, v3
	ds_bpermute_b32 v11, v15, v4
	ds_bpermute_b32 v12, v15, v5
	;; [unrolled: 1-line block ×3, first 2 shown]
	v_xor_b32_e32 v15, 1, v2
	s_delay_alu instid0(VALU_DEP_1) | instskip(SKIP_3) | instid1(VALU_DEP_2)
	v_cmp_gt_i32_e32 vcc_lo, 32, v15
	v_cndmask_b32_e32 v2, v2, v15, vcc_lo
	v_cmp_eq_u32_e32 vcc_lo, 7, v0
	s_waitcnt lgkmcnt(3)
	v_dual_add_f32 v2, v6, v13 :: v_dual_lshlrev_b32 v15, 2, v2
	s_waitcnt lgkmcnt(1)
	v_dual_add_f32 v4, v4, v11 :: v_dual_add_f32 v5, v5, v12
	s_waitcnt lgkmcnt(0)
	v_add_f32_e32 v3, v3, v14
	ds_bpermute_b32 v6, v15, v2
	ds_bpermute_b32 v12, v15, v4
	;; [unrolled: 1-line block ×4, first 2 shown]
	s_and_b32 exec_lo, exec_lo, vcc_lo
	s_cbranch_execz .LBB153_29
; %bb.25:
	s_load_b64 s[2:3], s[0:1], 0x38
	v_cmp_eq_f32_e32 vcc_lo, 0, v9
	v_cmp_eq_f32_e64 s0, 0, v10
	s_waitcnt lgkmcnt(0)
	v_dual_add_f32 v0, v4, v12 :: v_dual_add_f32 v3, v3, v11
	v_add_f32_e32 v4, v5, v13
	v_add_f32_e32 v2, v2, v6
	s_and_b32 s0, vcc_lo, s0
	s_delay_alu instid0(SALU_CYCLE_1) | instskip(NEXT) | instid1(SALU_CYCLE_1)
	s_and_saveexec_b32 s1, s0
	s_xor_b32 s0, exec_lo, s1
	s_cbranch_execz .LBB153_27
; %bb.26:
	v_dual_mul_f32 v10, v4, v7 :: v_dual_lshlrev_b32 v5, 1, v1
	v_mul_f32_e64 v9, v4, -v8
	v_mul_f32_e64 v11, v3, -v8
	v_mul_f32_e32 v12, v3, v7
	s_delay_alu instid0(VALU_DEP_4)
	v_ashrrev_i32_e32 v6, 31, v5
	v_fmac_f32_e32 v10, v8, v0
	v_fmac_f32_e32 v9, v7, v0
	;; [unrolled: 1-line block ×4, first 2 shown]
	v_lshlrev_b64 v[4:5], 3, v[5:6]
                                        ; implicit-def: $vgpr7
                                        ; implicit-def: $vgpr8
                                        ; implicit-def: $vgpr2
                                        ; implicit-def: $vgpr3
	s_delay_alu instid0(VALU_DEP_1) | instskip(NEXT) | instid1(VALU_DEP_2)
	v_add_co_u32 v0, vcc_lo, s2, v4
	v_add_co_ci_u32_e32 v1, vcc_lo, s3, v5, vcc_lo
                                        ; implicit-def: $vgpr4
	global_store_b128 v[0:1], v[9:12], off
                                        ; implicit-def: $vgpr9
                                        ; implicit-def: $vgpr10
                                        ; implicit-def: $vgpr1
                                        ; implicit-def: $vgpr0
.LBB153_27:
	s_and_not1_saveexec_b32 s0, s0
	s_cbranch_execz .LBB153_29
; %bb.28:
	v_lshlrev_b32_e32 v5, 1, v1
	v_mul_f32_e64 v15, v4, -v8
	v_mul_f32_e32 v1, v4, v7
	v_mul_f32_e64 v4, v3, -v8
	v_mul_f32_e32 v3, v3, v7
	s_delay_alu instid0(VALU_DEP_4) | instskip(NEXT) | instid1(VALU_DEP_3)
	v_fmac_f32_e32 v15, v7, v0
	v_fmac_f32_e32 v4, v7, v2
	v_ashrrev_i32_e32 v6, 31, v5
	s_delay_alu instid0(VALU_DEP_4) | instskip(NEXT) | instid1(VALU_DEP_2)
	v_fmac_f32_e32 v3, v8, v2
	v_lshlrev_b64 v[5:6], 3, v[5:6]
	s_delay_alu instid0(VALU_DEP_1) | instskip(NEXT) | instid1(VALU_DEP_2)
	v_add_co_u32 v5, vcc_lo, s2, v5
	v_add_co_ci_u32_e32 v6, vcc_lo, s3, v6, vcc_lo
	global_load_b128 v[11:14], v[5:6], off
	s_waitcnt vmcnt(0)
	v_dual_fmac_f32 v4, v9, v13 :: v_dual_fmac_f32 v1, v8, v0
	v_fmac_f32_e32 v15, v9, v11
	v_fmac_f32_e32 v3, v10, v13
	s_delay_alu instid0(VALU_DEP_3) | instskip(NEXT) | instid1(VALU_DEP_4)
	v_fma_f32 v2, -v10, v14, v4
	v_fmac_f32_e32 v1, v10, v11
	s_delay_alu instid0(VALU_DEP_4) | instskip(NEXT) | instid1(VALU_DEP_4)
	v_fma_f32 v0, -v10, v12, v15
	v_fmac_f32_e32 v3, v9, v14
	s_delay_alu instid0(VALU_DEP_3)
	v_fmac_f32_e32 v1, v9, v12
	global_store_b128 v[5:6], v[0:3], off
.LBB153_29:
	s_nop 0
	s_sendmsg sendmsg(MSG_DEALLOC_VGPRS)
	s_endpgm
	.section	.rodata,"a",@progbits
	.p2align	6, 0x0
	.amdhsa_kernel _ZN9rocsparseL19gebsrmvn_2xn_kernelILj128ELj1ELj8E21rocsparse_complex_numIfEEEvi20rocsparse_direction_NS_24const_host_device_scalarIT2_EEPKiS8_PKS5_SA_S6_PS5_21rocsparse_index_base_b
		.amdhsa_group_segment_fixed_size 0
		.amdhsa_private_segment_fixed_size 0
		.amdhsa_kernarg_size 72
		.amdhsa_user_sgpr_count 15
		.amdhsa_user_sgpr_dispatch_ptr 0
		.amdhsa_user_sgpr_queue_ptr 0
		.amdhsa_user_sgpr_kernarg_segment_ptr 1
		.amdhsa_user_sgpr_dispatch_id 0
		.amdhsa_user_sgpr_private_segment_size 0
		.amdhsa_wavefront_size32 1
		.amdhsa_uses_dynamic_stack 0
		.amdhsa_enable_private_segment 0
		.amdhsa_system_sgpr_workgroup_id_x 1
		.amdhsa_system_sgpr_workgroup_id_y 0
		.amdhsa_system_sgpr_workgroup_id_z 0
		.amdhsa_system_sgpr_workgroup_info 0
		.amdhsa_system_vgpr_workitem_id 0
		.amdhsa_next_free_vgpr 23
		.amdhsa_next_free_sgpr 16
		.amdhsa_reserve_vcc 1
		.amdhsa_float_round_mode_32 0
		.amdhsa_float_round_mode_16_64 0
		.amdhsa_float_denorm_mode_32 3
		.amdhsa_float_denorm_mode_16_64 3
		.amdhsa_dx10_clamp 1
		.amdhsa_ieee_mode 1
		.amdhsa_fp16_overflow 0
		.amdhsa_workgroup_processor_mode 1
		.amdhsa_memory_ordered 1
		.amdhsa_forward_progress 0
		.amdhsa_shared_vgpr_count 0
		.amdhsa_exception_fp_ieee_invalid_op 0
		.amdhsa_exception_fp_denorm_src 0
		.amdhsa_exception_fp_ieee_div_zero 0
		.amdhsa_exception_fp_ieee_overflow 0
		.amdhsa_exception_fp_ieee_underflow 0
		.amdhsa_exception_fp_ieee_inexact 0
		.amdhsa_exception_int_div_zero 0
	.end_amdhsa_kernel
	.section	.text._ZN9rocsparseL19gebsrmvn_2xn_kernelILj128ELj1ELj8E21rocsparse_complex_numIfEEEvi20rocsparse_direction_NS_24const_host_device_scalarIT2_EEPKiS8_PKS5_SA_S6_PS5_21rocsparse_index_base_b,"axG",@progbits,_ZN9rocsparseL19gebsrmvn_2xn_kernelILj128ELj1ELj8E21rocsparse_complex_numIfEEEvi20rocsparse_direction_NS_24const_host_device_scalarIT2_EEPKiS8_PKS5_SA_S6_PS5_21rocsparse_index_base_b,comdat
.Lfunc_end153:
	.size	_ZN9rocsparseL19gebsrmvn_2xn_kernelILj128ELj1ELj8E21rocsparse_complex_numIfEEEvi20rocsparse_direction_NS_24const_host_device_scalarIT2_EEPKiS8_PKS5_SA_S6_PS5_21rocsparse_index_base_b, .Lfunc_end153-_ZN9rocsparseL19gebsrmvn_2xn_kernelILj128ELj1ELj8E21rocsparse_complex_numIfEEEvi20rocsparse_direction_NS_24const_host_device_scalarIT2_EEPKiS8_PKS5_SA_S6_PS5_21rocsparse_index_base_b
                                        ; -- End function
	.section	.AMDGPU.csdata,"",@progbits
; Kernel info:
; codeLenInByte = 1528
; NumSgprs: 18
; NumVgprs: 23
; ScratchSize: 0
; MemoryBound: 0
; FloatMode: 240
; IeeeMode: 1
; LDSByteSize: 0 bytes/workgroup (compile time only)
; SGPRBlocks: 2
; VGPRBlocks: 2
; NumSGPRsForWavesPerEU: 18
; NumVGPRsForWavesPerEU: 23
; Occupancy: 16
; WaveLimiterHint : 1
; COMPUTE_PGM_RSRC2:SCRATCH_EN: 0
; COMPUTE_PGM_RSRC2:USER_SGPR: 15
; COMPUTE_PGM_RSRC2:TRAP_HANDLER: 0
; COMPUTE_PGM_RSRC2:TGID_X_EN: 1
; COMPUTE_PGM_RSRC2:TGID_Y_EN: 0
; COMPUTE_PGM_RSRC2:TGID_Z_EN: 0
; COMPUTE_PGM_RSRC2:TIDIG_COMP_CNT: 0
	.section	.text._ZN9rocsparseL19gebsrmvn_2xn_kernelILj128ELj1ELj16E21rocsparse_complex_numIfEEEvi20rocsparse_direction_NS_24const_host_device_scalarIT2_EEPKiS8_PKS5_SA_S6_PS5_21rocsparse_index_base_b,"axG",@progbits,_ZN9rocsparseL19gebsrmvn_2xn_kernelILj128ELj1ELj16E21rocsparse_complex_numIfEEEvi20rocsparse_direction_NS_24const_host_device_scalarIT2_EEPKiS8_PKS5_SA_S6_PS5_21rocsparse_index_base_b,comdat
	.globl	_ZN9rocsparseL19gebsrmvn_2xn_kernelILj128ELj1ELj16E21rocsparse_complex_numIfEEEvi20rocsparse_direction_NS_24const_host_device_scalarIT2_EEPKiS8_PKS5_SA_S6_PS5_21rocsparse_index_base_b ; -- Begin function _ZN9rocsparseL19gebsrmvn_2xn_kernelILj128ELj1ELj16E21rocsparse_complex_numIfEEEvi20rocsparse_direction_NS_24const_host_device_scalarIT2_EEPKiS8_PKS5_SA_S6_PS5_21rocsparse_index_base_b
	.p2align	8
	.type	_ZN9rocsparseL19gebsrmvn_2xn_kernelILj128ELj1ELj16E21rocsparse_complex_numIfEEEvi20rocsparse_direction_NS_24const_host_device_scalarIT2_EEPKiS8_PKS5_SA_S6_PS5_21rocsparse_index_base_b,@function
_ZN9rocsparseL19gebsrmvn_2xn_kernelILj128ELj1ELj16E21rocsparse_complex_numIfEEEvi20rocsparse_direction_NS_24const_host_device_scalarIT2_EEPKiS8_PKS5_SA_S6_PS5_21rocsparse_index_base_b: ; @_ZN9rocsparseL19gebsrmvn_2xn_kernelILj128ELj1ELj16E21rocsparse_complex_numIfEEEvi20rocsparse_direction_NS_24const_host_device_scalarIT2_EEPKiS8_PKS5_SA_S6_PS5_21rocsparse_index_base_b
; %bb.0:
	s_clause 0x2
	s_load_b64 s[12:13], s[0:1], 0x40
	s_load_b64 s[4:5], s[0:1], 0x8
	;; [unrolled: 1-line block ×3, first 2 shown]
	s_waitcnt lgkmcnt(0)
	s_bitcmp1_b32 s13, 0
	v_mov_b32_e32 v7, s4
	s_cselect_b32 s6, -1, 0
	s_delay_alu instid0(SALU_CYCLE_1)
	s_and_b32 vcc_lo, exec_lo, s6
	s_xor_b32 s6, s6, -1
	s_cbranch_vccz .LBB154_15
; %bb.1:
	v_cndmask_b32_e64 v1, 0, 1, s6
	v_mov_b32_e32 v8, s5
	s_and_not1_b32 vcc_lo, exec_lo, s6
	s_cbranch_vccz .LBB154_16
.LBB154_2:
	s_delay_alu instid0(VALU_DEP_2)
	v_cmp_ne_u32_e32 vcc_lo, 1, v1
	v_mov_b32_e32 v9, s2
	s_cbranch_vccz .LBB154_17
.LBB154_3:
	v_cmp_ne_u32_e32 vcc_lo, 1, v1
	v_mov_b32_e32 v10, s3
	s_cbranch_vccnz .LBB154_5
.LBB154_4:
	v_dual_mov_b32 v1, s2 :: v_dual_mov_b32 v2, s3
	flat_load_b32 v10, v[1:2] offset:4
.LBB154_5:
	s_waitcnt vmcnt(0) lgkmcnt(0)
	v_cmp_eq_f32_e32 vcc_lo, 0, v7
	v_cmp_eq_f32_e64 s2, 0, v8
	s_delay_alu instid0(VALU_DEP_1)
	s_and_b32 s4, vcc_lo, s2
	s_mov_b32 s2, -1
	s_and_saveexec_b32 s3, s4
; %bb.6:
	v_cmp_neq_f32_e32 vcc_lo, 1.0, v9
	v_cmp_neq_f32_e64 s2, 0, v10
	s_delay_alu instid0(VALU_DEP_1) | instskip(NEXT) | instid1(SALU_CYCLE_1)
	s_or_b32 s2, vcc_lo, s2
	s_or_not1_b32 s2, s2, exec_lo
; %bb.7:
	s_or_b32 exec_lo, exec_lo, s3
	s_and_saveexec_b32 s3, s2
	s_cbranch_execz .LBB154_29
; %bb.8:
	s_load_b64 s[2:3], s[0:1], 0x0
	v_lshrrev_b32_e32 v1, 4, v0
	s_delay_alu instid0(VALU_DEP_1) | instskip(SKIP_1) | instid1(VALU_DEP_1)
	v_lshl_or_b32 v1, s15, 3, v1
	s_waitcnt lgkmcnt(0)
	v_cmp_gt_i32_e32 vcc_lo, s2, v1
	s_and_b32 exec_lo, exec_lo, vcc_lo
	s_cbranch_execz .LBB154_29
; %bb.9:
	s_load_b256 s[4:11], s[0:1], 0x10
	v_ashrrev_i32_e32 v2, 31, v1
	v_and_b32_e32 v0, 15, v0
	s_cmp_lg_u32 s3, 0
	s_delay_alu instid0(VALU_DEP_2) | instskip(SKIP_1) | instid1(VALU_DEP_1)
	v_lshlrev_b64 v[2:3], 2, v[1:2]
	s_waitcnt lgkmcnt(0)
	v_add_co_u32 v2, vcc_lo, s4, v2
	s_delay_alu instid0(VALU_DEP_2) | instskip(SKIP_4) | instid1(VALU_DEP_2)
	v_add_co_ci_u32_e32 v3, vcc_lo, s5, v3, vcc_lo
	global_load_b64 v[2:3], v[2:3], off
	s_waitcnt vmcnt(0)
	v_subrev_nc_u32_e32 v2, s12, v2
	v_subrev_nc_u32_e32 v15, s12, v3
	v_add_nc_u32_e32 v2, v2, v0
	s_delay_alu instid0(VALU_DEP_1)
	v_cmp_lt_i32_e64 s2, v2, v15
	s_cbranch_scc0 .LBB154_18
; %bb.10:
	v_dual_mov_b32 v11, 0 :: v_dual_mov_b32 v12, 0
	v_dual_mov_b32 v13, 0 :: v_dual_mov_b32 v14, 0
	s_mov_b32 s3, 0
	s_and_saveexec_b32 s4, s2
	s_cbranch_execz .LBB154_14
; %bb.11:
	v_dual_mov_b32 v4, 0 :: v_dual_lshlrev_b32 v3, 1, v2
	v_mov_b32_e32 v5, v2
	s_mov_b32 s5, 0
	s_delay_alu instid0(VALU_DEP_2)
	v_mov_b32_e32 v12, v4
	v_mov_b32_e32 v11, v4
	;; [unrolled: 1-line block ×4, first 2 shown]
	s_set_inst_prefetch_distance 0x1
	.p2align	6
.LBB154_12:                             ; =>This Inner Loop Header: Depth=1
	v_ashrrev_i32_e32 v6, 31, v5
	v_mov_b32_e32 v18, v4
	s_delay_alu instid0(VALU_DEP_2) | instskip(NEXT) | instid1(VALU_DEP_1)
	v_lshlrev_b64 v[16:17], 2, v[5:6]
	v_add_co_u32 v16, vcc_lo, s6, v16
	s_delay_alu instid0(VALU_DEP_2) | instskip(SKIP_3) | instid1(VALU_DEP_2)
	v_add_co_ci_u32_e32 v17, vcc_lo, s7, v17, vcc_lo
	global_load_b32 v6, v[16:17], off
	v_lshlrev_b64 v[16:17], 3, v[3:4]
	v_add_nc_u32_e32 v3, 32, v3
	v_add_co_u32 v19, vcc_lo, s8, v16
	s_delay_alu instid0(VALU_DEP_3) | instskip(SKIP_2) | instid1(VALU_DEP_1)
	v_add_co_ci_u32_e32 v20, vcc_lo, s9, v17, vcc_lo
	s_waitcnt vmcnt(0)
	v_subrev_nc_u32_e32 v17, s12, v6
	v_lshlrev_b64 v[16:17], 3, v[17:18]
	s_delay_alu instid0(VALU_DEP_1) | instskip(NEXT) | instid1(VALU_DEP_2)
	v_add_co_u32 v21, vcc_lo, s10, v16
	v_add_co_ci_u32_e32 v22, vcc_lo, s11, v17, vcc_lo
	global_load_b128 v[16:19], v[19:20], off
	global_load_b64 v[20:21], v[21:22], off
	s_waitcnt vmcnt(0)
	v_dual_fmac_f32 v12, v16, v20 :: v_dual_add_nc_u32 v5, 16, v5
	v_fmac_f32_e32 v13, v18, v20
	v_fmac_f32_e32 v14, v19, v20
	v_fmac_f32_e32 v11, v17, v20
	s_delay_alu instid0(VALU_DEP_4)
	v_cmp_ge_i32_e32 vcc_lo, v5, v15
	v_fma_f32 v12, -v17, v21, v12
	v_fma_f32 v13, -v19, v21, v13
	v_fmac_f32_e32 v14, v18, v21
	v_fmac_f32_e32 v11, v16, v21
	s_or_b32 s5, vcc_lo, s5
	s_delay_alu instid0(SALU_CYCLE_1)
	s_and_not1_b32 exec_lo, exec_lo, s5
	s_cbranch_execnz .LBB154_12
; %bb.13:
	s_set_inst_prefetch_distance 0x2
	s_or_b32 exec_lo, exec_lo, s5
.LBB154_14:
	s_delay_alu instid0(SALU_CYCLE_1) | instskip(NEXT) | instid1(SALU_CYCLE_1)
	s_or_b32 exec_lo, exec_lo, s4
	s_and_not1_b32 vcc_lo, exec_lo, s3
	s_cbranch_vccz .LBB154_19
	s_branch .LBB154_24
.LBB154_15:
	v_dual_mov_b32 v1, s4 :: v_dual_mov_b32 v2, s5
	flat_load_b32 v7, v[1:2]
	v_cndmask_b32_e64 v1, 0, 1, s6
	v_mov_b32_e32 v8, s5
	s_and_not1_b32 vcc_lo, exec_lo, s6
	s_cbranch_vccnz .LBB154_2
.LBB154_16:
	v_dual_mov_b32 v2, s4 :: v_dual_mov_b32 v3, s5
	flat_load_b32 v8, v[2:3] offset:4
	v_cmp_ne_u32_e32 vcc_lo, 1, v1
	v_mov_b32_e32 v9, s2
	s_cbranch_vccnz .LBB154_3
.LBB154_17:
	v_dual_mov_b32 v2, s2 :: v_dual_mov_b32 v3, s3
	flat_load_b32 v9, v[2:3]
	v_cmp_ne_u32_e32 vcc_lo, 1, v1
	v_mov_b32_e32 v10, s3
	s_cbranch_vccz .LBB154_4
	s_branch .LBB154_5
.LBB154_18:
                                        ; implicit-def: $vgpr11
                                        ; implicit-def: $vgpr12
                                        ; implicit-def: $vgpr13
                                        ; implicit-def: $vgpr14
.LBB154_19:
	v_dual_mov_b32 v11, 0 :: v_dual_mov_b32 v12, 0
	v_dual_mov_b32 v13, 0 :: v_dual_mov_b32 v14, 0
	s_delay_alu instid0(VALU_DEP_3)
	s_and_saveexec_b32 s3, s2
	s_cbranch_execz .LBB154_23
; %bb.20:
	v_dual_mov_b32 v5, 0 :: v_dual_lshlrev_b32 v4, 1, v2
	s_mov_b32 s2, 0
	s_delay_alu instid0(VALU_DEP_1)
	v_mov_b32_e32 v11, v5
	v_mov_b32_e32 v12, v5
	v_mov_b32_e32 v13, v5
	v_mov_b32_e32 v14, v5
	s_set_inst_prefetch_distance 0x1
	.p2align	6
.LBB154_21:                             ; =>This Inner Loop Header: Depth=1
	v_ashrrev_i32_e32 v3, 31, v2
	v_mov_b32_e32 v18, v5
	s_delay_alu instid0(VALU_DEP_2) | instskip(NEXT) | instid1(VALU_DEP_1)
	v_lshlrev_b64 v[16:17], 2, v[2:3]
	v_add_co_u32 v16, vcc_lo, s6, v16
	s_delay_alu instid0(VALU_DEP_2) | instskip(SKIP_3) | instid1(VALU_DEP_2)
	v_add_co_ci_u32_e32 v17, vcc_lo, s7, v17, vcc_lo
	global_load_b32 v3, v[16:17], off
	v_lshlrev_b64 v[16:17], 3, v[4:5]
	v_add_nc_u32_e32 v4, 32, v4
	v_add_co_u32 v19, vcc_lo, s8, v16
	s_delay_alu instid0(VALU_DEP_3) | instskip(SKIP_2) | instid1(VALU_DEP_1)
	v_add_co_ci_u32_e32 v20, vcc_lo, s9, v17, vcc_lo
	s_waitcnt vmcnt(0)
	v_subrev_nc_u32_e32 v17, s12, v3
	v_lshlrev_b64 v[16:17], 3, v[17:18]
	s_delay_alu instid0(VALU_DEP_1) | instskip(NEXT) | instid1(VALU_DEP_2)
	v_add_co_u32 v21, vcc_lo, s10, v16
	v_add_co_ci_u32_e32 v22, vcc_lo, s11, v17, vcc_lo
	global_load_b128 v[16:19], v[19:20], off
	global_load_b64 v[20:21], v[21:22], off
	s_waitcnt vmcnt(0)
	v_dual_fmac_f32 v11, v17, v20 :: v_dual_add_nc_u32 v2, 16, v2
	v_fmac_f32_e32 v12, v16, v20
	v_fmac_f32_e32 v13, v18, v20
	;; [unrolled: 1-line block ×3, first 2 shown]
	s_delay_alu instid0(VALU_DEP_4)
	v_cmp_ge_i32_e32 vcc_lo, v2, v15
	v_fmac_f32_e32 v11, v16, v21
	v_fma_f32 v12, -v17, v21, v12
	v_fma_f32 v13, -v19, v21, v13
	v_fmac_f32_e32 v14, v18, v21
	s_or_b32 s2, vcc_lo, s2
	s_delay_alu instid0(SALU_CYCLE_1)
	s_and_not1_b32 exec_lo, exec_lo, s2
	s_cbranch_execnz .LBB154_21
; %bb.22:
	s_set_inst_prefetch_distance 0x2
	s_or_b32 exec_lo, exec_lo, s2
.LBB154_23:
	s_delay_alu instid0(SALU_CYCLE_1)
	s_or_b32 exec_lo, exec_lo, s3
.LBB154_24:
	v_mbcnt_lo_u32_b32 v2, -1, 0
	s_delay_alu instid0(VALU_DEP_1) | instskip(SKIP_1) | instid1(VALU_DEP_2)
	v_xor_b32_e32 v3, 8, v2
	v_xor_b32_e32 v15, 4, v2
	v_cmp_gt_i32_e32 vcc_lo, 32, v3
	v_cndmask_b32_e32 v3, v2, v3, vcc_lo
	s_delay_alu instid0(VALU_DEP_3) | instskip(NEXT) | instid1(VALU_DEP_2)
	v_cmp_gt_i32_e32 vcc_lo, 32, v15
	v_lshlrev_b32_e32 v3, 2, v3
	v_cndmask_b32_e32 v15, v2, v15, vcc_lo
	ds_bpermute_b32 v6, v3, v13
	s_waitcnt lgkmcnt(0)
	v_add_f32_e32 v6, v13, v6
	ds_bpermute_b32 v4, v3, v12
	v_lshlrev_b32_e32 v15, 2, v15
	ds_bpermute_b32 v5, v3, v11
	ds_bpermute_b32 v3, v3, v14
	;; [unrolled: 1-line block ×3, first 2 shown]
	s_waitcnt lgkmcnt(2)
	v_dual_add_f32 v4, v12, v4 :: v_dual_add_f32 v5, v11, v5
	s_waitcnt lgkmcnt(1)
	v_add_f32_e32 v3, v14, v3
	s_waitcnt lgkmcnt(0)
	v_add_f32_e32 v6, v6, v13
	ds_bpermute_b32 v11, v15, v4
	ds_bpermute_b32 v14, v15, v3
	s_waitcnt lgkmcnt(1)
	v_add_f32_e32 v4, v4, v11
	ds_bpermute_b32 v12, v15, v5
	v_xor_b32_e32 v15, 2, v2
	s_delay_alu instid0(VALU_DEP_1) | instskip(SKIP_1) | instid1(VALU_DEP_1)
	v_cmp_gt_i32_e32 vcc_lo, 32, v15
	v_cndmask_b32_e32 v15, v2, v15, vcc_lo
	v_lshlrev_b32_e32 v15, 2, v15
	s_waitcnt lgkmcnt(0)
	v_add_f32_e32 v5, v5, v12
	ds_bpermute_b32 v11, v15, v4
	v_add_f32_e32 v3, v3, v14
	ds_bpermute_b32 v13, v15, v6
	ds_bpermute_b32 v12, v15, v5
	s_waitcnt lgkmcnt(2)
	v_add_f32_e32 v4, v4, v11
	ds_bpermute_b32 v14, v15, v3
	v_xor_b32_e32 v15, 1, v2
	s_delay_alu instid0(VALU_DEP_1) | instskip(SKIP_3) | instid1(VALU_DEP_2)
	v_cmp_gt_i32_e32 vcc_lo, 32, v15
	s_waitcnt lgkmcnt(1)
	v_dual_cndmask_b32 v2, v2, v15 :: v_dual_add_f32 v5, v5, v12
	v_cmp_eq_u32_e32 vcc_lo, 15, v0
	v_dual_add_f32 v2, v6, v13 :: v_dual_lshlrev_b32 v15, 2, v2
	s_waitcnt lgkmcnt(0)
	v_add_f32_e32 v3, v3, v14
	ds_bpermute_b32 v12, v15, v4
	ds_bpermute_b32 v13, v15, v5
	;; [unrolled: 1-line block ×4, first 2 shown]
	s_and_b32 exec_lo, exec_lo, vcc_lo
	s_cbranch_execz .LBB154_29
; %bb.25:
	s_load_b64 s[2:3], s[0:1], 0x38
	v_cmp_eq_f32_e32 vcc_lo, 0, v9
	v_cmp_eq_f32_e64 s0, 0, v10
	s_waitcnt lgkmcnt(0)
	v_dual_add_f32 v0, v4, v12 :: v_dual_add_f32 v3, v3, v11
	v_add_f32_e32 v4, v5, v13
	v_add_f32_e32 v2, v2, v6
	s_and_b32 s0, vcc_lo, s0
	s_delay_alu instid0(SALU_CYCLE_1) | instskip(NEXT) | instid1(SALU_CYCLE_1)
	s_and_saveexec_b32 s1, s0
	s_xor_b32 s0, exec_lo, s1
	s_cbranch_execz .LBB154_27
; %bb.26:
	v_dual_mul_f32 v10, v4, v7 :: v_dual_lshlrev_b32 v5, 1, v1
	v_mul_f32_e64 v9, v4, -v8
	v_mul_f32_e64 v11, v3, -v8
	v_mul_f32_e32 v12, v3, v7
	s_delay_alu instid0(VALU_DEP_4)
	v_ashrrev_i32_e32 v6, 31, v5
	v_fmac_f32_e32 v10, v8, v0
	v_fmac_f32_e32 v9, v7, v0
	v_fmac_f32_e32 v11, v7, v2
	v_fmac_f32_e32 v12, v8, v2
	v_lshlrev_b64 v[4:5], 3, v[5:6]
                                        ; implicit-def: $vgpr7
                                        ; implicit-def: $vgpr8
                                        ; implicit-def: $vgpr2
                                        ; implicit-def: $vgpr3
	s_delay_alu instid0(VALU_DEP_1) | instskip(NEXT) | instid1(VALU_DEP_2)
	v_add_co_u32 v0, vcc_lo, s2, v4
	v_add_co_ci_u32_e32 v1, vcc_lo, s3, v5, vcc_lo
                                        ; implicit-def: $vgpr4
	global_store_b128 v[0:1], v[9:12], off
                                        ; implicit-def: $vgpr9
                                        ; implicit-def: $vgpr10
                                        ; implicit-def: $vgpr1
                                        ; implicit-def: $vgpr0
.LBB154_27:
	s_and_not1_saveexec_b32 s0, s0
	s_cbranch_execz .LBB154_29
; %bb.28:
	v_lshlrev_b32_e32 v5, 1, v1
	v_mul_f32_e64 v15, v4, -v8
	v_mul_f32_e32 v1, v4, v7
	v_mul_f32_e64 v4, v3, -v8
	v_mul_f32_e32 v3, v3, v7
	s_delay_alu instid0(VALU_DEP_4) | instskip(NEXT) | instid1(VALU_DEP_3)
	v_fmac_f32_e32 v15, v7, v0
	v_fmac_f32_e32 v4, v7, v2
	v_ashrrev_i32_e32 v6, 31, v5
	s_delay_alu instid0(VALU_DEP_4) | instskip(NEXT) | instid1(VALU_DEP_2)
	v_fmac_f32_e32 v3, v8, v2
	v_lshlrev_b64 v[5:6], 3, v[5:6]
	s_delay_alu instid0(VALU_DEP_1) | instskip(NEXT) | instid1(VALU_DEP_2)
	v_add_co_u32 v5, vcc_lo, s2, v5
	v_add_co_ci_u32_e32 v6, vcc_lo, s3, v6, vcc_lo
	global_load_b128 v[11:14], v[5:6], off
	s_waitcnt vmcnt(0)
	v_dual_fmac_f32 v4, v9, v13 :: v_dual_fmac_f32 v1, v8, v0
	v_fmac_f32_e32 v15, v9, v11
	v_fmac_f32_e32 v3, v10, v13
	s_delay_alu instid0(VALU_DEP_3) | instskip(NEXT) | instid1(VALU_DEP_4)
	v_fma_f32 v2, -v10, v14, v4
	v_fmac_f32_e32 v1, v10, v11
	s_delay_alu instid0(VALU_DEP_4) | instskip(NEXT) | instid1(VALU_DEP_4)
	v_fma_f32 v0, -v10, v12, v15
	v_fmac_f32_e32 v3, v9, v14
	s_delay_alu instid0(VALU_DEP_3)
	v_fmac_f32_e32 v1, v9, v12
	global_store_b128 v[5:6], v[0:3], off
.LBB154_29:
	s_nop 0
	s_sendmsg sendmsg(MSG_DEALLOC_VGPRS)
	s_endpgm
	.section	.rodata,"a",@progbits
	.p2align	6, 0x0
	.amdhsa_kernel _ZN9rocsparseL19gebsrmvn_2xn_kernelILj128ELj1ELj16E21rocsparse_complex_numIfEEEvi20rocsparse_direction_NS_24const_host_device_scalarIT2_EEPKiS8_PKS5_SA_S6_PS5_21rocsparse_index_base_b
		.amdhsa_group_segment_fixed_size 0
		.amdhsa_private_segment_fixed_size 0
		.amdhsa_kernarg_size 72
		.amdhsa_user_sgpr_count 15
		.amdhsa_user_sgpr_dispatch_ptr 0
		.amdhsa_user_sgpr_queue_ptr 0
		.amdhsa_user_sgpr_kernarg_segment_ptr 1
		.amdhsa_user_sgpr_dispatch_id 0
		.amdhsa_user_sgpr_private_segment_size 0
		.amdhsa_wavefront_size32 1
		.amdhsa_uses_dynamic_stack 0
		.amdhsa_enable_private_segment 0
		.amdhsa_system_sgpr_workgroup_id_x 1
		.amdhsa_system_sgpr_workgroup_id_y 0
		.amdhsa_system_sgpr_workgroup_id_z 0
		.amdhsa_system_sgpr_workgroup_info 0
		.amdhsa_system_vgpr_workitem_id 0
		.amdhsa_next_free_vgpr 23
		.amdhsa_next_free_sgpr 16
		.amdhsa_reserve_vcc 1
		.amdhsa_float_round_mode_32 0
		.amdhsa_float_round_mode_16_64 0
		.amdhsa_float_denorm_mode_32 3
		.amdhsa_float_denorm_mode_16_64 3
		.amdhsa_dx10_clamp 1
		.amdhsa_ieee_mode 1
		.amdhsa_fp16_overflow 0
		.amdhsa_workgroup_processor_mode 1
		.amdhsa_memory_ordered 1
		.amdhsa_forward_progress 0
		.amdhsa_shared_vgpr_count 0
		.amdhsa_exception_fp_ieee_invalid_op 0
		.amdhsa_exception_fp_denorm_src 0
		.amdhsa_exception_fp_ieee_div_zero 0
		.amdhsa_exception_fp_ieee_overflow 0
		.amdhsa_exception_fp_ieee_underflow 0
		.amdhsa_exception_fp_ieee_inexact 0
		.amdhsa_exception_int_div_zero 0
	.end_amdhsa_kernel
	.section	.text._ZN9rocsparseL19gebsrmvn_2xn_kernelILj128ELj1ELj16E21rocsparse_complex_numIfEEEvi20rocsparse_direction_NS_24const_host_device_scalarIT2_EEPKiS8_PKS5_SA_S6_PS5_21rocsparse_index_base_b,"axG",@progbits,_ZN9rocsparseL19gebsrmvn_2xn_kernelILj128ELj1ELj16E21rocsparse_complex_numIfEEEvi20rocsparse_direction_NS_24const_host_device_scalarIT2_EEPKiS8_PKS5_SA_S6_PS5_21rocsparse_index_base_b,comdat
.Lfunc_end154:
	.size	_ZN9rocsparseL19gebsrmvn_2xn_kernelILj128ELj1ELj16E21rocsparse_complex_numIfEEEvi20rocsparse_direction_NS_24const_host_device_scalarIT2_EEPKiS8_PKS5_SA_S6_PS5_21rocsparse_index_base_b, .Lfunc_end154-_ZN9rocsparseL19gebsrmvn_2xn_kernelILj128ELj1ELj16E21rocsparse_complex_numIfEEEvi20rocsparse_direction_NS_24const_host_device_scalarIT2_EEPKiS8_PKS5_SA_S6_PS5_21rocsparse_index_base_b
                                        ; -- End function
	.section	.AMDGPU.csdata,"",@progbits
; Kernel info:
; codeLenInByte = 1608
; NumSgprs: 18
; NumVgprs: 23
; ScratchSize: 0
; MemoryBound: 0
; FloatMode: 240
; IeeeMode: 1
; LDSByteSize: 0 bytes/workgroup (compile time only)
; SGPRBlocks: 2
; VGPRBlocks: 2
; NumSGPRsForWavesPerEU: 18
; NumVGPRsForWavesPerEU: 23
; Occupancy: 16
; WaveLimiterHint : 1
; COMPUTE_PGM_RSRC2:SCRATCH_EN: 0
; COMPUTE_PGM_RSRC2:USER_SGPR: 15
; COMPUTE_PGM_RSRC2:TRAP_HANDLER: 0
; COMPUTE_PGM_RSRC2:TGID_X_EN: 1
; COMPUTE_PGM_RSRC2:TGID_Y_EN: 0
; COMPUTE_PGM_RSRC2:TGID_Z_EN: 0
; COMPUTE_PGM_RSRC2:TIDIG_COMP_CNT: 0
	.section	.text._ZN9rocsparseL19gebsrmvn_2xn_kernelILj128ELj1ELj32E21rocsparse_complex_numIfEEEvi20rocsparse_direction_NS_24const_host_device_scalarIT2_EEPKiS8_PKS5_SA_S6_PS5_21rocsparse_index_base_b,"axG",@progbits,_ZN9rocsparseL19gebsrmvn_2xn_kernelILj128ELj1ELj32E21rocsparse_complex_numIfEEEvi20rocsparse_direction_NS_24const_host_device_scalarIT2_EEPKiS8_PKS5_SA_S6_PS5_21rocsparse_index_base_b,comdat
	.globl	_ZN9rocsparseL19gebsrmvn_2xn_kernelILj128ELj1ELj32E21rocsparse_complex_numIfEEEvi20rocsparse_direction_NS_24const_host_device_scalarIT2_EEPKiS8_PKS5_SA_S6_PS5_21rocsparse_index_base_b ; -- Begin function _ZN9rocsparseL19gebsrmvn_2xn_kernelILj128ELj1ELj32E21rocsparse_complex_numIfEEEvi20rocsparse_direction_NS_24const_host_device_scalarIT2_EEPKiS8_PKS5_SA_S6_PS5_21rocsparse_index_base_b
	.p2align	8
	.type	_ZN9rocsparseL19gebsrmvn_2xn_kernelILj128ELj1ELj32E21rocsparse_complex_numIfEEEvi20rocsparse_direction_NS_24const_host_device_scalarIT2_EEPKiS8_PKS5_SA_S6_PS5_21rocsparse_index_base_b,@function
_ZN9rocsparseL19gebsrmvn_2xn_kernelILj128ELj1ELj32E21rocsparse_complex_numIfEEEvi20rocsparse_direction_NS_24const_host_device_scalarIT2_EEPKiS8_PKS5_SA_S6_PS5_21rocsparse_index_base_b: ; @_ZN9rocsparseL19gebsrmvn_2xn_kernelILj128ELj1ELj32E21rocsparse_complex_numIfEEEvi20rocsparse_direction_NS_24const_host_device_scalarIT2_EEPKiS8_PKS5_SA_S6_PS5_21rocsparse_index_base_b
; %bb.0:
	s_clause 0x2
	s_load_b64 s[12:13], s[0:1], 0x40
	s_load_b64 s[4:5], s[0:1], 0x8
	;; [unrolled: 1-line block ×3, first 2 shown]
	s_waitcnt lgkmcnt(0)
	s_bitcmp1_b32 s13, 0
	v_mov_b32_e32 v7, s4
	s_cselect_b32 s6, -1, 0
	s_delay_alu instid0(SALU_CYCLE_1)
	s_and_b32 vcc_lo, exec_lo, s6
	s_xor_b32 s6, s6, -1
	s_cbranch_vccz .LBB155_15
; %bb.1:
	v_cndmask_b32_e64 v1, 0, 1, s6
	v_mov_b32_e32 v8, s5
	s_and_not1_b32 vcc_lo, exec_lo, s6
	s_cbranch_vccz .LBB155_16
.LBB155_2:
	s_delay_alu instid0(VALU_DEP_2)
	v_cmp_ne_u32_e32 vcc_lo, 1, v1
	v_mov_b32_e32 v9, s2
	s_cbranch_vccz .LBB155_17
.LBB155_3:
	v_cmp_ne_u32_e32 vcc_lo, 1, v1
	v_mov_b32_e32 v10, s3
	s_cbranch_vccnz .LBB155_5
.LBB155_4:
	v_dual_mov_b32 v1, s2 :: v_dual_mov_b32 v2, s3
	flat_load_b32 v10, v[1:2] offset:4
.LBB155_5:
	s_waitcnt vmcnt(0) lgkmcnt(0)
	v_cmp_eq_f32_e32 vcc_lo, 0, v7
	v_cmp_eq_f32_e64 s2, 0, v8
	s_delay_alu instid0(VALU_DEP_1)
	s_and_b32 s4, vcc_lo, s2
	s_mov_b32 s2, -1
	s_and_saveexec_b32 s3, s4
; %bb.6:
	v_cmp_neq_f32_e32 vcc_lo, 1.0, v9
	v_cmp_neq_f32_e64 s2, 0, v10
	s_delay_alu instid0(VALU_DEP_1) | instskip(NEXT) | instid1(SALU_CYCLE_1)
	s_or_b32 s2, vcc_lo, s2
	s_or_not1_b32 s2, s2, exec_lo
; %bb.7:
	s_or_b32 exec_lo, exec_lo, s3
	s_and_saveexec_b32 s3, s2
	s_cbranch_execz .LBB155_29
; %bb.8:
	s_load_b64 s[2:3], s[0:1], 0x0
	v_lshrrev_b32_e32 v1, 5, v0
	s_delay_alu instid0(VALU_DEP_1) | instskip(SKIP_1) | instid1(VALU_DEP_1)
	v_lshl_or_b32 v1, s15, 2, v1
	s_waitcnt lgkmcnt(0)
	v_cmp_gt_i32_e32 vcc_lo, s2, v1
	s_and_b32 exec_lo, exec_lo, vcc_lo
	s_cbranch_execz .LBB155_29
; %bb.9:
	s_load_b256 s[4:11], s[0:1], 0x10
	v_ashrrev_i32_e32 v2, 31, v1
	v_and_b32_e32 v0, 31, v0
	s_cmp_lg_u32 s3, 0
	s_delay_alu instid0(VALU_DEP_2) | instskip(SKIP_1) | instid1(VALU_DEP_1)
	v_lshlrev_b64 v[2:3], 2, v[1:2]
	s_waitcnt lgkmcnt(0)
	v_add_co_u32 v2, vcc_lo, s4, v2
	s_delay_alu instid0(VALU_DEP_2) | instskip(SKIP_4) | instid1(VALU_DEP_2)
	v_add_co_ci_u32_e32 v3, vcc_lo, s5, v3, vcc_lo
	global_load_b64 v[2:3], v[2:3], off
	s_waitcnt vmcnt(0)
	v_subrev_nc_u32_e32 v2, s12, v2
	v_subrev_nc_u32_e32 v15, s12, v3
	v_add_nc_u32_e32 v2, v2, v0
	s_delay_alu instid0(VALU_DEP_1)
	v_cmp_lt_i32_e64 s2, v2, v15
	s_cbranch_scc0 .LBB155_18
; %bb.10:
	v_dual_mov_b32 v11, 0 :: v_dual_mov_b32 v12, 0
	v_dual_mov_b32 v13, 0 :: v_dual_mov_b32 v14, 0
	s_mov_b32 s3, 0
	s_and_saveexec_b32 s4, s2
	s_cbranch_execz .LBB155_14
; %bb.11:
	v_dual_mov_b32 v4, 0 :: v_dual_lshlrev_b32 v3, 1, v2
	v_mov_b32_e32 v5, v2
	s_mov_b32 s5, 0
	s_delay_alu instid0(VALU_DEP_2)
	v_mov_b32_e32 v12, v4
	v_mov_b32_e32 v11, v4
	;; [unrolled: 1-line block ×4, first 2 shown]
	s_set_inst_prefetch_distance 0x1
	.p2align	6
.LBB155_12:                             ; =>This Inner Loop Header: Depth=1
	v_ashrrev_i32_e32 v6, 31, v5
	v_mov_b32_e32 v18, v4
	s_delay_alu instid0(VALU_DEP_2) | instskip(NEXT) | instid1(VALU_DEP_1)
	v_lshlrev_b64 v[16:17], 2, v[5:6]
	v_add_co_u32 v16, vcc_lo, s6, v16
	s_delay_alu instid0(VALU_DEP_2) | instskip(SKIP_3) | instid1(VALU_DEP_2)
	v_add_co_ci_u32_e32 v17, vcc_lo, s7, v17, vcc_lo
	global_load_b32 v6, v[16:17], off
	v_lshlrev_b64 v[16:17], 3, v[3:4]
	v_add_nc_u32_e32 v3, 64, v3
	v_add_co_u32 v19, vcc_lo, s8, v16
	s_delay_alu instid0(VALU_DEP_3) | instskip(SKIP_2) | instid1(VALU_DEP_1)
	v_add_co_ci_u32_e32 v20, vcc_lo, s9, v17, vcc_lo
	s_waitcnt vmcnt(0)
	v_subrev_nc_u32_e32 v17, s12, v6
	v_lshlrev_b64 v[16:17], 3, v[17:18]
	s_delay_alu instid0(VALU_DEP_1) | instskip(NEXT) | instid1(VALU_DEP_2)
	v_add_co_u32 v21, vcc_lo, s10, v16
	v_add_co_ci_u32_e32 v22, vcc_lo, s11, v17, vcc_lo
	global_load_b128 v[16:19], v[19:20], off
	global_load_b64 v[20:21], v[21:22], off
	s_waitcnt vmcnt(0)
	v_dual_fmac_f32 v12, v16, v20 :: v_dual_add_nc_u32 v5, 32, v5
	v_fmac_f32_e32 v13, v18, v20
	v_fmac_f32_e32 v14, v19, v20
	;; [unrolled: 1-line block ×3, first 2 shown]
	s_delay_alu instid0(VALU_DEP_4)
	v_cmp_ge_i32_e32 vcc_lo, v5, v15
	v_fma_f32 v12, -v17, v21, v12
	v_fma_f32 v13, -v19, v21, v13
	v_fmac_f32_e32 v14, v18, v21
	v_fmac_f32_e32 v11, v16, v21
	s_or_b32 s5, vcc_lo, s5
	s_delay_alu instid0(SALU_CYCLE_1)
	s_and_not1_b32 exec_lo, exec_lo, s5
	s_cbranch_execnz .LBB155_12
; %bb.13:
	s_set_inst_prefetch_distance 0x2
	s_or_b32 exec_lo, exec_lo, s5
.LBB155_14:
	s_delay_alu instid0(SALU_CYCLE_1) | instskip(NEXT) | instid1(SALU_CYCLE_1)
	s_or_b32 exec_lo, exec_lo, s4
	s_and_not1_b32 vcc_lo, exec_lo, s3
	s_cbranch_vccz .LBB155_19
	s_branch .LBB155_24
.LBB155_15:
	v_dual_mov_b32 v1, s4 :: v_dual_mov_b32 v2, s5
	flat_load_b32 v7, v[1:2]
	v_cndmask_b32_e64 v1, 0, 1, s6
	v_mov_b32_e32 v8, s5
	s_and_not1_b32 vcc_lo, exec_lo, s6
	s_cbranch_vccnz .LBB155_2
.LBB155_16:
	v_dual_mov_b32 v2, s4 :: v_dual_mov_b32 v3, s5
	flat_load_b32 v8, v[2:3] offset:4
	v_cmp_ne_u32_e32 vcc_lo, 1, v1
	v_mov_b32_e32 v9, s2
	s_cbranch_vccnz .LBB155_3
.LBB155_17:
	v_dual_mov_b32 v2, s2 :: v_dual_mov_b32 v3, s3
	flat_load_b32 v9, v[2:3]
	v_cmp_ne_u32_e32 vcc_lo, 1, v1
	v_mov_b32_e32 v10, s3
	s_cbranch_vccz .LBB155_4
	s_branch .LBB155_5
.LBB155_18:
                                        ; implicit-def: $vgpr11
                                        ; implicit-def: $vgpr12
                                        ; implicit-def: $vgpr13
                                        ; implicit-def: $vgpr14
.LBB155_19:
	v_dual_mov_b32 v11, 0 :: v_dual_mov_b32 v12, 0
	v_dual_mov_b32 v13, 0 :: v_dual_mov_b32 v14, 0
	s_delay_alu instid0(VALU_DEP_3)
	s_and_saveexec_b32 s3, s2
	s_cbranch_execz .LBB155_23
; %bb.20:
	v_dual_mov_b32 v5, 0 :: v_dual_lshlrev_b32 v4, 1, v2
	s_mov_b32 s2, 0
	s_delay_alu instid0(VALU_DEP_1)
	v_mov_b32_e32 v11, v5
	v_mov_b32_e32 v12, v5
	;; [unrolled: 1-line block ×4, first 2 shown]
	s_set_inst_prefetch_distance 0x1
	.p2align	6
.LBB155_21:                             ; =>This Inner Loop Header: Depth=1
	v_ashrrev_i32_e32 v3, 31, v2
	v_mov_b32_e32 v18, v5
	s_delay_alu instid0(VALU_DEP_2) | instskip(NEXT) | instid1(VALU_DEP_1)
	v_lshlrev_b64 v[16:17], 2, v[2:3]
	v_add_co_u32 v16, vcc_lo, s6, v16
	s_delay_alu instid0(VALU_DEP_2) | instskip(SKIP_3) | instid1(VALU_DEP_2)
	v_add_co_ci_u32_e32 v17, vcc_lo, s7, v17, vcc_lo
	global_load_b32 v3, v[16:17], off
	v_lshlrev_b64 v[16:17], 3, v[4:5]
	v_add_nc_u32_e32 v4, 64, v4
	v_add_co_u32 v19, vcc_lo, s8, v16
	s_delay_alu instid0(VALU_DEP_3) | instskip(SKIP_2) | instid1(VALU_DEP_1)
	v_add_co_ci_u32_e32 v20, vcc_lo, s9, v17, vcc_lo
	s_waitcnt vmcnt(0)
	v_subrev_nc_u32_e32 v17, s12, v3
	v_lshlrev_b64 v[16:17], 3, v[17:18]
	s_delay_alu instid0(VALU_DEP_1) | instskip(NEXT) | instid1(VALU_DEP_2)
	v_add_co_u32 v21, vcc_lo, s10, v16
	v_add_co_ci_u32_e32 v22, vcc_lo, s11, v17, vcc_lo
	global_load_b128 v[16:19], v[19:20], off
	global_load_b64 v[20:21], v[21:22], off
	s_waitcnt vmcnt(0)
	v_dual_fmac_f32 v11, v17, v20 :: v_dual_add_nc_u32 v2, 32, v2
	v_fmac_f32_e32 v12, v16, v20
	v_fmac_f32_e32 v13, v18, v20
	;; [unrolled: 1-line block ×3, first 2 shown]
	s_delay_alu instid0(VALU_DEP_4)
	v_cmp_ge_i32_e32 vcc_lo, v2, v15
	v_fmac_f32_e32 v11, v16, v21
	v_fma_f32 v12, -v17, v21, v12
	v_fma_f32 v13, -v19, v21, v13
	v_fmac_f32_e32 v14, v18, v21
	s_or_b32 s2, vcc_lo, s2
	s_delay_alu instid0(SALU_CYCLE_1)
	s_and_not1_b32 exec_lo, exec_lo, s2
	s_cbranch_execnz .LBB155_21
; %bb.22:
	s_set_inst_prefetch_distance 0x2
	s_or_b32 exec_lo, exec_lo, s2
.LBB155_23:
	s_delay_alu instid0(SALU_CYCLE_1)
	s_or_b32 exec_lo, exec_lo, s3
.LBB155_24:
	v_mbcnt_lo_u32_b32 v2, -1, 0
	s_delay_alu instid0(VALU_DEP_1) | instskip(SKIP_1) | instid1(VALU_DEP_2)
	v_xor_b32_e32 v3, 16, v2
	v_xor_b32_e32 v15, 8, v2
	v_cmp_gt_i32_e32 vcc_lo, 32, v3
	v_cndmask_b32_e32 v3, v2, v3, vcc_lo
	s_delay_alu instid0(VALU_DEP_3) | instskip(NEXT) | instid1(VALU_DEP_2)
	v_cmp_gt_i32_e32 vcc_lo, 32, v15
	v_lshlrev_b32_e32 v3, 2, v3
	v_cndmask_b32_e32 v15, v2, v15, vcc_lo
	ds_bpermute_b32 v6, v3, v13
	s_waitcnt lgkmcnt(0)
	v_add_f32_e32 v6, v13, v6
	ds_bpermute_b32 v4, v3, v12
	v_lshlrev_b32_e32 v15, 2, v15
	ds_bpermute_b32 v5, v3, v11
	ds_bpermute_b32 v3, v3, v14
	;; [unrolled: 1-line block ×3, first 2 shown]
	s_waitcnt lgkmcnt(2)
	v_dual_add_f32 v4, v12, v4 :: v_dual_add_f32 v5, v11, v5
	s_waitcnt lgkmcnt(1)
	v_add_f32_e32 v3, v14, v3
	s_waitcnt lgkmcnt(0)
	v_add_f32_e32 v6, v6, v13
	ds_bpermute_b32 v11, v15, v4
	ds_bpermute_b32 v14, v15, v3
	s_waitcnt lgkmcnt(1)
	v_add_f32_e32 v4, v4, v11
	ds_bpermute_b32 v12, v15, v5
	v_xor_b32_e32 v15, 4, v2
	s_waitcnt lgkmcnt(1)
	v_add_f32_e32 v3, v3, v14
	s_delay_alu instid0(VALU_DEP_2) | instskip(SKIP_1) | instid1(VALU_DEP_1)
	v_cmp_gt_i32_e32 vcc_lo, 32, v15
	v_cndmask_b32_e32 v15, v2, v15, vcc_lo
	v_lshlrev_b32_e32 v15, 2, v15
	ds_bpermute_b32 v13, v15, v6
	s_waitcnt lgkmcnt(0)
	v_add_f32_e32 v6, v6, v13
	ds_bpermute_b32 v11, v15, v4
	v_add_f32_e32 v5, v5, v12
	ds_bpermute_b32 v14, v15, v3
	s_waitcnt lgkmcnt(1)
	v_add_f32_e32 v4, v4, v11
	ds_bpermute_b32 v12, v15, v5
	v_xor_b32_e32 v15, 2, v2
	s_waitcnt lgkmcnt(1)
	v_add_f32_e32 v3, v3, v14
	s_delay_alu instid0(VALU_DEP_2) | instskip(SKIP_1) | instid1(VALU_DEP_1)
	v_cmp_gt_i32_e32 vcc_lo, 32, v15
	v_cndmask_b32_e32 v15, v2, v15, vcc_lo
	v_lshlrev_b32_e32 v15, 2, v15
	ds_bpermute_b32 v11, v15, v4
	s_waitcnt lgkmcnt(1)
	v_add_f32_e32 v5, v5, v12
	ds_bpermute_b32 v13, v15, v6
	ds_bpermute_b32 v14, v15, v3
	s_waitcnt lgkmcnt(2)
	v_add_f32_e32 v4, v4, v11
	ds_bpermute_b32 v12, v15, v5
	v_xor_b32_e32 v15, 1, v2
	s_waitcnt lgkmcnt(1)
	v_add_f32_e32 v3, v3, v14
	s_delay_alu instid0(VALU_DEP_2) | instskip(SKIP_2) | instid1(VALU_DEP_2)
	v_cmp_gt_i32_e32 vcc_lo, 32, v15
	v_cndmask_b32_e32 v2, v2, v15, vcc_lo
	v_cmp_eq_u32_e32 vcc_lo, 31, v0
	v_dual_add_f32 v2, v6, v13 :: v_dual_lshlrev_b32 v15, 2, v2
	s_waitcnt lgkmcnt(0)
	v_add_f32_e32 v5, v5, v12
	ds_bpermute_b32 v12, v15, v4
	ds_bpermute_b32 v6, v15, v2
	;; [unrolled: 1-line block ×4, first 2 shown]
	s_and_b32 exec_lo, exec_lo, vcc_lo
	s_cbranch_execz .LBB155_29
; %bb.25:
	s_load_b64 s[2:3], s[0:1], 0x38
	v_cmp_eq_f32_e32 vcc_lo, 0, v9
	v_cmp_eq_f32_e64 s0, 0, v10
	s_waitcnt lgkmcnt(0)
	v_dual_add_f32 v0, v4, v12 :: v_dual_add_f32 v3, v3, v11
	v_add_f32_e32 v4, v5, v13
	v_add_f32_e32 v2, v2, v6
	s_and_b32 s0, vcc_lo, s0
	s_delay_alu instid0(SALU_CYCLE_1) | instskip(NEXT) | instid1(SALU_CYCLE_1)
	s_and_saveexec_b32 s1, s0
	s_xor_b32 s0, exec_lo, s1
	s_cbranch_execz .LBB155_27
; %bb.26:
	v_dual_mul_f32 v10, v4, v7 :: v_dual_lshlrev_b32 v5, 1, v1
	v_mul_f32_e64 v9, v4, -v8
	v_mul_f32_e64 v11, v3, -v8
	v_mul_f32_e32 v12, v3, v7
	s_delay_alu instid0(VALU_DEP_4)
	v_ashrrev_i32_e32 v6, 31, v5
	v_fmac_f32_e32 v10, v8, v0
	v_fmac_f32_e32 v9, v7, v0
	;; [unrolled: 1-line block ×4, first 2 shown]
	v_lshlrev_b64 v[4:5], 3, v[5:6]
                                        ; implicit-def: $vgpr7
                                        ; implicit-def: $vgpr8
                                        ; implicit-def: $vgpr2
                                        ; implicit-def: $vgpr3
	s_delay_alu instid0(VALU_DEP_1) | instskip(NEXT) | instid1(VALU_DEP_2)
	v_add_co_u32 v0, vcc_lo, s2, v4
	v_add_co_ci_u32_e32 v1, vcc_lo, s3, v5, vcc_lo
                                        ; implicit-def: $vgpr4
	global_store_b128 v[0:1], v[9:12], off
                                        ; implicit-def: $vgpr9
                                        ; implicit-def: $vgpr10
                                        ; implicit-def: $vgpr1
                                        ; implicit-def: $vgpr0
.LBB155_27:
	s_and_not1_saveexec_b32 s0, s0
	s_cbranch_execz .LBB155_29
; %bb.28:
	v_lshlrev_b32_e32 v5, 1, v1
	v_mul_f32_e64 v15, v4, -v8
	v_mul_f32_e32 v1, v4, v7
	v_mul_f32_e64 v4, v3, -v8
	v_mul_f32_e32 v3, v3, v7
	s_delay_alu instid0(VALU_DEP_4) | instskip(NEXT) | instid1(VALU_DEP_3)
	v_fmac_f32_e32 v15, v7, v0
	v_fmac_f32_e32 v4, v7, v2
	v_ashrrev_i32_e32 v6, 31, v5
	s_delay_alu instid0(VALU_DEP_4) | instskip(NEXT) | instid1(VALU_DEP_2)
	v_fmac_f32_e32 v3, v8, v2
	v_lshlrev_b64 v[5:6], 3, v[5:6]
	s_delay_alu instid0(VALU_DEP_1) | instskip(NEXT) | instid1(VALU_DEP_2)
	v_add_co_u32 v5, vcc_lo, s2, v5
	v_add_co_ci_u32_e32 v6, vcc_lo, s3, v6, vcc_lo
	global_load_b128 v[11:14], v[5:6], off
	s_waitcnt vmcnt(0)
	v_dual_fmac_f32 v4, v9, v13 :: v_dual_fmac_f32 v1, v8, v0
	v_fmac_f32_e32 v15, v9, v11
	v_fmac_f32_e32 v3, v10, v13
	s_delay_alu instid0(VALU_DEP_3) | instskip(NEXT) | instid1(VALU_DEP_4)
	v_fma_f32 v2, -v10, v14, v4
	v_fmac_f32_e32 v1, v10, v11
	s_delay_alu instid0(VALU_DEP_4) | instskip(NEXT) | instid1(VALU_DEP_4)
	v_fma_f32 v0, -v10, v12, v15
	v_fmac_f32_e32 v3, v9, v14
	s_delay_alu instid0(VALU_DEP_3)
	v_fmac_f32_e32 v1, v9, v12
	global_store_b128 v[5:6], v[0:3], off
.LBB155_29:
	s_nop 0
	s_sendmsg sendmsg(MSG_DEALLOC_VGPRS)
	s_endpgm
	.section	.rodata,"a",@progbits
	.p2align	6, 0x0
	.amdhsa_kernel _ZN9rocsparseL19gebsrmvn_2xn_kernelILj128ELj1ELj32E21rocsparse_complex_numIfEEEvi20rocsparse_direction_NS_24const_host_device_scalarIT2_EEPKiS8_PKS5_SA_S6_PS5_21rocsparse_index_base_b
		.amdhsa_group_segment_fixed_size 0
		.amdhsa_private_segment_fixed_size 0
		.amdhsa_kernarg_size 72
		.amdhsa_user_sgpr_count 15
		.amdhsa_user_sgpr_dispatch_ptr 0
		.amdhsa_user_sgpr_queue_ptr 0
		.amdhsa_user_sgpr_kernarg_segment_ptr 1
		.amdhsa_user_sgpr_dispatch_id 0
		.amdhsa_user_sgpr_private_segment_size 0
		.amdhsa_wavefront_size32 1
		.amdhsa_uses_dynamic_stack 0
		.amdhsa_enable_private_segment 0
		.amdhsa_system_sgpr_workgroup_id_x 1
		.amdhsa_system_sgpr_workgroup_id_y 0
		.amdhsa_system_sgpr_workgroup_id_z 0
		.amdhsa_system_sgpr_workgroup_info 0
		.amdhsa_system_vgpr_workitem_id 0
		.amdhsa_next_free_vgpr 23
		.amdhsa_next_free_sgpr 16
		.amdhsa_reserve_vcc 1
		.amdhsa_float_round_mode_32 0
		.amdhsa_float_round_mode_16_64 0
		.amdhsa_float_denorm_mode_32 3
		.amdhsa_float_denorm_mode_16_64 3
		.amdhsa_dx10_clamp 1
		.amdhsa_ieee_mode 1
		.amdhsa_fp16_overflow 0
		.amdhsa_workgroup_processor_mode 1
		.amdhsa_memory_ordered 1
		.amdhsa_forward_progress 0
		.amdhsa_shared_vgpr_count 0
		.amdhsa_exception_fp_ieee_invalid_op 0
		.amdhsa_exception_fp_denorm_src 0
		.amdhsa_exception_fp_ieee_div_zero 0
		.amdhsa_exception_fp_ieee_overflow 0
		.amdhsa_exception_fp_ieee_underflow 0
		.amdhsa_exception_fp_ieee_inexact 0
		.amdhsa_exception_int_div_zero 0
	.end_amdhsa_kernel
	.section	.text._ZN9rocsparseL19gebsrmvn_2xn_kernelILj128ELj1ELj32E21rocsparse_complex_numIfEEEvi20rocsparse_direction_NS_24const_host_device_scalarIT2_EEPKiS8_PKS5_SA_S6_PS5_21rocsparse_index_base_b,"axG",@progbits,_ZN9rocsparseL19gebsrmvn_2xn_kernelILj128ELj1ELj32E21rocsparse_complex_numIfEEEvi20rocsparse_direction_NS_24const_host_device_scalarIT2_EEPKiS8_PKS5_SA_S6_PS5_21rocsparse_index_base_b,comdat
.Lfunc_end155:
	.size	_ZN9rocsparseL19gebsrmvn_2xn_kernelILj128ELj1ELj32E21rocsparse_complex_numIfEEEvi20rocsparse_direction_NS_24const_host_device_scalarIT2_EEPKiS8_PKS5_SA_S6_PS5_21rocsparse_index_base_b, .Lfunc_end155-_ZN9rocsparseL19gebsrmvn_2xn_kernelILj128ELj1ELj32E21rocsparse_complex_numIfEEEvi20rocsparse_direction_NS_24const_host_device_scalarIT2_EEPKiS8_PKS5_SA_S6_PS5_21rocsparse_index_base_b
                                        ; -- End function
	.section	.AMDGPU.csdata,"",@progbits
; Kernel info:
; codeLenInByte = 1692
; NumSgprs: 18
; NumVgprs: 23
; ScratchSize: 0
; MemoryBound: 0
; FloatMode: 240
; IeeeMode: 1
; LDSByteSize: 0 bytes/workgroup (compile time only)
; SGPRBlocks: 2
; VGPRBlocks: 2
; NumSGPRsForWavesPerEU: 18
; NumVGPRsForWavesPerEU: 23
; Occupancy: 16
; WaveLimiterHint : 1
; COMPUTE_PGM_RSRC2:SCRATCH_EN: 0
; COMPUTE_PGM_RSRC2:USER_SGPR: 15
; COMPUTE_PGM_RSRC2:TRAP_HANDLER: 0
; COMPUTE_PGM_RSRC2:TGID_X_EN: 1
; COMPUTE_PGM_RSRC2:TGID_Y_EN: 0
; COMPUTE_PGM_RSRC2:TGID_Z_EN: 0
; COMPUTE_PGM_RSRC2:TIDIG_COMP_CNT: 0
	.section	.text._ZN9rocsparseL19gebsrmvn_2xn_kernelILj128ELj1ELj64E21rocsparse_complex_numIfEEEvi20rocsparse_direction_NS_24const_host_device_scalarIT2_EEPKiS8_PKS5_SA_S6_PS5_21rocsparse_index_base_b,"axG",@progbits,_ZN9rocsparseL19gebsrmvn_2xn_kernelILj128ELj1ELj64E21rocsparse_complex_numIfEEEvi20rocsparse_direction_NS_24const_host_device_scalarIT2_EEPKiS8_PKS5_SA_S6_PS5_21rocsparse_index_base_b,comdat
	.globl	_ZN9rocsparseL19gebsrmvn_2xn_kernelILj128ELj1ELj64E21rocsparse_complex_numIfEEEvi20rocsparse_direction_NS_24const_host_device_scalarIT2_EEPKiS8_PKS5_SA_S6_PS5_21rocsparse_index_base_b ; -- Begin function _ZN9rocsparseL19gebsrmvn_2xn_kernelILj128ELj1ELj64E21rocsparse_complex_numIfEEEvi20rocsparse_direction_NS_24const_host_device_scalarIT2_EEPKiS8_PKS5_SA_S6_PS5_21rocsparse_index_base_b
	.p2align	8
	.type	_ZN9rocsparseL19gebsrmvn_2xn_kernelILj128ELj1ELj64E21rocsparse_complex_numIfEEEvi20rocsparse_direction_NS_24const_host_device_scalarIT2_EEPKiS8_PKS5_SA_S6_PS5_21rocsparse_index_base_b,@function
_ZN9rocsparseL19gebsrmvn_2xn_kernelILj128ELj1ELj64E21rocsparse_complex_numIfEEEvi20rocsparse_direction_NS_24const_host_device_scalarIT2_EEPKiS8_PKS5_SA_S6_PS5_21rocsparse_index_base_b: ; @_ZN9rocsparseL19gebsrmvn_2xn_kernelILj128ELj1ELj64E21rocsparse_complex_numIfEEEvi20rocsparse_direction_NS_24const_host_device_scalarIT2_EEPKiS8_PKS5_SA_S6_PS5_21rocsparse_index_base_b
; %bb.0:
	s_clause 0x2
	s_load_b64 s[12:13], s[0:1], 0x40
	s_load_b64 s[4:5], s[0:1], 0x8
	;; [unrolled: 1-line block ×3, first 2 shown]
	s_waitcnt lgkmcnt(0)
	s_bitcmp1_b32 s13, 0
	v_mov_b32_e32 v7, s4
	s_cselect_b32 s6, -1, 0
	s_delay_alu instid0(SALU_CYCLE_1)
	s_and_b32 vcc_lo, exec_lo, s6
	s_xor_b32 s6, s6, -1
	s_cbranch_vccz .LBB156_15
; %bb.1:
	v_cndmask_b32_e64 v1, 0, 1, s6
	v_mov_b32_e32 v8, s5
	s_and_not1_b32 vcc_lo, exec_lo, s6
	s_cbranch_vccz .LBB156_16
.LBB156_2:
	s_delay_alu instid0(VALU_DEP_2)
	v_cmp_ne_u32_e32 vcc_lo, 1, v1
	v_mov_b32_e32 v9, s2
	s_cbranch_vccz .LBB156_17
.LBB156_3:
	v_cmp_ne_u32_e32 vcc_lo, 1, v1
	v_mov_b32_e32 v10, s3
	s_cbranch_vccnz .LBB156_5
.LBB156_4:
	v_dual_mov_b32 v1, s2 :: v_dual_mov_b32 v2, s3
	flat_load_b32 v10, v[1:2] offset:4
.LBB156_5:
	s_waitcnt vmcnt(0) lgkmcnt(0)
	v_cmp_eq_f32_e32 vcc_lo, 0, v7
	v_cmp_eq_f32_e64 s2, 0, v8
	s_delay_alu instid0(VALU_DEP_1)
	s_and_b32 s4, vcc_lo, s2
	s_mov_b32 s2, -1
	s_and_saveexec_b32 s3, s4
; %bb.6:
	v_cmp_neq_f32_e32 vcc_lo, 1.0, v9
	v_cmp_neq_f32_e64 s2, 0, v10
	s_delay_alu instid0(VALU_DEP_1) | instskip(NEXT) | instid1(SALU_CYCLE_1)
	s_or_b32 s2, vcc_lo, s2
	s_or_not1_b32 s2, s2, exec_lo
; %bb.7:
	s_or_b32 exec_lo, exec_lo, s3
	s_and_saveexec_b32 s3, s2
	s_cbranch_execz .LBB156_29
; %bb.8:
	s_load_b64 s[2:3], s[0:1], 0x0
	v_lshrrev_b32_e32 v1, 6, v0
	s_delay_alu instid0(VALU_DEP_1) | instskip(SKIP_1) | instid1(VALU_DEP_1)
	v_lshl_or_b32 v1, s15, 1, v1
	s_waitcnt lgkmcnt(0)
	v_cmp_gt_i32_e32 vcc_lo, s2, v1
	s_and_b32 exec_lo, exec_lo, vcc_lo
	s_cbranch_execz .LBB156_29
; %bb.9:
	s_load_b256 s[4:11], s[0:1], 0x10
	v_ashrrev_i32_e32 v2, 31, v1
	v_and_b32_e32 v0, 63, v0
	s_cmp_lg_u32 s3, 0
	s_delay_alu instid0(VALU_DEP_2) | instskip(SKIP_1) | instid1(VALU_DEP_1)
	v_lshlrev_b64 v[2:3], 2, v[1:2]
	s_waitcnt lgkmcnt(0)
	v_add_co_u32 v2, vcc_lo, s4, v2
	s_delay_alu instid0(VALU_DEP_2) | instskip(SKIP_4) | instid1(VALU_DEP_2)
	v_add_co_ci_u32_e32 v3, vcc_lo, s5, v3, vcc_lo
	global_load_b64 v[2:3], v[2:3], off
	s_waitcnt vmcnt(0)
	v_subrev_nc_u32_e32 v2, s12, v2
	v_subrev_nc_u32_e32 v15, s12, v3
	v_add_nc_u32_e32 v2, v2, v0
	s_delay_alu instid0(VALU_DEP_1)
	v_cmp_lt_i32_e64 s2, v2, v15
	s_cbranch_scc0 .LBB156_18
; %bb.10:
	v_dual_mov_b32 v11, 0 :: v_dual_mov_b32 v12, 0
	v_dual_mov_b32 v13, 0 :: v_dual_mov_b32 v14, 0
	s_mov_b32 s3, 0
	s_and_saveexec_b32 s4, s2
	s_cbranch_execz .LBB156_14
; %bb.11:
	v_dual_mov_b32 v4, 0 :: v_dual_lshlrev_b32 v3, 1, v2
	v_mov_b32_e32 v5, v2
	s_mov_b32 s5, 0
	s_delay_alu instid0(VALU_DEP_2)
	v_mov_b32_e32 v12, v4
	v_mov_b32_e32 v11, v4
	;; [unrolled: 1-line block ×4, first 2 shown]
	s_set_inst_prefetch_distance 0x1
	.p2align	6
.LBB156_12:                             ; =>This Inner Loop Header: Depth=1
	v_ashrrev_i32_e32 v6, 31, v5
	v_mov_b32_e32 v18, v4
	s_delay_alu instid0(VALU_DEP_2) | instskip(NEXT) | instid1(VALU_DEP_1)
	v_lshlrev_b64 v[16:17], 2, v[5:6]
	v_add_co_u32 v16, vcc_lo, s6, v16
	s_delay_alu instid0(VALU_DEP_2) | instskip(SKIP_3) | instid1(VALU_DEP_2)
	v_add_co_ci_u32_e32 v17, vcc_lo, s7, v17, vcc_lo
	global_load_b32 v6, v[16:17], off
	v_lshlrev_b64 v[16:17], 3, v[3:4]
	v_add_nc_u32_e32 v3, 0x80, v3
	v_add_co_u32 v19, vcc_lo, s8, v16
	s_delay_alu instid0(VALU_DEP_3) | instskip(SKIP_2) | instid1(VALU_DEP_1)
	v_add_co_ci_u32_e32 v20, vcc_lo, s9, v17, vcc_lo
	s_waitcnt vmcnt(0)
	v_subrev_nc_u32_e32 v17, s12, v6
	v_lshlrev_b64 v[16:17], 3, v[17:18]
	s_delay_alu instid0(VALU_DEP_1) | instskip(NEXT) | instid1(VALU_DEP_2)
	v_add_co_u32 v21, vcc_lo, s10, v16
	v_add_co_ci_u32_e32 v22, vcc_lo, s11, v17, vcc_lo
	global_load_b128 v[16:19], v[19:20], off
	global_load_b64 v[20:21], v[21:22], off
	s_waitcnt vmcnt(0)
	v_dual_fmac_f32 v12, v16, v20 :: v_dual_add_nc_u32 v5, 64, v5
	v_fmac_f32_e32 v13, v18, v20
	v_fmac_f32_e32 v14, v19, v20
	;; [unrolled: 1-line block ×3, first 2 shown]
	s_delay_alu instid0(VALU_DEP_4)
	v_cmp_ge_i32_e32 vcc_lo, v5, v15
	v_fma_f32 v12, -v17, v21, v12
	v_fma_f32 v13, -v19, v21, v13
	v_fmac_f32_e32 v14, v18, v21
	v_fmac_f32_e32 v11, v16, v21
	s_or_b32 s5, vcc_lo, s5
	s_delay_alu instid0(SALU_CYCLE_1)
	s_and_not1_b32 exec_lo, exec_lo, s5
	s_cbranch_execnz .LBB156_12
; %bb.13:
	s_set_inst_prefetch_distance 0x2
	s_or_b32 exec_lo, exec_lo, s5
.LBB156_14:
	s_delay_alu instid0(SALU_CYCLE_1) | instskip(NEXT) | instid1(SALU_CYCLE_1)
	s_or_b32 exec_lo, exec_lo, s4
	s_and_not1_b32 vcc_lo, exec_lo, s3
	s_cbranch_vccz .LBB156_19
	s_branch .LBB156_24
.LBB156_15:
	v_dual_mov_b32 v1, s4 :: v_dual_mov_b32 v2, s5
	flat_load_b32 v7, v[1:2]
	v_cndmask_b32_e64 v1, 0, 1, s6
	v_mov_b32_e32 v8, s5
	s_and_not1_b32 vcc_lo, exec_lo, s6
	s_cbranch_vccnz .LBB156_2
.LBB156_16:
	v_dual_mov_b32 v2, s4 :: v_dual_mov_b32 v3, s5
	flat_load_b32 v8, v[2:3] offset:4
	v_cmp_ne_u32_e32 vcc_lo, 1, v1
	v_mov_b32_e32 v9, s2
	s_cbranch_vccnz .LBB156_3
.LBB156_17:
	v_dual_mov_b32 v2, s2 :: v_dual_mov_b32 v3, s3
	flat_load_b32 v9, v[2:3]
	v_cmp_ne_u32_e32 vcc_lo, 1, v1
	v_mov_b32_e32 v10, s3
	s_cbranch_vccz .LBB156_4
	s_branch .LBB156_5
.LBB156_18:
                                        ; implicit-def: $vgpr11
                                        ; implicit-def: $vgpr12
                                        ; implicit-def: $vgpr13
                                        ; implicit-def: $vgpr14
.LBB156_19:
	v_dual_mov_b32 v11, 0 :: v_dual_mov_b32 v12, 0
	v_dual_mov_b32 v13, 0 :: v_dual_mov_b32 v14, 0
	s_delay_alu instid0(VALU_DEP_3)
	s_and_saveexec_b32 s3, s2
	s_cbranch_execz .LBB156_23
; %bb.20:
	v_dual_mov_b32 v5, 0 :: v_dual_lshlrev_b32 v4, 1, v2
	s_mov_b32 s2, 0
	s_delay_alu instid0(VALU_DEP_1)
	v_mov_b32_e32 v11, v5
	v_mov_b32_e32 v12, v5
	;; [unrolled: 1-line block ×4, first 2 shown]
	s_set_inst_prefetch_distance 0x1
	.p2align	6
.LBB156_21:                             ; =>This Inner Loop Header: Depth=1
	v_ashrrev_i32_e32 v3, 31, v2
	v_mov_b32_e32 v18, v5
	s_delay_alu instid0(VALU_DEP_2) | instskip(NEXT) | instid1(VALU_DEP_1)
	v_lshlrev_b64 v[16:17], 2, v[2:3]
	v_add_co_u32 v16, vcc_lo, s6, v16
	s_delay_alu instid0(VALU_DEP_2) | instskip(SKIP_3) | instid1(VALU_DEP_2)
	v_add_co_ci_u32_e32 v17, vcc_lo, s7, v17, vcc_lo
	global_load_b32 v3, v[16:17], off
	v_lshlrev_b64 v[16:17], 3, v[4:5]
	v_add_nc_u32_e32 v4, 0x80, v4
	v_add_co_u32 v19, vcc_lo, s8, v16
	s_delay_alu instid0(VALU_DEP_3) | instskip(SKIP_2) | instid1(VALU_DEP_1)
	v_add_co_ci_u32_e32 v20, vcc_lo, s9, v17, vcc_lo
	s_waitcnt vmcnt(0)
	v_subrev_nc_u32_e32 v17, s12, v3
	v_lshlrev_b64 v[16:17], 3, v[17:18]
	s_delay_alu instid0(VALU_DEP_1) | instskip(NEXT) | instid1(VALU_DEP_2)
	v_add_co_u32 v21, vcc_lo, s10, v16
	v_add_co_ci_u32_e32 v22, vcc_lo, s11, v17, vcc_lo
	global_load_b128 v[16:19], v[19:20], off
	global_load_b64 v[20:21], v[21:22], off
	s_waitcnt vmcnt(0)
	v_dual_fmac_f32 v11, v17, v20 :: v_dual_add_nc_u32 v2, 64, v2
	v_fmac_f32_e32 v12, v16, v20
	v_fmac_f32_e32 v13, v18, v20
	v_fmac_f32_e32 v14, v19, v20
	s_delay_alu instid0(VALU_DEP_4)
	v_cmp_ge_i32_e32 vcc_lo, v2, v15
	v_fmac_f32_e32 v11, v16, v21
	v_fma_f32 v12, -v17, v21, v12
	v_fma_f32 v13, -v19, v21, v13
	v_fmac_f32_e32 v14, v18, v21
	s_or_b32 s2, vcc_lo, s2
	s_delay_alu instid0(SALU_CYCLE_1)
	s_and_not1_b32 exec_lo, exec_lo, s2
	s_cbranch_execnz .LBB156_21
; %bb.22:
	s_set_inst_prefetch_distance 0x2
	s_or_b32 exec_lo, exec_lo, s2
.LBB156_23:
	s_delay_alu instid0(SALU_CYCLE_1)
	s_or_b32 exec_lo, exec_lo, s3
.LBB156_24:
	v_mbcnt_lo_u32_b32 v2, -1, 0
	s_delay_alu instid0(VALU_DEP_1) | instskip(SKIP_1) | instid1(VALU_DEP_2)
	v_or_b32_e32 v3, 32, v2
	v_xor_b32_e32 v15, 16, v2
	v_cmp_gt_i32_e32 vcc_lo, 32, v3
	v_cndmask_b32_e32 v3, v2, v3, vcc_lo
	s_delay_alu instid0(VALU_DEP_3) | instskip(NEXT) | instid1(VALU_DEP_2)
	v_cmp_gt_i32_e32 vcc_lo, 32, v15
	v_lshlrev_b32_e32 v3, 2, v3
	v_cndmask_b32_e32 v15, v2, v15, vcc_lo
	ds_bpermute_b32 v6, v3, v13
	s_waitcnt lgkmcnt(0)
	v_add_f32_e32 v6, v13, v6
	ds_bpermute_b32 v4, v3, v12
	v_lshlrev_b32_e32 v15, 2, v15
	ds_bpermute_b32 v5, v3, v11
	ds_bpermute_b32 v3, v3, v14
	;; [unrolled: 1-line block ×3, first 2 shown]
	s_waitcnt lgkmcnt(2)
	v_dual_add_f32 v4, v12, v4 :: v_dual_add_f32 v5, v11, v5
	s_waitcnt lgkmcnt(1)
	v_add_f32_e32 v3, v14, v3
	s_waitcnt lgkmcnt(0)
	v_add_f32_e32 v6, v6, v13
	ds_bpermute_b32 v11, v15, v4
	ds_bpermute_b32 v14, v15, v3
	s_waitcnt lgkmcnt(1)
	v_add_f32_e32 v4, v4, v11
	ds_bpermute_b32 v12, v15, v5
	v_xor_b32_e32 v15, 8, v2
	s_delay_alu instid0(VALU_DEP_1) | instskip(SKIP_1) | instid1(VALU_DEP_1)
	v_cmp_gt_i32_e32 vcc_lo, 32, v15
	v_cndmask_b32_e32 v15, v2, v15, vcc_lo
	v_lshlrev_b32_e32 v15, 2, v15
	ds_bpermute_b32 v13, v15, v6
	s_waitcnt lgkmcnt(0)
	v_add_f32_e32 v6, v6, v13
	ds_bpermute_b32 v11, v15, v4
	s_waitcnt lgkmcnt(0)
	v_dual_add_f32 v5, v5, v12 :: v_dual_add_f32 v4, v4, v11
	v_add_f32_e32 v3, v3, v14
	ds_bpermute_b32 v12, v15, v5
	ds_bpermute_b32 v14, v15, v3
	v_xor_b32_e32 v15, 4, v2
	s_delay_alu instid0(VALU_DEP_1) | instskip(SKIP_1) | instid1(VALU_DEP_1)
	v_cmp_gt_i32_e32 vcc_lo, 32, v15
	v_cndmask_b32_e32 v15, v2, v15, vcc_lo
	v_lshlrev_b32_e32 v15, 2, v15
	s_waitcnt lgkmcnt(1)
	v_add_f32_e32 v5, v5, v12
	ds_bpermute_b32 v13, v15, v6
	s_waitcnt lgkmcnt(0)
	v_add_f32_e32 v6, v6, v13
	ds_bpermute_b32 v11, v15, v4
	ds_bpermute_b32 v12, v15, v5
	s_waitcnt lgkmcnt(1)
	v_dual_add_f32 v4, v4, v11 :: v_dual_add_f32 v3, v3, v14
	s_waitcnt lgkmcnt(0)
	v_add_f32_e32 v5, v5, v12
	ds_bpermute_b32 v14, v15, v3
	v_xor_b32_e32 v15, 2, v2
	s_delay_alu instid0(VALU_DEP_1) | instskip(SKIP_1) | instid1(VALU_DEP_1)
	v_cmp_gt_i32_e32 vcc_lo, 32, v15
	v_cndmask_b32_e32 v15, v2, v15, vcc_lo
	v_lshlrev_b32_e32 v15, 2, v15
	ds_bpermute_b32 v11, v15, v4
	ds_bpermute_b32 v12, v15, v5
	;; [unrolled: 1-line block ×3, first 2 shown]
	s_waitcnt lgkmcnt(2)
	v_dual_add_f32 v4, v4, v11 :: v_dual_add_f32 v3, v3, v14
	s_waitcnt lgkmcnt(1)
	v_add_f32_e32 v5, v5, v12
	ds_bpermute_b32 v14, v15, v3
	v_xor_b32_e32 v15, 1, v2
	s_delay_alu instid0(VALU_DEP_1) | instskip(SKIP_3) | instid1(VALU_DEP_2)
	v_cmp_gt_i32_e32 vcc_lo, 32, v15
	v_cndmask_b32_e32 v2, v2, v15, vcc_lo
	v_cmp_eq_u32_e32 vcc_lo, 63, v0
	s_waitcnt lgkmcnt(1)
	v_dual_add_f32 v2, v6, v13 :: v_dual_lshlrev_b32 v15, 2, v2
	s_waitcnt lgkmcnt(0)
	v_add_f32_e32 v3, v3, v14
	ds_bpermute_b32 v12, v15, v4
	ds_bpermute_b32 v13, v15, v5
	;; [unrolled: 1-line block ×4, first 2 shown]
	s_and_b32 exec_lo, exec_lo, vcc_lo
	s_cbranch_execz .LBB156_29
; %bb.25:
	s_load_b64 s[2:3], s[0:1], 0x38
	v_cmp_eq_f32_e32 vcc_lo, 0, v9
	v_cmp_eq_f32_e64 s0, 0, v10
	s_waitcnt lgkmcnt(0)
	v_dual_add_f32 v0, v4, v12 :: v_dual_add_f32 v3, v3, v11
	v_add_f32_e32 v4, v5, v13
	v_add_f32_e32 v2, v2, v6
	s_and_b32 s0, vcc_lo, s0
	s_delay_alu instid0(SALU_CYCLE_1) | instskip(NEXT) | instid1(SALU_CYCLE_1)
	s_and_saveexec_b32 s1, s0
	s_xor_b32 s0, exec_lo, s1
	s_cbranch_execz .LBB156_27
; %bb.26:
	v_dual_mul_f32 v10, v4, v7 :: v_dual_lshlrev_b32 v5, 1, v1
	v_mul_f32_e64 v9, v4, -v8
	v_mul_f32_e64 v11, v3, -v8
	v_mul_f32_e32 v12, v3, v7
	s_delay_alu instid0(VALU_DEP_4)
	v_ashrrev_i32_e32 v6, 31, v5
	v_fmac_f32_e32 v10, v8, v0
	v_fmac_f32_e32 v9, v7, v0
	;; [unrolled: 1-line block ×4, first 2 shown]
	v_lshlrev_b64 v[4:5], 3, v[5:6]
                                        ; implicit-def: $vgpr7
                                        ; implicit-def: $vgpr8
                                        ; implicit-def: $vgpr2
                                        ; implicit-def: $vgpr3
	s_delay_alu instid0(VALU_DEP_1) | instskip(NEXT) | instid1(VALU_DEP_2)
	v_add_co_u32 v0, vcc_lo, s2, v4
	v_add_co_ci_u32_e32 v1, vcc_lo, s3, v5, vcc_lo
                                        ; implicit-def: $vgpr4
	global_store_b128 v[0:1], v[9:12], off
                                        ; implicit-def: $vgpr9
                                        ; implicit-def: $vgpr10
                                        ; implicit-def: $vgpr1
                                        ; implicit-def: $vgpr0
.LBB156_27:
	s_and_not1_saveexec_b32 s0, s0
	s_cbranch_execz .LBB156_29
; %bb.28:
	v_lshlrev_b32_e32 v5, 1, v1
	v_mul_f32_e64 v15, v4, -v8
	v_mul_f32_e32 v1, v4, v7
	v_mul_f32_e64 v4, v3, -v8
	v_mul_f32_e32 v3, v3, v7
	s_delay_alu instid0(VALU_DEP_4) | instskip(NEXT) | instid1(VALU_DEP_3)
	v_fmac_f32_e32 v15, v7, v0
	v_fmac_f32_e32 v4, v7, v2
	v_ashrrev_i32_e32 v6, 31, v5
	s_delay_alu instid0(VALU_DEP_4) | instskip(NEXT) | instid1(VALU_DEP_2)
	v_fmac_f32_e32 v3, v8, v2
	v_lshlrev_b64 v[5:6], 3, v[5:6]
	s_delay_alu instid0(VALU_DEP_1) | instskip(NEXT) | instid1(VALU_DEP_2)
	v_add_co_u32 v5, vcc_lo, s2, v5
	v_add_co_ci_u32_e32 v6, vcc_lo, s3, v6, vcc_lo
	global_load_b128 v[11:14], v[5:6], off
	s_waitcnt vmcnt(0)
	v_dual_fmac_f32 v4, v9, v13 :: v_dual_fmac_f32 v1, v8, v0
	v_fmac_f32_e32 v15, v9, v11
	v_fmac_f32_e32 v3, v10, v13
	s_delay_alu instid0(VALU_DEP_3) | instskip(NEXT) | instid1(VALU_DEP_4)
	v_fma_f32 v2, -v10, v14, v4
	v_fmac_f32_e32 v1, v10, v11
	s_delay_alu instid0(VALU_DEP_4) | instskip(NEXT) | instid1(VALU_DEP_4)
	v_fma_f32 v0, -v10, v12, v15
	v_fmac_f32_e32 v3, v9, v14
	s_delay_alu instid0(VALU_DEP_3)
	v_fmac_f32_e32 v1, v9, v12
	global_store_b128 v[5:6], v[0:3], off
.LBB156_29:
	s_nop 0
	s_sendmsg sendmsg(MSG_DEALLOC_VGPRS)
	s_endpgm
	.section	.rodata,"a",@progbits
	.p2align	6, 0x0
	.amdhsa_kernel _ZN9rocsparseL19gebsrmvn_2xn_kernelILj128ELj1ELj64E21rocsparse_complex_numIfEEEvi20rocsparse_direction_NS_24const_host_device_scalarIT2_EEPKiS8_PKS5_SA_S6_PS5_21rocsparse_index_base_b
		.amdhsa_group_segment_fixed_size 0
		.amdhsa_private_segment_fixed_size 0
		.amdhsa_kernarg_size 72
		.amdhsa_user_sgpr_count 15
		.amdhsa_user_sgpr_dispatch_ptr 0
		.amdhsa_user_sgpr_queue_ptr 0
		.amdhsa_user_sgpr_kernarg_segment_ptr 1
		.amdhsa_user_sgpr_dispatch_id 0
		.amdhsa_user_sgpr_private_segment_size 0
		.amdhsa_wavefront_size32 1
		.amdhsa_uses_dynamic_stack 0
		.amdhsa_enable_private_segment 0
		.amdhsa_system_sgpr_workgroup_id_x 1
		.amdhsa_system_sgpr_workgroup_id_y 0
		.amdhsa_system_sgpr_workgroup_id_z 0
		.amdhsa_system_sgpr_workgroup_info 0
		.amdhsa_system_vgpr_workitem_id 0
		.amdhsa_next_free_vgpr 23
		.amdhsa_next_free_sgpr 16
		.amdhsa_reserve_vcc 1
		.amdhsa_float_round_mode_32 0
		.amdhsa_float_round_mode_16_64 0
		.amdhsa_float_denorm_mode_32 3
		.amdhsa_float_denorm_mode_16_64 3
		.amdhsa_dx10_clamp 1
		.amdhsa_ieee_mode 1
		.amdhsa_fp16_overflow 0
		.amdhsa_workgroup_processor_mode 1
		.amdhsa_memory_ordered 1
		.amdhsa_forward_progress 0
		.amdhsa_shared_vgpr_count 0
		.amdhsa_exception_fp_ieee_invalid_op 0
		.amdhsa_exception_fp_denorm_src 0
		.amdhsa_exception_fp_ieee_div_zero 0
		.amdhsa_exception_fp_ieee_overflow 0
		.amdhsa_exception_fp_ieee_underflow 0
		.amdhsa_exception_fp_ieee_inexact 0
		.amdhsa_exception_int_div_zero 0
	.end_amdhsa_kernel
	.section	.text._ZN9rocsparseL19gebsrmvn_2xn_kernelILj128ELj1ELj64E21rocsparse_complex_numIfEEEvi20rocsparse_direction_NS_24const_host_device_scalarIT2_EEPKiS8_PKS5_SA_S6_PS5_21rocsparse_index_base_b,"axG",@progbits,_ZN9rocsparseL19gebsrmvn_2xn_kernelILj128ELj1ELj64E21rocsparse_complex_numIfEEEvi20rocsparse_direction_NS_24const_host_device_scalarIT2_EEPKiS8_PKS5_SA_S6_PS5_21rocsparse_index_base_b,comdat
.Lfunc_end156:
	.size	_ZN9rocsparseL19gebsrmvn_2xn_kernelILj128ELj1ELj64E21rocsparse_complex_numIfEEEvi20rocsparse_direction_NS_24const_host_device_scalarIT2_EEPKiS8_PKS5_SA_S6_PS5_21rocsparse_index_base_b, .Lfunc_end156-_ZN9rocsparseL19gebsrmvn_2xn_kernelILj128ELj1ELj64E21rocsparse_complex_numIfEEEvi20rocsparse_direction_NS_24const_host_device_scalarIT2_EEPKiS8_PKS5_SA_S6_PS5_21rocsparse_index_base_b
                                        ; -- End function
	.section	.AMDGPU.csdata,"",@progbits
; Kernel info:
; codeLenInByte = 1776
; NumSgprs: 18
; NumVgprs: 23
; ScratchSize: 0
; MemoryBound: 0
; FloatMode: 240
; IeeeMode: 1
; LDSByteSize: 0 bytes/workgroup (compile time only)
; SGPRBlocks: 2
; VGPRBlocks: 2
; NumSGPRsForWavesPerEU: 18
; NumVGPRsForWavesPerEU: 23
; Occupancy: 16
; WaveLimiterHint : 1
; COMPUTE_PGM_RSRC2:SCRATCH_EN: 0
; COMPUTE_PGM_RSRC2:USER_SGPR: 15
; COMPUTE_PGM_RSRC2:TRAP_HANDLER: 0
; COMPUTE_PGM_RSRC2:TGID_X_EN: 1
; COMPUTE_PGM_RSRC2:TGID_Y_EN: 0
; COMPUTE_PGM_RSRC2:TGID_Z_EN: 0
; COMPUTE_PGM_RSRC2:TIDIG_COMP_CNT: 0
	.section	.text._ZN9rocsparseL19gebsrmvn_2xn_kernelILj128ELj3ELj4E21rocsparse_complex_numIfEEEvi20rocsparse_direction_NS_24const_host_device_scalarIT2_EEPKiS8_PKS5_SA_S6_PS5_21rocsparse_index_base_b,"axG",@progbits,_ZN9rocsparseL19gebsrmvn_2xn_kernelILj128ELj3ELj4E21rocsparse_complex_numIfEEEvi20rocsparse_direction_NS_24const_host_device_scalarIT2_EEPKiS8_PKS5_SA_S6_PS5_21rocsparse_index_base_b,comdat
	.globl	_ZN9rocsparseL19gebsrmvn_2xn_kernelILj128ELj3ELj4E21rocsparse_complex_numIfEEEvi20rocsparse_direction_NS_24const_host_device_scalarIT2_EEPKiS8_PKS5_SA_S6_PS5_21rocsparse_index_base_b ; -- Begin function _ZN9rocsparseL19gebsrmvn_2xn_kernelILj128ELj3ELj4E21rocsparse_complex_numIfEEEvi20rocsparse_direction_NS_24const_host_device_scalarIT2_EEPKiS8_PKS5_SA_S6_PS5_21rocsparse_index_base_b
	.p2align	8
	.type	_ZN9rocsparseL19gebsrmvn_2xn_kernelILj128ELj3ELj4E21rocsparse_complex_numIfEEEvi20rocsparse_direction_NS_24const_host_device_scalarIT2_EEPKiS8_PKS5_SA_S6_PS5_21rocsparse_index_base_b,@function
_ZN9rocsparseL19gebsrmvn_2xn_kernelILj128ELj3ELj4E21rocsparse_complex_numIfEEEvi20rocsparse_direction_NS_24const_host_device_scalarIT2_EEPKiS8_PKS5_SA_S6_PS5_21rocsparse_index_base_b: ; @_ZN9rocsparseL19gebsrmvn_2xn_kernelILj128ELj3ELj4E21rocsparse_complex_numIfEEEvi20rocsparse_direction_NS_24const_host_device_scalarIT2_EEPKiS8_PKS5_SA_S6_PS5_21rocsparse_index_base_b
; %bb.0:
	s_clause 0x2
	s_load_b64 s[12:13], s[0:1], 0x40
	s_load_b64 s[4:5], s[0:1], 0x8
	s_load_b64 s[2:3], s[0:1], 0x30
	s_waitcnt lgkmcnt(0)
	s_bitcmp1_b32 s13, 0
	v_mov_b32_e32 v8, s4
	s_cselect_b32 s6, -1, 0
	s_delay_alu instid0(SALU_CYCLE_1)
	s_and_b32 vcc_lo, exec_lo, s6
	s_xor_b32 s6, s6, -1
	s_cbranch_vccz .LBB157_15
; %bb.1:
	v_cndmask_b32_e64 v1, 0, 1, s6
	v_mov_b32_e32 v9, s5
	s_and_not1_b32 vcc_lo, exec_lo, s6
	s_cbranch_vccz .LBB157_16
.LBB157_2:
	s_delay_alu instid0(VALU_DEP_2)
	v_cmp_ne_u32_e32 vcc_lo, 1, v1
	v_mov_b32_e32 v10, s2
	s_cbranch_vccz .LBB157_17
.LBB157_3:
	v_cmp_ne_u32_e32 vcc_lo, 1, v1
	v_mov_b32_e32 v11, s3
	s_cbranch_vccnz .LBB157_5
.LBB157_4:
	v_dual_mov_b32 v1, s2 :: v_dual_mov_b32 v2, s3
	flat_load_b32 v11, v[1:2] offset:4
.LBB157_5:
	s_waitcnt vmcnt(0) lgkmcnt(0)
	v_cmp_eq_f32_e32 vcc_lo, 0, v8
	v_cmp_eq_f32_e64 s2, 0, v9
	s_delay_alu instid0(VALU_DEP_1)
	s_and_b32 s4, vcc_lo, s2
	s_mov_b32 s2, -1
	s_and_saveexec_b32 s3, s4
; %bb.6:
	v_cmp_neq_f32_e32 vcc_lo, 1.0, v10
	v_cmp_neq_f32_e64 s2, 0, v11
	s_delay_alu instid0(VALU_DEP_1) | instskip(NEXT) | instid1(SALU_CYCLE_1)
	s_or_b32 s2, vcc_lo, s2
	s_or_not1_b32 s2, s2, exec_lo
; %bb.7:
	s_or_b32 exec_lo, exec_lo, s3
	s_and_saveexec_b32 s3, s2
	s_cbranch_execz .LBB157_29
; %bb.8:
	s_load_b64 s[2:3], s[0:1], 0x0
	v_lshrrev_b32_e32 v1, 2, v0
	s_delay_alu instid0(VALU_DEP_1) | instskip(SKIP_1) | instid1(VALU_DEP_1)
	v_lshl_or_b32 v1, s15, 5, v1
	s_waitcnt lgkmcnt(0)
	v_cmp_gt_i32_e32 vcc_lo, s2, v1
	s_and_b32 exec_lo, exec_lo, vcc_lo
	s_cbranch_execz .LBB157_29
; %bb.9:
	s_load_b256 s[4:11], s[0:1], 0x10
	v_ashrrev_i32_e32 v2, 31, v1
	v_and_b32_e32 v0, 3, v0
	s_cmp_lg_u32 s3, 0
	s_delay_alu instid0(VALU_DEP_2) | instskip(SKIP_1) | instid1(VALU_DEP_1)
	v_lshlrev_b64 v[2:3], 2, v[1:2]
	s_waitcnt lgkmcnt(0)
	v_add_co_u32 v2, vcc_lo, s4, v2
	s_delay_alu instid0(VALU_DEP_2) | instskip(SKIP_4) | instid1(VALU_DEP_2)
	v_add_co_ci_u32_e32 v3, vcc_lo, s5, v3, vcc_lo
	global_load_b64 v[2:3], v[2:3], off
	s_waitcnt vmcnt(0)
	v_subrev_nc_u32_e32 v2, s12, v2
	v_subrev_nc_u32_e32 v14, s12, v3
	v_add_nc_u32_e32 v2, v2, v0
	s_delay_alu instid0(VALU_DEP_1)
	v_cmp_lt_i32_e64 s2, v2, v14
	s_cbranch_scc0 .LBB157_18
; %bb.10:
	v_dual_mov_b32 v12, 0 :: v_dual_mov_b32 v15, 0
	v_dual_mov_b32 v16, 0 :: v_dual_mov_b32 v13, 0
	s_mov_b32 s3, 0
	s_and_saveexec_b32 s4, s2
	s_cbranch_execz .LBB157_14
; %bb.11:
	v_dual_mov_b32 v4, 0 :: v_dual_mov_b32 v5, v2
	v_mul_lo_u32 v3, v2, 6
	s_mov_b32 s5, 0
	s_delay_alu instid0(VALU_DEP_2)
	v_mov_b32_e32 v12, v4
	v_mov_b32_e32 v15, v4
	;; [unrolled: 1-line block ×4, first 2 shown]
.LBB157_12:                             ; =>This Inner Loop Header: Depth=1
	v_ashrrev_i32_e32 v6, 31, v5
	v_dual_mov_b32 v18, v4 :: v_dual_add_nc_u32 v17, 2, v3
	v_dual_mov_b32 v20, v4 :: v_dual_add_nc_u32 v19, 4, v3
	s_delay_alu instid0(VALU_DEP_3) | instskip(NEXT) | instid1(VALU_DEP_3)
	v_lshlrev_b64 v[6:7], 2, v[5:6]
	v_lshlrev_b64 v[21:22], 3, v[17:18]
	s_delay_alu instid0(VALU_DEP_3) | instskip(NEXT) | instid1(VALU_DEP_3)
	v_lshlrev_b64 v[23:24], 3, v[19:20]
	v_add_co_u32 v6, vcc_lo, s6, v6
	s_delay_alu instid0(VALU_DEP_4) | instskip(SKIP_3) | instid1(VALU_DEP_2)
	v_add_co_ci_u32_e32 v7, vcc_lo, s7, v7, vcc_lo
	global_load_b32 v25, v[6:7], off
	v_lshlrev_b64 v[6:7], 3, v[3:4]
	v_add_nc_u32_e32 v3, 24, v3
	v_add_co_u32 v6, vcc_lo, s8, v6
	s_delay_alu instid0(VALU_DEP_3)
	v_add_co_ci_u32_e32 v7, vcc_lo, s9, v7, vcc_lo
	global_load_b128 v[17:20], v[6:7], off
	v_add_co_u32 v6, vcc_lo, s8, v21
	v_add_co_ci_u32_e32 v7, vcc_lo, s9, v22, vcc_lo
	v_add_co_u32 v31, vcc_lo, s8, v23
	v_add_co_ci_u32_e32 v32, vcc_lo, s9, v24, vcc_lo
	global_load_b128 v[21:24], v[6:7], off
	s_waitcnt vmcnt(2)
	v_subrev_nc_u32_e32 v6, s12, v25
	s_delay_alu instid0(VALU_DEP_1) | instskip(SKIP_1) | instid1(VALU_DEP_2)
	v_lshl_add_u32 v25, v6, 1, v6
	v_mov_b32_e32 v26, v4
	v_dual_mov_b32 v28, v4 :: v_dual_add_nc_u32 v29, 2, v25
	v_add_nc_u32_e32 v27, 1, v25
	s_delay_alu instid0(VALU_DEP_3) | instskip(NEXT) | instid1(VALU_DEP_2)
	v_lshlrev_b64 v[6:7], 3, v[25:26]
	v_lshlrev_b64 v[25:26], 3, v[27:28]
	s_delay_alu instid0(VALU_DEP_2) | instskip(NEXT) | instid1(VALU_DEP_3)
	v_add_co_u32 v6, vcc_lo, s10, v6
	v_add_co_ci_u32_e32 v7, vcc_lo, s11, v7, vcc_lo
	s_delay_alu instid0(VALU_DEP_3) | instskip(NEXT) | instid1(VALU_DEP_4)
	v_add_co_u32 v25, vcc_lo, s10, v25
	v_add_co_ci_u32_e32 v26, vcc_lo, s11, v26, vcc_lo
	s_clause 0x1
	global_load_b64 v[6:7], v[6:7], off
	global_load_b64 v[33:34], v[25:26], off
	s_waitcnt vmcnt(1)
	v_dual_mov_b32 v30, v4 :: v_dual_fmac_f32 v15, v17, v6
	s_delay_alu instid0(VALU_DEP_1) | instskip(SKIP_1) | instid1(VALU_DEP_1)
	v_lshlrev_b64 v[27:28], 3, v[29:30]
	v_fmac_f32_e32 v13, v20, v6
	v_dual_fmac_f32 v12, v18, v6 :: v_dual_fmac_f32 v13, v19, v7
	s_delay_alu instid0(VALU_DEP_3) | instskip(NEXT) | instid1(VALU_DEP_4)
	v_add_co_u32 v29, vcc_lo, s10, v27
	v_add_co_ci_u32_e32 v30, vcc_lo, s11, v28, vcc_lo
	global_load_b128 v[25:28], v[31:32], off
	global_load_b64 v[29:30], v[29:30], off
	s_waitcnt vmcnt(2)
	v_dual_fmac_f32 v16, v19, v6 :: v_dual_fmac_f32 v13, v24, v33
	v_fmac_f32_e32 v12, v17, v7
	v_fma_f32 v6, -v18, v7, v15
	s_delay_alu instid0(VALU_DEP_3) | instskip(NEXT) | instid1(VALU_DEP_3)
	v_fma_f32 v15, -v20, v7, v16
	v_dual_fmac_f32 v13, v23, v34 :: v_dual_fmac_f32 v12, v22, v33
	s_delay_alu instid0(VALU_DEP_3) | instskip(NEXT) | instid1(VALU_DEP_2)
	v_fmac_f32_e32 v6, v21, v33
	v_dual_fmac_f32 v15, v23, v33 :: v_dual_fmac_f32 v12, v21, v34
	s_delay_alu instid0(VALU_DEP_2) | instskip(NEXT) | instid1(VALU_DEP_2)
	v_fma_f32 v6, -v22, v34, v6
	v_fma_f32 v7, -v24, v34, v15
	s_waitcnt vmcnt(0)
	s_delay_alu instid0(VALU_DEP_3) | instskip(SKIP_1) | instid1(VALU_DEP_3)
	v_fmac_f32_e32 v12, v26, v29
	v_add_nc_u32_e32 v5, 4, v5
	v_fmac_f32_e32 v7, v27, v29
	v_fmac_f32_e32 v13, v28, v29
	;; [unrolled: 1-line block ×4, first 2 shown]
	v_cmp_ge_i32_e32 vcc_lo, v5, v14
	v_fma_f32 v16, -v28, v30, v7
	v_fmac_f32_e32 v13, v27, v30
	v_fma_f32 v15, -v26, v30, v6
	s_or_b32 s5, vcc_lo, s5
	s_delay_alu instid0(SALU_CYCLE_1)
	s_and_not1_b32 exec_lo, exec_lo, s5
	s_cbranch_execnz .LBB157_12
; %bb.13:
	s_or_b32 exec_lo, exec_lo, s5
.LBB157_14:
	s_delay_alu instid0(SALU_CYCLE_1) | instskip(NEXT) | instid1(SALU_CYCLE_1)
	s_or_b32 exec_lo, exec_lo, s4
	s_and_not1_b32 vcc_lo, exec_lo, s3
	s_cbranch_vccz .LBB157_19
	s_branch .LBB157_24
.LBB157_15:
	v_dual_mov_b32 v1, s4 :: v_dual_mov_b32 v2, s5
	flat_load_b32 v8, v[1:2]
	v_cndmask_b32_e64 v1, 0, 1, s6
	v_mov_b32_e32 v9, s5
	s_and_not1_b32 vcc_lo, exec_lo, s6
	s_cbranch_vccnz .LBB157_2
.LBB157_16:
	v_dual_mov_b32 v2, s4 :: v_dual_mov_b32 v3, s5
	flat_load_b32 v9, v[2:3] offset:4
	v_cmp_ne_u32_e32 vcc_lo, 1, v1
	v_mov_b32_e32 v10, s2
	s_cbranch_vccnz .LBB157_3
.LBB157_17:
	v_dual_mov_b32 v2, s2 :: v_dual_mov_b32 v3, s3
	flat_load_b32 v10, v[2:3]
	v_cmp_ne_u32_e32 vcc_lo, 1, v1
	v_mov_b32_e32 v11, s3
	s_cbranch_vccz .LBB157_4
	s_branch .LBB157_5
.LBB157_18:
                                        ; implicit-def: $vgpr12
                                        ; implicit-def: $vgpr15
                                        ; implicit-def: $vgpr16
                                        ; implicit-def: $vgpr13
.LBB157_19:
	v_dual_mov_b32 v12, 0 :: v_dual_mov_b32 v15, 0
	v_dual_mov_b32 v16, 0 :: v_dual_mov_b32 v13, 0
	s_delay_alu instid0(VALU_DEP_3)
	s_and_saveexec_b32 s3, s2
	s_cbranch_execz .LBB157_23
; %bb.20:
	v_mad_u64_u32 v[4:5], null, v2, 6, 5
	v_dual_mov_b32 v7, 0 :: v_dual_mov_b32 v12, 0
	v_dual_mov_b32 v15, 0 :: v_dual_mov_b32 v16, 0
	v_mov_b32_e32 v13, 0
	s_mov_b32 s2, 0
.LBB157_21:                             ; =>This Inner Loop Header: Depth=1
	v_ashrrev_i32_e32 v3, 31, v2
	v_dual_mov_b32 v22, v7 :: v_dual_add_nc_u32 v17, -2, v4
	v_mov_b32_e32 v18, v7
	s_delay_alu instid0(VALU_DEP_3) | instskip(NEXT) | instid1(VALU_DEP_2)
	v_lshlrev_b64 v[5:6], 2, v[2:3]
	v_lshlrev_b64 v[17:18], 3, v[17:18]
	s_delay_alu instid0(VALU_DEP_2) | instskip(NEXT) | instid1(VALU_DEP_3)
	v_add_co_u32 v5, vcc_lo, s6, v5
	v_add_co_ci_u32_e32 v6, vcc_lo, s7, v6, vcc_lo
	global_load_b32 v3, v[5:6], off
	v_dual_mov_b32 v5, v7 :: v_dual_add_nc_u32 v6, -5, v4
	s_delay_alu instid0(VALU_DEP_1) | instskip(NEXT) | instid1(VALU_DEP_2)
	v_lshlrev_b64 v[19:20], 3, v[6:7]
	v_lshlrev_b64 v[5:6], 3, v[4:5]
	s_delay_alu instid0(VALU_DEP_2) | instskip(NEXT) | instid1(VALU_DEP_3)
	v_add_co_u32 v19, vcc_lo, s8, v19
	v_add_co_ci_u32_e32 v20, vcc_lo, s9, v20, vcc_lo
	v_add_co_u32 v23, vcc_lo, s8, v17
	v_add_co_ci_u32_e32 v24, vcc_lo, s9, v18, vcc_lo
	;; [unrolled: 2-line block ×3, first 2 shown]
	s_clause 0x2
	global_load_b128 v[17:20], v[19:20], off
	global_load_b64 v[23:24], v[23:24], off
	global_load_b64 v[25:26], v[5:6], off
	s_waitcnt vmcnt(3)
	v_subrev_nc_u32_e32 v3, s12, v3
	s_delay_alu instid0(VALU_DEP_1) | instskip(NEXT) | instid1(VALU_DEP_1)
	v_lshl_add_u32 v21, v3, 1, v3
	v_lshlrev_b64 v[27:28], 3, v[21:22]
	s_delay_alu instid0(VALU_DEP_1) | instskip(NEXT) | instid1(VALU_DEP_2)
	v_add_co_u32 v27, vcc_lo, s10, v27
	v_add_co_ci_u32_e32 v28, vcc_lo, s11, v28, vcc_lo
	global_load_b64 v[27:28], v[27:28], off
	v_add_nc_u32_e32 v6, 1, v21
	s_delay_alu instid0(VALU_DEP_1) | instskip(NEXT) | instid1(VALU_DEP_1)
	v_lshlrev_b64 v[29:30], 3, v[6:7]
	v_add_co_u32 v29, vcc_lo, s10, v29
	s_delay_alu instid0(VALU_DEP_2)
	v_add_co_ci_u32_e32 v30, vcc_lo, s11, v30, vcc_lo
	global_load_b64 v[29:30], v[29:30], off
	s_waitcnt vmcnt(1)
	v_fmac_f32_e32 v13, v24, v27
	v_fmac_f32_e32 v15, v17, v27
	v_fmac_f32_e32 v16, v23, v27
	s_delay_alu instid0(VALU_DEP_3) | instskip(NEXT) | instid1(VALU_DEP_3)
	v_fmac_f32_e32 v13, v23, v28
	v_fma_f32 v3, -v18, v28, v15
	v_add_nc_u32_e32 v6, -1, v4
	s_delay_alu instid0(VALU_DEP_4) | instskip(SKIP_1) | instid1(VALU_DEP_3)
	v_fma_f32 v15, -v24, v28, v16
	s_waitcnt vmcnt(0)
	v_fmac_f32_e32 v3, v19, v29
	s_delay_alu instid0(VALU_DEP_3) | instskip(SKIP_2) | instid1(VALU_DEP_4)
	v_lshlrev_b64 v[31:32], 3, v[6:7]
	v_add_nc_u32_e32 v6, -3, v4
	v_add_nc_u32_e32 v4, 24, v4
	v_fma_f32 v3, -v20, v30, v3
	s_delay_alu instid0(VALU_DEP_3) | instskip(SKIP_3) | instid1(VALU_DEP_3)
	v_lshlrev_b64 v[33:34], 3, v[6:7]
	v_add_nc_u32_e32 v6, 2, v21
	v_add_co_u32 v21, vcc_lo, s8, v31
	v_add_co_ci_u32_e32 v22, vcc_lo, s9, v32, vcc_lo
	v_lshlrev_b64 v[5:6], 3, v[6:7]
	v_add_co_u32 v31, vcc_lo, s8, v33
	global_load_b64 v[21:22], v[21:22], off
	v_add_co_ci_u32_e32 v32, vcc_lo, s9, v34, vcc_lo
	v_add_co_u32 v5, vcc_lo, s10, v5
	v_add_co_ci_u32_e32 v6, vcc_lo, s11, v6, vcc_lo
	global_load_b64 v[31:32], v[31:32], off
	global_load_b64 v[5:6], v[5:6], off
	s_waitcnt vmcnt(2)
	v_fmac_f32_e32 v13, v22, v29
	v_dual_fmac_f32 v12, v18, v27 :: v_dual_fmac_f32 v15, v21, v29
	s_delay_alu instid0(VALU_DEP_2) | instskip(NEXT) | instid1(VALU_DEP_2)
	v_fmac_f32_e32 v13, v21, v30
	v_fmac_f32_e32 v12, v17, v28
	v_add_nc_u32_e32 v2, 4, v2
	s_delay_alu instid0(VALU_DEP_4)
	v_fma_f32 v16, -v22, v30, v15
	s_waitcnt vmcnt(0)
	v_fmac_f32_e32 v3, v31, v5
	v_fmac_f32_e32 v13, v26, v5
	;; [unrolled: 1-line block ×3, first 2 shown]
	v_cmp_ge_i32_e32 vcc_lo, v2, v14
	v_fmac_f32_e32 v16, v25, v5
	v_fma_f32 v15, -v32, v6, v3
	v_fmac_f32_e32 v13, v25, v6
	v_fmac_f32_e32 v12, v19, v30
	s_or_b32 s2, vcc_lo, s2
	v_fma_f32 v16, -v26, v6, v16
	s_delay_alu instid0(VALU_DEP_2) | instskip(NEXT) | instid1(VALU_DEP_1)
	v_fmac_f32_e32 v12, v32, v5
	v_fmac_f32_e32 v12, v31, v6
	s_and_not1_b32 exec_lo, exec_lo, s2
	s_cbranch_execnz .LBB157_21
; %bb.22:
	s_or_b32 exec_lo, exec_lo, s2
.LBB157_23:
	s_delay_alu instid0(SALU_CYCLE_1)
	s_or_b32 exec_lo, exec_lo, s3
.LBB157_24:
	v_mbcnt_lo_u32_b32 v2, -1, 0
	s_delay_alu instid0(VALU_DEP_1) | instskip(SKIP_1) | instid1(VALU_DEP_2)
	v_xor_b32_e32 v3, 2, v2
	v_xor_b32_e32 v7, 1, v2
	v_cmp_gt_i32_e32 vcc_lo, 32, v3
	v_cndmask_b32_e32 v3, v2, v3, vcc_lo
	s_delay_alu instid0(VALU_DEP_3) | instskip(NEXT) | instid1(VALU_DEP_2)
	v_cmp_gt_i32_e32 vcc_lo, 32, v7
	v_lshlrev_b32_e32 v3, 2, v3
	v_cndmask_b32_e32 v2, v2, v7, vcc_lo
	v_cmp_eq_u32_e32 vcc_lo, 3, v0
	ds_bpermute_b32 v6, v3, v16
	v_lshlrev_b32_e32 v7, 2, v2
	s_waitcnt lgkmcnt(0)
	v_add_f32_e32 v2, v16, v6
	ds_bpermute_b32 v4, v3, v15
	ds_bpermute_b32 v5, v3, v12
	;; [unrolled: 1-line block ×4, first 2 shown]
	s_waitcnt lgkmcnt(2)
	v_dual_add_f32 v4, v15, v4 :: v_dual_add_f32 v5, v12, v5
	s_waitcnt lgkmcnt(1)
	v_add_f32_e32 v3, v13, v3
	ds_bpermute_b32 v12, v7, v4
	ds_bpermute_b32 v13, v7, v5
	;; [unrolled: 1-line block ×3, first 2 shown]
	s_and_b32 exec_lo, exec_lo, vcc_lo
	s_cbranch_execz .LBB157_29
; %bb.25:
	s_load_b64 s[2:3], s[0:1], 0x38
	v_cmp_eq_f32_e32 vcc_lo, 0, v10
	v_cmp_eq_f32_e64 s0, 0, v11
	s_waitcnt lgkmcnt(0)
	v_dual_add_f32 v0, v4, v12 :: v_dual_add_f32 v3, v3, v7
	v_add_f32_e32 v4, v5, v13
	v_add_f32_e32 v2, v2, v6
	s_and_b32 s0, vcc_lo, s0
	s_delay_alu instid0(SALU_CYCLE_1) | instskip(NEXT) | instid1(SALU_CYCLE_1)
	s_and_saveexec_b32 s1, s0
	s_xor_b32 s0, exec_lo, s1
	s_cbranch_execz .LBB157_27
; %bb.26:
	v_mul_f32_e64 v10, v4, -v9
	v_lshlrev_b32_e32 v5, 1, v1
	v_mul_f32_e32 v11, v4, v8
	v_mul_f32_e64 v12, v3, -v9
	v_mul_f32_e32 v13, v3, v8
	v_fmac_f32_e32 v10, v8, v0
	v_ashrrev_i32_e32 v6, 31, v5
	s_delay_alu instid0(VALU_DEP_4) | instskip(NEXT) | instid1(VALU_DEP_4)
	v_dual_fmac_f32 v11, v9, v0 :: v_dual_fmac_f32 v12, v8, v2
	v_fmac_f32_e32 v13, v9, v2
                                        ; implicit-def: $vgpr8
                                        ; implicit-def: $vgpr9
                                        ; implicit-def: $vgpr2
                                        ; implicit-def: $vgpr3
	s_delay_alu instid0(VALU_DEP_3) | instskip(NEXT) | instid1(VALU_DEP_1)
	v_lshlrev_b64 v[4:5], 3, v[5:6]
	v_add_co_u32 v0, vcc_lo, s2, v4
	s_delay_alu instid0(VALU_DEP_2)
	v_add_co_ci_u32_e32 v1, vcc_lo, s3, v5, vcc_lo
                                        ; implicit-def: $vgpr4
	global_store_b128 v[0:1], v[10:13], off
                                        ; implicit-def: $vgpr10
                                        ; implicit-def: $vgpr11
                                        ; implicit-def: $vgpr1
                                        ; implicit-def: $vgpr0
.LBB157_27:
	s_and_not1_saveexec_b32 s0, s0
	s_cbranch_execz .LBB157_29
; %bb.28:
	v_lshlrev_b32_e32 v5, 1, v1
	v_mul_f32_e64 v7, v4, -v9
	v_mul_f32_e32 v1, v4, v8
	v_mul_f32_e64 v4, v3, -v9
	v_mul_f32_e32 v3, v3, v8
	s_delay_alu instid0(VALU_DEP_4) | instskip(NEXT) | instid1(VALU_DEP_3)
	v_fmac_f32_e32 v7, v8, v0
	v_fmac_f32_e32 v4, v8, v2
	v_ashrrev_i32_e32 v6, 31, v5
	s_delay_alu instid0(VALU_DEP_4) | instskip(NEXT) | instid1(VALU_DEP_2)
	v_fmac_f32_e32 v3, v9, v2
	v_lshlrev_b64 v[5:6], 3, v[5:6]
	s_delay_alu instid0(VALU_DEP_1) | instskip(NEXT) | instid1(VALU_DEP_2)
	v_add_co_u32 v5, vcc_lo, s2, v5
	v_add_co_ci_u32_e32 v6, vcc_lo, s3, v6, vcc_lo
	global_load_b128 v[12:15], v[5:6], off
	s_waitcnt vmcnt(0)
	v_dual_fmac_f32 v4, v10, v14 :: v_dual_fmac_f32 v1, v9, v0
	v_fmac_f32_e32 v7, v10, v12
	v_fmac_f32_e32 v3, v11, v14
	s_delay_alu instid0(VALU_DEP_3) | instskip(NEXT) | instid1(VALU_DEP_4)
	v_fma_f32 v2, -v11, v15, v4
	v_fmac_f32_e32 v1, v11, v12
	s_delay_alu instid0(VALU_DEP_4) | instskip(NEXT) | instid1(VALU_DEP_4)
	v_fma_f32 v0, -v11, v13, v7
	v_fmac_f32_e32 v3, v10, v15
	s_delay_alu instid0(VALU_DEP_3)
	v_fmac_f32_e32 v1, v10, v13
	global_store_b128 v[5:6], v[0:3], off
.LBB157_29:
	s_nop 0
	s_sendmsg sendmsg(MSG_DEALLOC_VGPRS)
	s_endpgm
	.section	.rodata,"a",@progbits
	.p2align	6, 0x0
	.amdhsa_kernel _ZN9rocsparseL19gebsrmvn_2xn_kernelILj128ELj3ELj4E21rocsparse_complex_numIfEEEvi20rocsparse_direction_NS_24const_host_device_scalarIT2_EEPKiS8_PKS5_SA_S6_PS5_21rocsparse_index_base_b
		.amdhsa_group_segment_fixed_size 0
		.amdhsa_private_segment_fixed_size 0
		.amdhsa_kernarg_size 72
		.amdhsa_user_sgpr_count 15
		.amdhsa_user_sgpr_dispatch_ptr 0
		.amdhsa_user_sgpr_queue_ptr 0
		.amdhsa_user_sgpr_kernarg_segment_ptr 1
		.amdhsa_user_sgpr_dispatch_id 0
		.amdhsa_user_sgpr_private_segment_size 0
		.amdhsa_wavefront_size32 1
		.amdhsa_uses_dynamic_stack 0
		.amdhsa_enable_private_segment 0
		.amdhsa_system_sgpr_workgroup_id_x 1
		.amdhsa_system_sgpr_workgroup_id_y 0
		.amdhsa_system_sgpr_workgroup_id_z 0
		.amdhsa_system_sgpr_workgroup_info 0
		.amdhsa_system_vgpr_workitem_id 0
		.amdhsa_next_free_vgpr 35
		.amdhsa_next_free_sgpr 16
		.amdhsa_reserve_vcc 1
		.amdhsa_float_round_mode_32 0
		.amdhsa_float_round_mode_16_64 0
		.amdhsa_float_denorm_mode_32 3
		.amdhsa_float_denorm_mode_16_64 3
		.amdhsa_dx10_clamp 1
		.amdhsa_ieee_mode 1
		.amdhsa_fp16_overflow 0
		.amdhsa_workgroup_processor_mode 1
		.amdhsa_memory_ordered 1
		.amdhsa_forward_progress 0
		.amdhsa_shared_vgpr_count 0
		.amdhsa_exception_fp_ieee_invalid_op 0
		.amdhsa_exception_fp_denorm_src 0
		.amdhsa_exception_fp_ieee_div_zero 0
		.amdhsa_exception_fp_ieee_overflow 0
		.amdhsa_exception_fp_ieee_underflow 0
		.amdhsa_exception_fp_ieee_inexact 0
		.amdhsa_exception_int_div_zero 0
	.end_amdhsa_kernel
	.section	.text._ZN9rocsparseL19gebsrmvn_2xn_kernelILj128ELj3ELj4E21rocsparse_complex_numIfEEEvi20rocsparse_direction_NS_24const_host_device_scalarIT2_EEPKiS8_PKS5_SA_S6_PS5_21rocsparse_index_base_b,"axG",@progbits,_ZN9rocsparseL19gebsrmvn_2xn_kernelILj128ELj3ELj4E21rocsparse_complex_numIfEEEvi20rocsparse_direction_NS_24const_host_device_scalarIT2_EEPKiS8_PKS5_SA_S6_PS5_21rocsparse_index_base_b,comdat
.Lfunc_end157:
	.size	_ZN9rocsparseL19gebsrmvn_2xn_kernelILj128ELj3ELj4E21rocsparse_complex_numIfEEEvi20rocsparse_direction_NS_24const_host_device_scalarIT2_EEPKiS8_PKS5_SA_S6_PS5_21rocsparse_index_base_b, .Lfunc_end157-_ZN9rocsparseL19gebsrmvn_2xn_kernelILj128ELj3ELj4E21rocsparse_complex_numIfEEEvi20rocsparse_direction_NS_24const_host_device_scalarIT2_EEPKiS8_PKS5_SA_S6_PS5_21rocsparse_index_base_b
                                        ; -- End function
	.section	.AMDGPU.csdata,"",@progbits
; Kernel info:
; codeLenInByte = 2060
; NumSgprs: 18
; NumVgprs: 35
; ScratchSize: 0
; MemoryBound: 0
; FloatMode: 240
; IeeeMode: 1
; LDSByteSize: 0 bytes/workgroup (compile time only)
; SGPRBlocks: 2
; VGPRBlocks: 4
; NumSGPRsForWavesPerEU: 18
; NumVGPRsForWavesPerEU: 35
; Occupancy: 16
; WaveLimiterHint : 1
; COMPUTE_PGM_RSRC2:SCRATCH_EN: 0
; COMPUTE_PGM_RSRC2:USER_SGPR: 15
; COMPUTE_PGM_RSRC2:TRAP_HANDLER: 0
; COMPUTE_PGM_RSRC2:TGID_X_EN: 1
; COMPUTE_PGM_RSRC2:TGID_Y_EN: 0
; COMPUTE_PGM_RSRC2:TGID_Z_EN: 0
; COMPUTE_PGM_RSRC2:TIDIG_COMP_CNT: 0
	.section	.text._ZN9rocsparseL19gebsrmvn_2xn_kernelILj128ELj3ELj8E21rocsparse_complex_numIfEEEvi20rocsparse_direction_NS_24const_host_device_scalarIT2_EEPKiS8_PKS5_SA_S6_PS5_21rocsparse_index_base_b,"axG",@progbits,_ZN9rocsparseL19gebsrmvn_2xn_kernelILj128ELj3ELj8E21rocsparse_complex_numIfEEEvi20rocsparse_direction_NS_24const_host_device_scalarIT2_EEPKiS8_PKS5_SA_S6_PS5_21rocsparse_index_base_b,comdat
	.globl	_ZN9rocsparseL19gebsrmvn_2xn_kernelILj128ELj3ELj8E21rocsparse_complex_numIfEEEvi20rocsparse_direction_NS_24const_host_device_scalarIT2_EEPKiS8_PKS5_SA_S6_PS5_21rocsparse_index_base_b ; -- Begin function _ZN9rocsparseL19gebsrmvn_2xn_kernelILj128ELj3ELj8E21rocsparse_complex_numIfEEEvi20rocsparse_direction_NS_24const_host_device_scalarIT2_EEPKiS8_PKS5_SA_S6_PS5_21rocsparse_index_base_b
	.p2align	8
	.type	_ZN9rocsparseL19gebsrmvn_2xn_kernelILj128ELj3ELj8E21rocsparse_complex_numIfEEEvi20rocsparse_direction_NS_24const_host_device_scalarIT2_EEPKiS8_PKS5_SA_S6_PS5_21rocsparse_index_base_b,@function
_ZN9rocsparseL19gebsrmvn_2xn_kernelILj128ELj3ELj8E21rocsparse_complex_numIfEEEvi20rocsparse_direction_NS_24const_host_device_scalarIT2_EEPKiS8_PKS5_SA_S6_PS5_21rocsparse_index_base_b: ; @_ZN9rocsparseL19gebsrmvn_2xn_kernelILj128ELj3ELj8E21rocsparse_complex_numIfEEEvi20rocsparse_direction_NS_24const_host_device_scalarIT2_EEPKiS8_PKS5_SA_S6_PS5_21rocsparse_index_base_b
; %bb.0:
	s_clause 0x2
	s_load_b64 s[12:13], s[0:1], 0x40
	s_load_b64 s[4:5], s[0:1], 0x8
	;; [unrolled: 1-line block ×3, first 2 shown]
	s_waitcnt lgkmcnt(0)
	s_bitcmp1_b32 s13, 0
	v_mov_b32_e32 v8, s4
	s_cselect_b32 s6, -1, 0
	s_delay_alu instid0(SALU_CYCLE_1)
	s_and_b32 vcc_lo, exec_lo, s6
	s_xor_b32 s6, s6, -1
	s_cbranch_vccz .LBB158_15
; %bb.1:
	v_cndmask_b32_e64 v1, 0, 1, s6
	v_mov_b32_e32 v9, s5
	s_and_not1_b32 vcc_lo, exec_lo, s6
	s_cbranch_vccz .LBB158_16
.LBB158_2:
	s_delay_alu instid0(VALU_DEP_2)
	v_cmp_ne_u32_e32 vcc_lo, 1, v1
	v_mov_b32_e32 v10, s2
	s_cbranch_vccz .LBB158_17
.LBB158_3:
	v_cmp_ne_u32_e32 vcc_lo, 1, v1
	v_mov_b32_e32 v11, s3
	s_cbranch_vccnz .LBB158_5
.LBB158_4:
	v_dual_mov_b32 v1, s2 :: v_dual_mov_b32 v2, s3
	flat_load_b32 v11, v[1:2] offset:4
.LBB158_5:
	s_waitcnt vmcnt(0) lgkmcnt(0)
	v_cmp_eq_f32_e32 vcc_lo, 0, v8
	v_cmp_eq_f32_e64 s2, 0, v9
	s_delay_alu instid0(VALU_DEP_1)
	s_and_b32 s4, vcc_lo, s2
	s_mov_b32 s2, -1
	s_and_saveexec_b32 s3, s4
; %bb.6:
	v_cmp_neq_f32_e32 vcc_lo, 1.0, v10
	v_cmp_neq_f32_e64 s2, 0, v11
	s_delay_alu instid0(VALU_DEP_1) | instskip(NEXT) | instid1(SALU_CYCLE_1)
	s_or_b32 s2, vcc_lo, s2
	s_or_not1_b32 s2, s2, exec_lo
; %bb.7:
	s_or_b32 exec_lo, exec_lo, s3
	s_and_saveexec_b32 s3, s2
	s_cbranch_execz .LBB158_29
; %bb.8:
	s_load_b64 s[2:3], s[0:1], 0x0
	v_lshrrev_b32_e32 v1, 3, v0
	s_delay_alu instid0(VALU_DEP_1) | instskip(SKIP_1) | instid1(VALU_DEP_1)
	v_lshl_or_b32 v1, s15, 4, v1
	s_waitcnt lgkmcnt(0)
	v_cmp_gt_i32_e32 vcc_lo, s2, v1
	s_and_b32 exec_lo, exec_lo, vcc_lo
	s_cbranch_execz .LBB158_29
; %bb.9:
	s_load_b256 s[4:11], s[0:1], 0x10
	v_ashrrev_i32_e32 v2, 31, v1
	v_and_b32_e32 v0, 7, v0
	s_cmp_lg_u32 s3, 0
	s_delay_alu instid0(VALU_DEP_2) | instskip(SKIP_1) | instid1(VALU_DEP_1)
	v_lshlrev_b64 v[2:3], 2, v[1:2]
	s_waitcnt lgkmcnt(0)
	v_add_co_u32 v2, vcc_lo, s4, v2
	s_delay_alu instid0(VALU_DEP_2) | instskip(SKIP_4) | instid1(VALU_DEP_2)
	v_add_co_ci_u32_e32 v3, vcc_lo, s5, v3, vcc_lo
	global_load_b64 v[2:3], v[2:3], off
	s_waitcnt vmcnt(0)
	v_subrev_nc_u32_e32 v2, s12, v2
	v_subrev_nc_u32_e32 v14, s12, v3
	v_add_nc_u32_e32 v2, v2, v0
	s_delay_alu instid0(VALU_DEP_1)
	v_cmp_lt_i32_e64 s2, v2, v14
	s_cbranch_scc0 .LBB158_18
; %bb.10:
	v_dual_mov_b32 v12, 0 :: v_dual_mov_b32 v15, 0
	v_dual_mov_b32 v16, 0 :: v_dual_mov_b32 v13, 0
	s_mov_b32 s3, 0
	s_and_saveexec_b32 s4, s2
	s_cbranch_execz .LBB158_14
; %bb.11:
	v_dual_mov_b32 v4, 0 :: v_dual_mov_b32 v5, v2
	v_mul_lo_u32 v3, v2, 6
	s_mov_b32 s5, 0
	s_delay_alu instid0(VALU_DEP_2)
	v_mov_b32_e32 v12, v4
	v_mov_b32_e32 v15, v4
	;; [unrolled: 1-line block ×4, first 2 shown]
.LBB158_12:                             ; =>This Inner Loop Header: Depth=1
	v_ashrrev_i32_e32 v6, 31, v5
	v_dual_mov_b32 v18, v4 :: v_dual_add_nc_u32 v17, 2, v3
	v_dual_mov_b32 v20, v4 :: v_dual_add_nc_u32 v19, 4, v3
	s_delay_alu instid0(VALU_DEP_3) | instskip(NEXT) | instid1(VALU_DEP_3)
	v_lshlrev_b64 v[6:7], 2, v[5:6]
	v_lshlrev_b64 v[21:22], 3, v[17:18]
	s_delay_alu instid0(VALU_DEP_3) | instskip(NEXT) | instid1(VALU_DEP_3)
	v_lshlrev_b64 v[23:24], 3, v[19:20]
	v_add_co_u32 v6, vcc_lo, s6, v6
	s_delay_alu instid0(VALU_DEP_4) | instskip(SKIP_3) | instid1(VALU_DEP_2)
	v_add_co_ci_u32_e32 v7, vcc_lo, s7, v7, vcc_lo
	global_load_b32 v25, v[6:7], off
	v_lshlrev_b64 v[6:7], 3, v[3:4]
	v_add_nc_u32_e32 v3, 48, v3
	v_add_co_u32 v6, vcc_lo, s8, v6
	s_delay_alu instid0(VALU_DEP_3)
	v_add_co_ci_u32_e32 v7, vcc_lo, s9, v7, vcc_lo
	global_load_b128 v[17:20], v[6:7], off
	v_add_co_u32 v6, vcc_lo, s8, v21
	v_add_co_ci_u32_e32 v7, vcc_lo, s9, v22, vcc_lo
	v_add_co_u32 v31, vcc_lo, s8, v23
	v_add_co_ci_u32_e32 v32, vcc_lo, s9, v24, vcc_lo
	global_load_b128 v[21:24], v[6:7], off
	s_waitcnt vmcnt(2)
	v_subrev_nc_u32_e32 v6, s12, v25
	s_delay_alu instid0(VALU_DEP_1) | instskip(SKIP_1) | instid1(VALU_DEP_2)
	v_lshl_add_u32 v25, v6, 1, v6
	v_mov_b32_e32 v26, v4
	v_dual_mov_b32 v28, v4 :: v_dual_add_nc_u32 v29, 2, v25
	v_add_nc_u32_e32 v27, 1, v25
	s_delay_alu instid0(VALU_DEP_3) | instskip(NEXT) | instid1(VALU_DEP_2)
	v_lshlrev_b64 v[6:7], 3, v[25:26]
	v_lshlrev_b64 v[25:26], 3, v[27:28]
	s_delay_alu instid0(VALU_DEP_2) | instskip(NEXT) | instid1(VALU_DEP_3)
	v_add_co_u32 v6, vcc_lo, s10, v6
	v_add_co_ci_u32_e32 v7, vcc_lo, s11, v7, vcc_lo
	s_delay_alu instid0(VALU_DEP_3) | instskip(NEXT) | instid1(VALU_DEP_4)
	v_add_co_u32 v25, vcc_lo, s10, v25
	v_add_co_ci_u32_e32 v26, vcc_lo, s11, v26, vcc_lo
	s_clause 0x1
	global_load_b64 v[6:7], v[6:7], off
	global_load_b64 v[33:34], v[25:26], off
	s_waitcnt vmcnt(1)
	v_dual_mov_b32 v30, v4 :: v_dual_fmac_f32 v15, v17, v6
	s_delay_alu instid0(VALU_DEP_1) | instskip(SKIP_1) | instid1(VALU_DEP_1)
	v_lshlrev_b64 v[27:28], 3, v[29:30]
	v_fmac_f32_e32 v13, v20, v6
	v_dual_fmac_f32 v12, v18, v6 :: v_dual_fmac_f32 v13, v19, v7
	s_delay_alu instid0(VALU_DEP_3) | instskip(NEXT) | instid1(VALU_DEP_4)
	v_add_co_u32 v29, vcc_lo, s10, v27
	v_add_co_ci_u32_e32 v30, vcc_lo, s11, v28, vcc_lo
	global_load_b128 v[25:28], v[31:32], off
	global_load_b64 v[29:30], v[29:30], off
	s_waitcnt vmcnt(2)
	v_dual_fmac_f32 v16, v19, v6 :: v_dual_fmac_f32 v13, v24, v33
	v_fmac_f32_e32 v12, v17, v7
	v_fma_f32 v6, -v18, v7, v15
	s_delay_alu instid0(VALU_DEP_3) | instskip(NEXT) | instid1(VALU_DEP_3)
	v_fma_f32 v15, -v20, v7, v16
	v_dual_fmac_f32 v13, v23, v34 :: v_dual_fmac_f32 v12, v22, v33
	s_delay_alu instid0(VALU_DEP_3) | instskip(NEXT) | instid1(VALU_DEP_2)
	v_fmac_f32_e32 v6, v21, v33
	v_dual_fmac_f32 v15, v23, v33 :: v_dual_fmac_f32 v12, v21, v34
	s_delay_alu instid0(VALU_DEP_2) | instskip(NEXT) | instid1(VALU_DEP_2)
	v_fma_f32 v6, -v22, v34, v6
	v_fma_f32 v7, -v24, v34, v15
	s_waitcnt vmcnt(0)
	s_delay_alu instid0(VALU_DEP_3) | instskip(SKIP_1) | instid1(VALU_DEP_3)
	v_fmac_f32_e32 v12, v26, v29
	v_add_nc_u32_e32 v5, 8, v5
	v_fmac_f32_e32 v7, v27, v29
	v_fmac_f32_e32 v13, v28, v29
	;; [unrolled: 1-line block ×4, first 2 shown]
	v_cmp_ge_i32_e32 vcc_lo, v5, v14
	v_fma_f32 v16, -v28, v30, v7
	v_fmac_f32_e32 v13, v27, v30
	v_fma_f32 v15, -v26, v30, v6
	s_or_b32 s5, vcc_lo, s5
	s_delay_alu instid0(SALU_CYCLE_1)
	s_and_not1_b32 exec_lo, exec_lo, s5
	s_cbranch_execnz .LBB158_12
; %bb.13:
	s_or_b32 exec_lo, exec_lo, s5
.LBB158_14:
	s_delay_alu instid0(SALU_CYCLE_1) | instskip(NEXT) | instid1(SALU_CYCLE_1)
	s_or_b32 exec_lo, exec_lo, s4
	s_and_not1_b32 vcc_lo, exec_lo, s3
	s_cbranch_vccz .LBB158_19
	s_branch .LBB158_24
.LBB158_15:
	v_dual_mov_b32 v1, s4 :: v_dual_mov_b32 v2, s5
	flat_load_b32 v8, v[1:2]
	v_cndmask_b32_e64 v1, 0, 1, s6
	v_mov_b32_e32 v9, s5
	s_and_not1_b32 vcc_lo, exec_lo, s6
	s_cbranch_vccnz .LBB158_2
.LBB158_16:
	v_dual_mov_b32 v2, s4 :: v_dual_mov_b32 v3, s5
	flat_load_b32 v9, v[2:3] offset:4
	v_cmp_ne_u32_e32 vcc_lo, 1, v1
	v_mov_b32_e32 v10, s2
	s_cbranch_vccnz .LBB158_3
.LBB158_17:
	v_dual_mov_b32 v2, s2 :: v_dual_mov_b32 v3, s3
	flat_load_b32 v10, v[2:3]
	v_cmp_ne_u32_e32 vcc_lo, 1, v1
	v_mov_b32_e32 v11, s3
	s_cbranch_vccz .LBB158_4
	s_branch .LBB158_5
.LBB158_18:
                                        ; implicit-def: $vgpr12
                                        ; implicit-def: $vgpr15
                                        ; implicit-def: $vgpr16
                                        ; implicit-def: $vgpr13
.LBB158_19:
	v_dual_mov_b32 v12, 0 :: v_dual_mov_b32 v15, 0
	v_dual_mov_b32 v16, 0 :: v_dual_mov_b32 v13, 0
	s_delay_alu instid0(VALU_DEP_3)
	s_and_saveexec_b32 s3, s2
	s_cbranch_execz .LBB158_23
; %bb.20:
	v_mad_u64_u32 v[4:5], null, v2, 6, 5
	v_dual_mov_b32 v7, 0 :: v_dual_mov_b32 v12, 0
	v_dual_mov_b32 v15, 0 :: v_dual_mov_b32 v16, 0
	v_mov_b32_e32 v13, 0
	s_mov_b32 s2, 0
.LBB158_21:                             ; =>This Inner Loop Header: Depth=1
	v_ashrrev_i32_e32 v3, 31, v2
	v_dual_mov_b32 v22, v7 :: v_dual_add_nc_u32 v17, -2, v4
	v_mov_b32_e32 v18, v7
	s_delay_alu instid0(VALU_DEP_3) | instskip(NEXT) | instid1(VALU_DEP_2)
	v_lshlrev_b64 v[5:6], 2, v[2:3]
	v_lshlrev_b64 v[17:18], 3, v[17:18]
	s_delay_alu instid0(VALU_DEP_2) | instskip(NEXT) | instid1(VALU_DEP_3)
	v_add_co_u32 v5, vcc_lo, s6, v5
	v_add_co_ci_u32_e32 v6, vcc_lo, s7, v6, vcc_lo
	global_load_b32 v3, v[5:6], off
	v_dual_mov_b32 v5, v7 :: v_dual_add_nc_u32 v6, -5, v4
	s_delay_alu instid0(VALU_DEP_1) | instskip(NEXT) | instid1(VALU_DEP_2)
	v_lshlrev_b64 v[19:20], 3, v[6:7]
	v_lshlrev_b64 v[5:6], 3, v[4:5]
	s_delay_alu instid0(VALU_DEP_2) | instskip(NEXT) | instid1(VALU_DEP_3)
	v_add_co_u32 v19, vcc_lo, s8, v19
	v_add_co_ci_u32_e32 v20, vcc_lo, s9, v20, vcc_lo
	v_add_co_u32 v23, vcc_lo, s8, v17
	v_add_co_ci_u32_e32 v24, vcc_lo, s9, v18, vcc_lo
	v_add_co_u32 v5, vcc_lo, s8, v5
	v_add_co_ci_u32_e32 v6, vcc_lo, s9, v6, vcc_lo
	s_clause 0x2
	global_load_b128 v[17:20], v[19:20], off
	global_load_b64 v[23:24], v[23:24], off
	global_load_b64 v[25:26], v[5:6], off
	s_waitcnt vmcnt(3)
	v_subrev_nc_u32_e32 v3, s12, v3
	s_delay_alu instid0(VALU_DEP_1) | instskip(NEXT) | instid1(VALU_DEP_1)
	v_lshl_add_u32 v21, v3, 1, v3
	v_lshlrev_b64 v[27:28], 3, v[21:22]
	s_delay_alu instid0(VALU_DEP_1) | instskip(NEXT) | instid1(VALU_DEP_2)
	v_add_co_u32 v27, vcc_lo, s10, v27
	v_add_co_ci_u32_e32 v28, vcc_lo, s11, v28, vcc_lo
	global_load_b64 v[27:28], v[27:28], off
	v_add_nc_u32_e32 v6, 1, v21
	s_delay_alu instid0(VALU_DEP_1) | instskip(NEXT) | instid1(VALU_DEP_1)
	v_lshlrev_b64 v[29:30], 3, v[6:7]
	v_add_co_u32 v29, vcc_lo, s10, v29
	s_delay_alu instid0(VALU_DEP_2)
	v_add_co_ci_u32_e32 v30, vcc_lo, s11, v30, vcc_lo
	global_load_b64 v[29:30], v[29:30], off
	s_waitcnt vmcnt(1)
	v_fmac_f32_e32 v13, v24, v27
	v_fmac_f32_e32 v15, v17, v27
	;; [unrolled: 1-line block ×3, first 2 shown]
	s_delay_alu instid0(VALU_DEP_3) | instskip(NEXT) | instid1(VALU_DEP_3)
	v_fmac_f32_e32 v13, v23, v28
	v_fma_f32 v3, -v18, v28, v15
	v_add_nc_u32_e32 v6, -1, v4
	s_delay_alu instid0(VALU_DEP_4) | instskip(SKIP_1) | instid1(VALU_DEP_3)
	v_fma_f32 v15, -v24, v28, v16
	s_waitcnt vmcnt(0)
	v_fmac_f32_e32 v3, v19, v29
	s_delay_alu instid0(VALU_DEP_3) | instskip(SKIP_2) | instid1(VALU_DEP_4)
	v_lshlrev_b64 v[31:32], 3, v[6:7]
	v_add_nc_u32_e32 v6, -3, v4
	v_add_nc_u32_e32 v4, 48, v4
	v_fma_f32 v3, -v20, v30, v3
	s_delay_alu instid0(VALU_DEP_3) | instskip(SKIP_3) | instid1(VALU_DEP_3)
	v_lshlrev_b64 v[33:34], 3, v[6:7]
	v_add_nc_u32_e32 v6, 2, v21
	v_add_co_u32 v21, vcc_lo, s8, v31
	v_add_co_ci_u32_e32 v22, vcc_lo, s9, v32, vcc_lo
	v_lshlrev_b64 v[5:6], 3, v[6:7]
	v_add_co_u32 v31, vcc_lo, s8, v33
	global_load_b64 v[21:22], v[21:22], off
	v_add_co_ci_u32_e32 v32, vcc_lo, s9, v34, vcc_lo
	v_add_co_u32 v5, vcc_lo, s10, v5
	v_add_co_ci_u32_e32 v6, vcc_lo, s11, v6, vcc_lo
	global_load_b64 v[31:32], v[31:32], off
	global_load_b64 v[5:6], v[5:6], off
	s_waitcnt vmcnt(2)
	v_fmac_f32_e32 v13, v22, v29
	v_dual_fmac_f32 v12, v18, v27 :: v_dual_fmac_f32 v15, v21, v29
	s_delay_alu instid0(VALU_DEP_2) | instskip(NEXT) | instid1(VALU_DEP_2)
	v_fmac_f32_e32 v13, v21, v30
	v_fmac_f32_e32 v12, v17, v28
	v_add_nc_u32_e32 v2, 8, v2
	s_delay_alu instid0(VALU_DEP_4)
	v_fma_f32 v16, -v22, v30, v15
	s_waitcnt vmcnt(0)
	v_fmac_f32_e32 v3, v31, v5
	v_fmac_f32_e32 v13, v26, v5
	;; [unrolled: 1-line block ×3, first 2 shown]
	v_cmp_ge_i32_e32 vcc_lo, v2, v14
	v_fmac_f32_e32 v16, v25, v5
	v_fma_f32 v15, -v32, v6, v3
	v_fmac_f32_e32 v13, v25, v6
	v_fmac_f32_e32 v12, v19, v30
	s_or_b32 s2, vcc_lo, s2
	v_fma_f32 v16, -v26, v6, v16
	s_delay_alu instid0(VALU_DEP_2) | instskip(NEXT) | instid1(VALU_DEP_1)
	v_fmac_f32_e32 v12, v32, v5
	v_fmac_f32_e32 v12, v31, v6
	s_and_not1_b32 exec_lo, exec_lo, s2
	s_cbranch_execnz .LBB158_21
; %bb.22:
	s_or_b32 exec_lo, exec_lo, s2
.LBB158_23:
	s_delay_alu instid0(SALU_CYCLE_1)
	s_or_b32 exec_lo, exec_lo, s3
.LBB158_24:
	v_mbcnt_lo_u32_b32 v2, -1, 0
	s_delay_alu instid0(VALU_DEP_1) | instskip(SKIP_1) | instid1(VALU_DEP_2)
	v_xor_b32_e32 v3, 4, v2
	v_xor_b32_e32 v7, 2, v2
	v_cmp_gt_i32_e32 vcc_lo, 32, v3
	v_cndmask_b32_e32 v3, v2, v3, vcc_lo
	s_delay_alu instid0(VALU_DEP_3) | instskip(NEXT) | instid1(VALU_DEP_2)
	v_cmp_gt_i32_e32 vcc_lo, 32, v7
	v_lshlrev_b32_e32 v3, 2, v3
	ds_bpermute_b32 v6, v3, v16
	s_waitcnt lgkmcnt(0)
	v_add_f32_e32 v6, v16, v6
	ds_bpermute_b32 v4, v3, v15
	ds_bpermute_b32 v5, v3, v12
	;; [unrolled: 1-line block ×3, first 2 shown]
	s_waitcnt lgkmcnt(2)
	v_dual_add_f32 v4, v15, v4 :: v_dual_cndmask_b32 v7, v2, v7
	v_xor_b32_e32 v15, 1, v2
	s_waitcnt lgkmcnt(0)
	v_add_f32_e32 v3, v13, v3
	s_delay_alu instid0(VALU_DEP_3) | instskip(NEXT) | instid1(VALU_DEP_3)
	v_lshlrev_b32_e32 v7, 2, v7
	v_cmp_gt_i32_e32 vcc_lo, 32, v15
	v_add_f32_e32 v5, v12, v5
	ds_bpermute_b32 v14, v7, v6
	v_cndmask_b32_e32 v2, v2, v15, vcc_lo
	v_cmp_eq_u32_e32 vcc_lo, 7, v0
	s_delay_alu instid0(VALU_DEP_2)
	v_lshlrev_b32_e32 v15, 2, v2
	s_waitcnt lgkmcnt(0)
	v_add_f32_e32 v2, v6, v14
	ds_bpermute_b32 v12, v7, v4
	ds_bpermute_b32 v13, v7, v5
	;; [unrolled: 1-line block ×4, first 2 shown]
	s_waitcnt lgkmcnt(2)
	v_dual_add_f32 v4, v4, v12 :: v_dual_add_f32 v5, v5, v13
	s_waitcnt lgkmcnt(1)
	v_add_f32_e32 v3, v3, v7
	ds_bpermute_b32 v12, v15, v4
	ds_bpermute_b32 v13, v15, v5
	;; [unrolled: 1-line block ×3, first 2 shown]
	s_and_b32 exec_lo, exec_lo, vcc_lo
	s_cbranch_execz .LBB158_29
; %bb.25:
	s_load_b64 s[2:3], s[0:1], 0x38
	v_cmp_eq_f32_e32 vcc_lo, 0, v10
	v_cmp_eq_f32_e64 s0, 0, v11
	s_waitcnt lgkmcnt(0)
	v_dual_add_f32 v0, v4, v12 :: v_dual_add_f32 v3, v3, v7
	v_add_f32_e32 v4, v5, v13
	v_add_f32_e32 v2, v2, v6
	s_and_b32 s0, vcc_lo, s0
	s_delay_alu instid0(SALU_CYCLE_1) | instskip(NEXT) | instid1(SALU_CYCLE_1)
	s_and_saveexec_b32 s1, s0
	s_xor_b32 s0, exec_lo, s1
	s_cbranch_execz .LBB158_27
; %bb.26:
	v_mul_f32_e64 v10, v4, -v9
	v_lshlrev_b32_e32 v5, 1, v1
	v_mul_f32_e32 v11, v4, v8
	v_mul_f32_e64 v12, v3, -v9
	v_mul_f32_e32 v13, v3, v8
	v_fmac_f32_e32 v10, v8, v0
	v_ashrrev_i32_e32 v6, 31, v5
	s_delay_alu instid0(VALU_DEP_4) | instskip(NEXT) | instid1(VALU_DEP_4)
	v_dual_fmac_f32 v11, v9, v0 :: v_dual_fmac_f32 v12, v8, v2
	v_fmac_f32_e32 v13, v9, v2
                                        ; implicit-def: $vgpr8
                                        ; implicit-def: $vgpr9
                                        ; implicit-def: $vgpr2
                                        ; implicit-def: $vgpr3
	s_delay_alu instid0(VALU_DEP_3) | instskip(NEXT) | instid1(VALU_DEP_1)
	v_lshlrev_b64 v[4:5], 3, v[5:6]
	v_add_co_u32 v0, vcc_lo, s2, v4
	s_delay_alu instid0(VALU_DEP_2)
	v_add_co_ci_u32_e32 v1, vcc_lo, s3, v5, vcc_lo
                                        ; implicit-def: $vgpr4
	global_store_b128 v[0:1], v[10:13], off
                                        ; implicit-def: $vgpr10
                                        ; implicit-def: $vgpr11
                                        ; implicit-def: $vgpr1
                                        ; implicit-def: $vgpr0
.LBB158_27:
	s_and_not1_saveexec_b32 s0, s0
	s_cbranch_execz .LBB158_29
; %bb.28:
	v_lshlrev_b32_e32 v5, 1, v1
	v_mul_f32_e64 v7, v4, -v9
	v_mul_f32_e32 v1, v4, v8
	v_mul_f32_e64 v4, v3, -v9
	v_mul_f32_e32 v3, v3, v8
	s_delay_alu instid0(VALU_DEP_4) | instskip(NEXT) | instid1(VALU_DEP_3)
	v_fmac_f32_e32 v7, v8, v0
	v_fmac_f32_e32 v4, v8, v2
	v_ashrrev_i32_e32 v6, 31, v5
	s_delay_alu instid0(VALU_DEP_4) | instskip(NEXT) | instid1(VALU_DEP_2)
	v_fmac_f32_e32 v3, v9, v2
	v_lshlrev_b64 v[5:6], 3, v[5:6]
	s_delay_alu instid0(VALU_DEP_1) | instskip(NEXT) | instid1(VALU_DEP_2)
	v_add_co_u32 v5, vcc_lo, s2, v5
	v_add_co_ci_u32_e32 v6, vcc_lo, s3, v6, vcc_lo
	global_load_b128 v[12:15], v[5:6], off
	s_waitcnt vmcnt(0)
	v_dual_fmac_f32 v4, v10, v14 :: v_dual_fmac_f32 v1, v9, v0
	v_fmac_f32_e32 v7, v10, v12
	v_fmac_f32_e32 v3, v11, v14
	s_delay_alu instid0(VALU_DEP_3) | instskip(NEXT) | instid1(VALU_DEP_4)
	v_fma_f32 v2, -v11, v15, v4
	v_fmac_f32_e32 v1, v11, v12
	s_delay_alu instid0(VALU_DEP_4) | instskip(NEXT) | instid1(VALU_DEP_4)
	v_fma_f32 v0, -v11, v13, v7
	v_fmac_f32_e32 v3, v10, v15
	s_delay_alu instid0(VALU_DEP_3)
	v_fmac_f32_e32 v1, v10, v13
	global_store_b128 v[5:6], v[0:3], off
.LBB158_29:
	s_nop 0
	s_sendmsg sendmsg(MSG_DEALLOC_VGPRS)
	s_endpgm
	.section	.rodata,"a",@progbits
	.p2align	6, 0x0
	.amdhsa_kernel _ZN9rocsparseL19gebsrmvn_2xn_kernelILj128ELj3ELj8E21rocsparse_complex_numIfEEEvi20rocsparse_direction_NS_24const_host_device_scalarIT2_EEPKiS8_PKS5_SA_S6_PS5_21rocsparse_index_base_b
		.amdhsa_group_segment_fixed_size 0
		.amdhsa_private_segment_fixed_size 0
		.amdhsa_kernarg_size 72
		.amdhsa_user_sgpr_count 15
		.amdhsa_user_sgpr_dispatch_ptr 0
		.amdhsa_user_sgpr_queue_ptr 0
		.amdhsa_user_sgpr_kernarg_segment_ptr 1
		.amdhsa_user_sgpr_dispatch_id 0
		.amdhsa_user_sgpr_private_segment_size 0
		.amdhsa_wavefront_size32 1
		.amdhsa_uses_dynamic_stack 0
		.amdhsa_enable_private_segment 0
		.amdhsa_system_sgpr_workgroup_id_x 1
		.amdhsa_system_sgpr_workgroup_id_y 0
		.amdhsa_system_sgpr_workgroup_id_z 0
		.amdhsa_system_sgpr_workgroup_info 0
		.amdhsa_system_vgpr_workitem_id 0
		.amdhsa_next_free_vgpr 35
		.amdhsa_next_free_sgpr 16
		.amdhsa_reserve_vcc 1
		.amdhsa_float_round_mode_32 0
		.amdhsa_float_round_mode_16_64 0
		.amdhsa_float_denorm_mode_32 3
		.amdhsa_float_denorm_mode_16_64 3
		.amdhsa_dx10_clamp 1
		.amdhsa_ieee_mode 1
		.amdhsa_fp16_overflow 0
		.amdhsa_workgroup_processor_mode 1
		.amdhsa_memory_ordered 1
		.amdhsa_forward_progress 0
		.amdhsa_shared_vgpr_count 0
		.amdhsa_exception_fp_ieee_invalid_op 0
		.amdhsa_exception_fp_denorm_src 0
		.amdhsa_exception_fp_ieee_div_zero 0
		.amdhsa_exception_fp_ieee_overflow 0
		.amdhsa_exception_fp_ieee_underflow 0
		.amdhsa_exception_fp_ieee_inexact 0
		.amdhsa_exception_int_div_zero 0
	.end_amdhsa_kernel
	.section	.text._ZN9rocsparseL19gebsrmvn_2xn_kernelILj128ELj3ELj8E21rocsparse_complex_numIfEEEvi20rocsparse_direction_NS_24const_host_device_scalarIT2_EEPKiS8_PKS5_SA_S6_PS5_21rocsparse_index_base_b,"axG",@progbits,_ZN9rocsparseL19gebsrmvn_2xn_kernelILj128ELj3ELj8E21rocsparse_complex_numIfEEEvi20rocsparse_direction_NS_24const_host_device_scalarIT2_EEPKiS8_PKS5_SA_S6_PS5_21rocsparse_index_base_b,comdat
.Lfunc_end158:
	.size	_ZN9rocsparseL19gebsrmvn_2xn_kernelILj128ELj3ELj8E21rocsparse_complex_numIfEEEvi20rocsparse_direction_NS_24const_host_device_scalarIT2_EEPKiS8_PKS5_SA_S6_PS5_21rocsparse_index_base_b, .Lfunc_end158-_ZN9rocsparseL19gebsrmvn_2xn_kernelILj128ELj3ELj8E21rocsparse_complex_numIfEEEvi20rocsparse_direction_NS_24const_host_device_scalarIT2_EEPKiS8_PKS5_SA_S6_PS5_21rocsparse_index_base_b
                                        ; -- End function
	.section	.AMDGPU.csdata,"",@progbits
; Kernel info:
; codeLenInByte = 2144
; NumSgprs: 18
; NumVgprs: 35
; ScratchSize: 0
; MemoryBound: 0
; FloatMode: 240
; IeeeMode: 1
; LDSByteSize: 0 bytes/workgroup (compile time only)
; SGPRBlocks: 2
; VGPRBlocks: 4
; NumSGPRsForWavesPerEU: 18
; NumVGPRsForWavesPerEU: 35
; Occupancy: 16
; WaveLimiterHint : 1
; COMPUTE_PGM_RSRC2:SCRATCH_EN: 0
; COMPUTE_PGM_RSRC2:USER_SGPR: 15
; COMPUTE_PGM_RSRC2:TRAP_HANDLER: 0
; COMPUTE_PGM_RSRC2:TGID_X_EN: 1
; COMPUTE_PGM_RSRC2:TGID_Y_EN: 0
; COMPUTE_PGM_RSRC2:TGID_Z_EN: 0
; COMPUTE_PGM_RSRC2:TIDIG_COMP_CNT: 0
	.section	.text._ZN9rocsparseL19gebsrmvn_2xn_kernelILj128ELj3ELj16E21rocsparse_complex_numIfEEEvi20rocsparse_direction_NS_24const_host_device_scalarIT2_EEPKiS8_PKS5_SA_S6_PS5_21rocsparse_index_base_b,"axG",@progbits,_ZN9rocsparseL19gebsrmvn_2xn_kernelILj128ELj3ELj16E21rocsparse_complex_numIfEEEvi20rocsparse_direction_NS_24const_host_device_scalarIT2_EEPKiS8_PKS5_SA_S6_PS5_21rocsparse_index_base_b,comdat
	.globl	_ZN9rocsparseL19gebsrmvn_2xn_kernelILj128ELj3ELj16E21rocsparse_complex_numIfEEEvi20rocsparse_direction_NS_24const_host_device_scalarIT2_EEPKiS8_PKS5_SA_S6_PS5_21rocsparse_index_base_b ; -- Begin function _ZN9rocsparseL19gebsrmvn_2xn_kernelILj128ELj3ELj16E21rocsparse_complex_numIfEEEvi20rocsparse_direction_NS_24const_host_device_scalarIT2_EEPKiS8_PKS5_SA_S6_PS5_21rocsparse_index_base_b
	.p2align	8
	.type	_ZN9rocsparseL19gebsrmvn_2xn_kernelILj128ELj3ELj16E21rocsparse_complex_numIfEEEvi20rocsparse_direction_NS_24const_host_device_scalarIT2_EEPKiS8_PKS5_SA_S6_PS5_21rocsparse_index_base_b,@function
_ZN9rocsparseL19gebsrmvn_2xn_kernelILj128ELj3ELj16E21rocsparse_complex_numIfEEEvi20rocsparse_direction_NS_24const_host_device_scalarIT2_EEPKiS8_PKS5_SA_S6_PS5_21rocsparse_index_base_b: ; @_ZN9rocsparseL19gebsrmvn_2xn_kernelILj128ELj3ELj16E21rocsparse_complex_numIfEEEvi20rocsparse_direction_NS_24const_host_device_scalarIT2_EEPKiS8_PKS5_SA_S6_PS5_21rocsparse_index_base_b
; %bb.0:
	s_clause 0x2
	s_load_b64 s[12:13], s[0:1], 0x40
	s_load_b64 s[4:5], s[0:1], 0x8
	;; [unrolled: 1-line block ×3, first 2 shown]
	s_waitcnt lgkmcnt(0)
	s_bitcmp1_b32 s13, 0
	v_mov_b32_e32 v8, s4
	s_cselect_b32 s6, -1, 0
	s_delay_alu instid0(SALU_CYCLE_1)
	s_and_b32 vcc_lo, exec_lo, s6
	s_xor_b32 s6, s6, -1
	s_cbranch_vccz .LBB159_15
; %bb.1:
	v_cndmask_b32_e64 v1, 0, 1, s6
	v_mov_b32_e32 v9, s5
	s_and_not1_b32 vcc_lo, exec_lo, s6
	s_cbranch_vccz .LBB159_16
.LBB159_2:
	s_delay_alu instid0(VALU_DEP_2)
	v_cmp_ne_u32_e32 vcc_lo, 1, v1
	v_mov_b32_e32 v10, s2
	s_cbranch_vccz .LBB159_17
.LBB159_3:
	v_cmp_ne_u32_e32 vcc_lo, 1, v1
	v_mov_b32_e32 v11, s3
	s_cbranch_vccnz .LBB159_5
.LBB159_4:
	v_dual_mov_b32 v1, s2 :: v_dual_mov_b32 v2, s3
	flat_load_b32 v11, v[1:2] offset:4
.LBB159_5:
	s_waitcnt vmcnt(0) lgkmcnt(0)
	v_cmp_eq_f32_e32 vcc_lo, 0, v8
	v_cmp_eq_f32_e64 s2, 0, v9
	s_delay_alu instid0(VALU_DEP_1)
	s_and_b32 s4, vcc_lo, s2
	s_mov_b32 s2, -1
	s_and_saveexec_b32 s3, s4
; %bb.6:
	v_cmp_neq_f32_e32 vcc_lo, 1.0, v10
	v_cmp_neq_f32_e64 s2, 0, v11
	s_delay_alu instid0(VALU_DEP_1) | instskip(NEXT) | instid1(SALU_CYCLE_1)
	s_or_b32 s2, vcc_lo, s2
	s_or_not1_b32 s2, s2, exec_lo
; %bb.7:
	s_or_b32 exec_lo, exec_lo, s3
	s_and_saveexec_b32 s3, s2
	s_cbranch_execz .LBB159_29
; %bb.8:
	s_load_b64 s[2:3], s[0:1], 0x0
	v_lshrrev_b32_e32 v1, 4, v0
	s_delay_alu instid0(VALU_DEP_1) | instskip(SKIP_1) | instid1(VALU_DEP_1)
	v_lshl_or_b32 v1, s15, 3, v1
	s_waitcnt lgkmcnt(0)
	v_cmp_gt_i32_e32 vcc_lo, s2, v1
	s_and_b32 exec_lo, exec_lo, vcc_lo
	s_cbranch_execz .LBB159_29
; %bb.9:
	s_load_b256 s[4:11], s[0:1], 0x10
	v_ashrrev_i32_e32 v2, 31, v1
	v_and_b32_e32 v0, 15, v0
	s_cmp_lg_u32 s3, 0
	s_delay_alu instid0(VALU_DEP_2) | instskip(SKIP_1) | instid1(VALU_DEP_1)
	v_lshlrev_b64 v[2:3], 2, v[1:2]
	s_waitcnt lgkmcnt(0)
	v_add_co_u32 v2, vcc_lo, s4, v2
	s_delay_alu instid0(VALU_DEP_2) | instskip(SKIP_4) | instid1(VALU_DEP_2)
	v_add_co_ci_u32_e32 v3, vcc_lo, s5, v3, vcc_lo
	global_load_b64 v[2:3], v[2:3], off
	s_waitcnt vmcnt(0)
	v_subrev_nc_u32_e32 v2, s12, v2
	v_subrev_nc_u32_e32 v14, s12, v3
	v_add_nc_u32_e32 v2, v2, v0
	s_delay_alu instid0(VALU_DEP_1)
	v_cmp_lt_i32_e64 s2, v2, v14
	s_cbranch_scc0 .LBB159_18
; %bb.10:
	v_dual_mov_b32 v12, 0 :: v_dual_mov_b32 v15, 0
	v_dual_mov_b32 v16, 0 :: v_dual_mov_b32 v13, 0
	s_mov_b32 s3, 0
	s_and_saveexec_b32 s4, s2
	s_cbranch_execz .LBB159_14
; %bb.11:
	v_dual_mov_b32 v4, 0 :: v_dual_mov_b32 v5, v2
	v_mul_lo_u32 v3, v2, 6
	s_mov_b32 s5, 0
	s_delay_alu instid0(VALU_DEP_2)
	v_mov_b32_e32 v12, v4
	v_mov_b32_e32 v15, v4
	;; [unrolled: 1-line block ×4, first 2 shown]
.LBB159_12:                             ; =>This Inner Loop Header: Depth=1
	v_ashrrev_i32_e32 v6, 31, v5
	v_dual_mov_b32 v18, v4 :: v_dual_add_nc_u32 v17, 2, v3
	v_dual_mov_b32 v20, v4 :: v_dual_add_nc_u32 v19, 4, v3
	s_delay_alu instid0(VALU_DEP_3) | instskip(NEXT) | instid1(VALU_DEP_3)
	v_lshlrev_b64 v[6:7], 2, v[5:6]
	v_lshlrev_b64 v[21:22], 3, v[17:18]
	s_delay_alu instid0(VALU_DEP_3) | instskip(NEXT) | instid1(VALU_DEP_3)
	v_lshlrev_b64 v[23:24], 3, v[19:20]
	v_add_co_u32 v6, vcc_lo, s6, v6
	s_delay_alu instid0(VALU_DEP_4) | instskip(SKIP_3) | instid1(VALU_DEP_2)
	v_add_co_ci_u32_e32 v7, vcc_lo, s7, v7, vcc_lo
	global_load_b32 v25, v[6:7], off
	v_lshlrev_b64 v[6:7], 3, v[3:4]
	v_add_nc_u32_e32 v3, 0x60, v3
	v_add_co_u32 v6, vcc_lo, s8, v6
	s_delay_alu instid0(VALU_DEP_3)
	v_add_co_ci_u32_e32 v7, vcc_lo, s9, v7, vcc_lo
	global_load_b128 v[17:20], v[6:7], off
	v_add_co_u32 v6, vcc_lo, s8, v21
	v_add_co_ci_u32_e32 v7, vcc_lo, s9, v22, vcc_lo
	v_add_co_u32 v31, vcc_lo, s8, v23
	v_add_co_ci_u32_e32 v32, vcc_lo, s9, v24, vcc_lo
	global_load_b128 v[21:24], v[6:7], off
	s_waitcnt vmcnt(2)
	v_subrev_nc_u32_e32 v6, s12, v25
	s_delay_alu instid0(VALU_DEP_1) | instskip(SKIP_1) | instid1(VALU_DEP_2)
	v_lshl_add_u32 v25, v6, 1, v6
	v_mov_b32_e32 v26, v4
	v_dual_mov_b32 v28, v4 :: v_dual_add_nc_u32 v29, 2, v25
	v_add_nc_u32_e32 v27, 1, v25
	s_delay_alu instid0(VALU_DEP_3) | instskip(NEXT) | instid1(VALU_DEP_2)
	v_lshlrev_b64 v[6:7], 3, v[25:26]
	v_lshlrev_b64 v[25:26], 3, v[27:28]
	s_delay_alu instid0(VALU_DEP_2) | instskip(NEXT) | instid1(VALU_DEP_3)
	v_add_co_u32 v6, vcc_lo, s10, v6
	v_add_co_ci_u32_e32 v7, vcc_lo, s11, v7, vcc_lo
	s_delay_alu instid0(VALU_DEP_3) | instskip(NEXT) | instid1(VALU_DEP_4)
	v_add_co_u32 v25, vcc_lo, s10, v25
	v_add_co_ci_u32_e32 v26, vcc_lo, s11, v26, vcc_lo
	s_clause 0x1
	global_load_b64 v[6:7], v[6:7], off
	global_load_b64 v[33:34], v[25:26], off
	s_waitcnt vmcnt(1)
	v_dual_mov_b32 v30, v4 :: v_dual_fmac_f32 v15, v17, v6
	s_delay_alu instid0(VALU_DEP_1) | instskip(SKIP_1) | instid1(VALU_DEP_1)
	v_lshlrev_b64 v[27:28], 3, v[29:30]
	v_fmac_f32_e32 v13, v20, v6
	v_dual_fmac_f32 v12, v18, v6 :: v_dual_fmac_f32 v13, v19, v7
	s_delay_alu instid0(VALU_DEP_3) | instskip(NEXT) | instid1(VALU_DEP_4)
	v_add_co_u32 v29, vcc_lo, s10, v27
	v_add_co_ci_u32_e32 v30, vcc_lo, s11, v28, vcc_lo
	global_load_b128 v[25:28], v[31:32], off
	global_load_b64 v[29:30], v[29:30], off
	s_waitcnt vmcnt(2)
	v_dual_fmac_f32 v16, v19, v6 :: v_dual_fmac_f32 v13, v24, v33
	v_fmac_f32_e32 v12, v17, v7
	v_fma_f32 v6, -v18, v7, v15
	s_delay_alu instid0(VALU_DEP_3) | instskip(NEXT) | instid1(VALU_DEP_3)
	v_fma_f32 v15, -v20, v7, v16
	v_dual_fmac_f32 v13, v23, v34 :: v_dual_fmac_f32 v12, v22, v33
	s_delay_alu instid0(VALU_DEP_3) | instskip(NEXT) | instid1(VALU_DEP_2)
	v_fmac_f32_e32 v6, v21, v33
	v_dual_fmac_f32 v15, v23, v33 :: v_dual_fmac_f32 v12, v21, v34
	s_delay_alu instid0(VALU_DEP_2) | instskip(NEXT) | instid1(VALU_DEP_2)
	v_fma_f32 v6, -v22, v34, v6
	v_fma_f32 v7, -v24, v34, v15
	s_waitcnt vmcnt(0)
	s_delay_alu instid0(VALU_DEP_3) | instskip(SKIP_1) | instid1(VALU_DEP_3)
	v_fmac_f32_e32 v12, v26, v29
	v_add_nc_u32_e32 v5, 16, v5
	v_fmac_f32_e32 v7, v27, v29
	v_fmac_f32_e32 v13, v28, v29
	;; [unrolled: 1-line block ×4, first 2 shown]
	v_cmp_ge_i32_e32 vcc_lo, v5, v14
	v_fma_f32 v16, -v28, v30, v7
	v_fmac_f32_e32 v13, v27, v30
	v_fma_f32 v15, -v26, v30, v6
	s_or_b32 s5, vcc_lo, s5
	s_delay_alu instid0(SALU_CYCLE_1)
	s_and_not1_b32 exec_lo, exec_lo, s5
	s_cbranch_execnz .LBB159_12
; %bb.13:
	s_or_b32 exec_lo, exec_lo, s5
.LBB159_14:
	s_delay_alu instid0(SALU_CYCLE_1) | instskip(NEXT) | instid1(SALU_CYCLE_1)
	s_or_b32 exec_lo, exec_lo, s4
	s_and_not1_b32 vcc_lo, exec_lo, s3
	s_cbranch_vccz .LBB159_19
	s_branch .LBB159_24
.LBB159_15:
	v_dual_mov_b32 v1, s4 :: v_dual_mov_b32 v2, s5
	flat_load_b32 v8, v[1:2]
	v_cndmask_b32_e64 v1, 0, 1, s6
	v_mov_b32_e32 v9, s5
	s_and_not1_b32 vcc_lo, exec_lo, s6
	s_cbranch_vccnz .LBB159_2
.LBB159_16:
	v_dual_mov_b32 v2, s4 :: v_dual_mov_b32 v3, s5
	flat_load_b32 v9, v[2:3] offset:4
	v_cmp_ne_u32_e32 vcc_lo, 1, v1
	v_mov_b32_e32 v10, s2
	s_cbranch_vccnz .LBB159_3
.LBB159_17:
	v_dual_mov_b32 v2, s2 :: v_dual_mov_b32 v3, s3
	flat_load_b32 v10, v[2:3]
	v_cmp_ne_u32_e32 vcc_lo, 1, v1
	v_mov_b32_e32 v11, s3
	s_cbranch_vccz .LBB159_4
	s_branch .LBB159_5
.LBB159_18:
                                        ; implicit-def: $vgpr12
                                        ; implicit-def: $vgpr15
                                        ; implicit-def: $vgpr16
                                        ; implicit-def: $vgpr13
.LBB159_19:
	v_dual_mov_b32 v12, 0 :: v_dual_mov_b32 v15, 0
	v_dual_mov_b32 v16, 0 :: v_dual_mov_b32 v13, 0
	s_delay_alu instid0(VALU_DEP_3)
	s_and_saveexec_b32 s3, s2
	s_cbranch_execz .LBB159_23
; %bb.20:
	v_mad_u64_u32 v[4:5], null, v2, 6, 5
	v_dual_mov_b32 v7, 0 :: v_dual_mov_b32 v12, 0
	v_dual_mov_b32 v15, 0 :: v_dual_mov_b32 v16, 0
	v_mov_b32_e32 v13, 0
	s_mov_b32 s2, 0
.LBB159_21:                             ; =>This Inner Loop Header: Depth=1
	v_ashrrev_i32_e32 v3, 31, v2
	v_dual_mov_b32 v22, v7 :: v_dual_add_nc_u32 v17, -2, v4
	v_mov_b32_e32 v18, v7
	s_delay_alu instid0(VALU_DEP_3) | instskip(NEXT) | instid1(VALU_DEP_2)
	v_lshlrev_b64 v[5:6], 2, v[2:3]
	v_lshlrev_b64 v[17:18], 3, v[17:18]
	s_delay_alu instid0(VALU_DEP_2) | instskip(NEXT) | instid1(VALU_DEP_3)
	v_add_co_u32 v5, vcc_lo, s6, v5
	v_add_co_ci_u32_e32 v6, vcc_lo, s7, v6, vcc_lo
	global_load_b32 v3, v[5:6], off
	v_dual_mov_b32 v5, v7 :: v_dual_add_nc_u32 v6, -5, v4
	s_delay_alu instid0(VALU_DEP_1) | instskip(NEXT) | instid1(VALU_DEP_2)
	v_lshlrev_b64 v[19:20], 3, v[6:7]
	v_lshlrev_b64 v[5:6], 3, v[4:5]
	s_delay_alu instid0(VALU_DEP_2) | instskip(NEXT) | instid1(VALU_DEP_3)
	v_add_co_u32 v19, vcc_lo, s8, v19
	v_add_co_ci_u32_e32 v20, vcc_lo, s9, v20, vcc_lo
	v_add_co_u32 v23, vcc_lo, s8, v17
	v_add_co_ci_u32_e32 v24, vcc_lo, s9, v18, vcc_lo
	;; [unrolled: 2-line block ×3, first 2 shown]
	s_clause 0x2
	global_load_b128 v[17:20], v[19:20], off
	global_load_b64 v[23:24], v[23:24], off
	global_load_b64 v[25:26], v[5:6], off
	s_waitcnt vmcnt(3)
	v_subrev_nc_u32_e32 v3, s12, v3
	s_delay_alu instid0(VALU_DEP_1) | instskip(NEXT) | instid1(VALU_DEP_1)
	v_lshl_add_u32 v21, v3, 1, v3
	v_lshlrev_b64 v[27:28], 3, v[21:22]
	s_delay_alu instid0(VALU_DEP_1) | instskip(NEXT) | instid1(VALU_DEP_2)
	v_add_co_u32 v27, vcc_lo, s10, v27
	v_add_co_ci_u32_e32 v28, vcc_lo, s11, v28, vcc_lo
	global_load_b64 v[27:28], v[27:28], off
	v_add_nc_u32_e32 v6, 1, v21
	s_delay_alu instid0(VALU_DEP_1) | instskip(NEXT) | instid1(VALU_DEP_1)
	v_lshlrev_b64 v[29:30], 3, v[6:7]
	v_add_co_u32 v29, vcc_lo, s10, v29
	s_delay_alu instid0(VALU_DEP_2)
	v_add_co_ci_u32_e32 v30, vcc_lo, s11, v30, vcc_lo
	global_load_b64 v[29:30], v[29:30], off
	s_waitcnt vmcnt(1)
	v_fmac_f32_e32 v13, v24, v27
	v_fmac_f32_e32 v15, v17, v27
	;; [unrolled: 1-line block ×3, first 2 shown]
	s_delay_alu instid0(VALU_DEP_3) | instskip(NEXT) | instid1(VALU_DEP_3)
	v_fmac_f32_e32 v13, v23, v28
	v_fma_f32 v3, -v18, v28, v15
	v_add_nc_u32_e32 v6, -1, v4
	s_delay_alu instid0(VALU_DEP_4) | instskip(SKIP_1) | instid1(VALU_DEP_3)
	v_fma_f32 v15, -v24, v28, v16
	s_waitcnt vmcnt(0)
	v_fmac_f32_e32 v3, v19, v29
	s_delay_alu instid0(VALU_DEP_3) | instskip(SKIP_2) | instid1(VALU_DEP_4)
	v_lshlrev_b64 v[31:32], 3, v[6:7]
	v_add_nc_u32_e32 v6, -3, v4
	v_add_nc_u32_e32 v4, 0x60, v4
	v_fma_f32 v3, -v20, v30, v3
	s_delay_alu instid0(VALU_DEP_3) | instskip(SKIP_3) | instid1(VALU_DEP_3)
	v_lshlrev_b64 v[33:34], 3, v[6:7]
	v_add_nc_u32_e32 v6, 2, v21
	v_add_co_u32 v21, vcc_lo, s8, v31
	v_add_co_ci_u32_e32 v22, vcc_lo, s9, v32, vcc_lo
	v_lshlrev_b64 v[5:6], 3, v[6:7]
	v_add_co_u32 v31, vcc_lo, s8, v33
	global_load_b64 v[21:22], v[21:22], off
	v_add_co_ci_u32_e32 v32, vcc_lo, s9, v34, vcc_lo
	v_add_co_u32 v5, vcc_lo, s10, v5
	v_add_co_ci_u32_e32 v6, vcc_lo, s11, v6, vcc_lo
	global_load_b64 v[31:32], v[31:32], off
	global_load_b64 v[5:6], v[5:6], off
	s_waitcnt vmcnt(2)
	v_fmac_f32_e32 v13, v22, v29
	v_dual_fmac_f32 v12, v18, v27 :: v_dual_fmac_f32 v15, v21, v29
	s_delay_alu instid0(VALU_DEP_2) | instskip(NEXT) | instid1(VALU_DEP_2)
	v_fmac_f32_e32 v13, v21, v30
	v_fmac_f32_e32 v12, v17, v28
	v_add_nc_u32_e32 v2, 16, v2
	s_delay_alu instid0(VALU_DEP_4)
	v_fma_f32 v16, -v22, v30, v15
	s_waitcnt vmcnt(0)
	v_fmac_f32_e32 v3, v31, v5
	v_fmac_f32_e32 v13, v26, v5
	;; [unrolled: 1-line block ×3, first 2 shown]
	v_cmp_ge_i32_e32 vcc_lo, v2, v14
	v_fmac_f32_e32 v16, v25, v5
	v_fma_f32 v15, -v32, v6, v3
	v_fmac_f32_e32 v13, v25, v6
	v_fmac_f32_e32 v12, v19, v30
	s_or_b32 s2, vcc_lo, s2
	v_fma_f32 v16, -v26, v6, v16
	s_delay_alu instid0(VALU_DEP_2) | instskip(NEXT) | instid1(VALU_DEP_1)
	v_fmac_f32_e32 v12, v32, v5
	v_fmac_f32_e32 v12, v31, v6
	s_and_not1_b32 exec_lo, exec_lo, s2
	s_cbranch_execnz .LBB159_21
; %bb.22:
	s_or_b32 exec_lo, exec_lo, s2
.LBB159_23:
	s_delay_alu instid0(SALU_CYCLE_1)
	s_or_b32 exec_lo, exec_lo, s3
.LBB159_24:
	v_mbcnt_lo_u32_b32 v2, -1, 0
	s_delay_alu instid0(VALU_DEP_1) | instskip(SKIP_1) | instid1(VALU_DEP_2)
	v_xor_b32_e32 v3, 8, v2
	v_xor_b32_e32 v7, 4, v2
	v_cmp_gt_i32_e32 vcc_lo, 32, v3
	v_cndmask_b32_e32 v3, v2, v3, vcc_lo
	s_delay_alu instid0(VALU_DEP_3) | instskip(NEXT) | instid1(VALU_DEP_2)
	v_cmp_gt_i32_e32 vcc_lo, 32, v7
	v_lshlrev_b32_e32 v3, 2, v3
	ds_bpermute_b32 v6, v3, v16
	s_waitcnt lgkmcnt(0)
	v_add_f32_e32 v6, v16, v6
	ds_bpermute_b32 v4, v3, v15
	ds_bpermute_b32 v5, v3, v12
	;; [unrolled: 1-line block ×3, first 2 shown]
	s_waitcnt lgkmcnt(2)
	v_dual_add_f32 v4, v15, v4 :: v_dual_cndmask_b32 v7, v2, v7
	s_waitcnt lgkmcnt(1)
	v_add_f32_e32 v5, v12, v5
	v_xor_b32_e32 v15, 2, v2
	s_delay_alu instid0(VALU_DEP_3) | instskip(NEXT) | instid1(VALU_DEP_2)
	v_lshlrev_b32_e32 v7, 2, v7
	v_cmp_gt_i32_e32 vcc_lo, 32, v15
	ds_bpermute_b32 v14, v7, v6
	v_cndmask_b32_e32 v15, v2, v15, vcc_lo
	s_waitcnt lgkmcnt(0)
	s_delay_alu instid0(VALU_DEP_1)
	v_dual_add_f32 v6, v6, v14 :: v_dual_lshlrev_b32 v15, 2, v15
	v_add_f32_e32 v3, v13, v3
	ds_bpermute_b32 v12, v7, v4
	ds_bpermute_b32 v13, v7, v5
	;; [unrolled: 1-line block ×3, first 2 shown]
	s_waitcnt lgkmcnt(0)
	v_dual_add_f32 v4, v4, v12 :: v_dual_add_f32 v3, v3, v7
	ds_bpermute_b32 v7, v15, v4
	v_add_f32_e32 v5, v5, v13
	ds_bpermute_b32 v13, v15, v6
	ds_bpermute_b32 v14, v15, v3
	s_waitcnt lgkmcnt(2)
	v_add_f32_e32 v4, v4, v7
	ds_bpermute_b32 v12, v15, v5
	v_xor_b32_e32 v15, 1, v2
	s_waitcnt lgkmcnt(1)
	v_add_f32_e32 v3, v3, v14
	s_delay_alu instid0(VALU_DEP_2) | instskip(SKIP_2) | instid1(VALU_DEP_2)
	v_cmp_gt_i32_e32 vcc_lo, 32, v15
	v_cndmask_b32_e32 v2, v2, v15, vcc_lo
	v_cmp_eq_u32_e32 vcc_lo, 15, v0
	v_dual_add_f32 v2, v6, v13 :: v_dual_lshlrev_b32 v15, 2, v2
	s_waitcnt lgkmcnt(0)
	v_add_f32_e32 v5, v5, v12
	ds_bpermute_b32 v12, v15, v4
	ds_bpermute_b32 v6, v15, v2
	;; [unrolled: 1-line block ×4, first 2 shown]
	s_and_b32 exec_lo, exec_lo, vcc_lo
	s_cbranch_execz .LBB159_29
; %bb.25:
	s_load_b64 s[2:3], s[0:1], 0x38
	v_cmp_eq_f32_e32 vcc_lo, 0, v10
	v_cmp_eq_f32_e64 s0, 0, v11
	s_waitcnt lgkmcnt(0)
	v_dual_add_f32 v0, v4, v12 :: v_dual_add_f32 v3, v3, v7
	v_add_f32_e32 v4, v5, v13
	v_add_f32_e32 v2, v2, v6
	s_and_b32 s0, vcc_lo, s0
	s_delay_alu instid0(SALU_CYCLE_1) | instskip(NEXT) | instid1(SALU_CYCLE_1)
	s_and_saveexec_b32 s1, s0
	s_xor_b32 s0, exec_lo, s1
	s_cbranch_execz .LBB159_27
; %bb.26:
	v_mul_f32_e64 v10, v4, -v9
	v_lshlrev_b32_e32 v5, 1, v1
	v_mul_f32_e32 v11, v4, v8
	v_mul_f32_e64 v12, v3, -v9
	v_mul_f32_e32 v13, v3, v8
	v_fmac_f32_e32 v10, v8, v0
	v_ashrrev_i32_e32 v6, 31, v5
	s_delay_alu instid0(VALU_DEP_4) | instskip(NEXT) | instid1(VALU_DEP_4)
	v_dual_fmac_f32 v11, v9, v0 :: v_dual_fmac_f32 v12, v8, v2
	v_fmac_f32_e32 v13, v9, v2
                                        ; implicit-def: $vgpr8
                                        ; implicit-def: $vgpr9
                                        ; implicit-def: $vgpr2
                                        ; implicit-def: $vgpr3
	s_delay_alu instid0(VALU_DEP_3) | instskip(NEXT) | instid1(VALU_DEP_1)
	v_lshlrev_b64 v[4:5], 3, v[5:6]
	v_add_co_u32 v0, vcc_lo, s2, v4
	s_delay_alu instid0(VALU_DEP_2)
	v_add_co_ci_u32_e32 v1, vcc_lo, s3, v5, vcc_lo
                                        ; implicit-def: $vgpr4
	global_store_b128 v[0:1], v[10:13], off
                                        ; implicit-def: $vgpr10
                                        ; implicit-def: $vgpr11
                                        ; implicit-def: $vgpr1
                                        ; implicit-def: $vgpr0
.LBB159_27:
	s_and_not1_saveexec_b32 s0, s0
	s_cbranch_execz .LBB159_29
; %bb.28:
	v_lshlrev_b32_e32 v5, 1, v1
	v_mul_f32_e64 v7, v4, -v9
	v_mul_f32_e32 v1, v4, v8
	v_mul_f32_e64 v4, v3, -v9
	v_mul_f32_e32 v3, v3, v8
	s_delay_alu instid0(VALU_DEP_4) | instskip(NEXT) | instid1(VALU_DEP_3)
	v_fmac_f32_e32 v7, v8, v0
	v_fmac_f32_e32 v4, v8, v2
	v_ashrrev_i32_e32 v6, 31, v5
	s_delay_alu instid0(VALU_DEP_4) | instskip(NEXT) | instid1(VALU_DEP_2)
	v_fmac_f32_e32 v3, v9, v2
	v_lshlrev_b64 v[5:6], 3, v[5:6]
	s_delay_alu instid0(VALU_DEP_1) | instskip(NEXT) | instid1(VALU_DEP_2)
	v_add_co_u32 v5, vcc_lo, s2, v5
	v_add_co_ci_u32_e32 v6, vcc_lo, s3, v6, vcc_lo
	global_load_b128 v[12:15], v[5:6], off
	s_waitcnt vmcnt(0)
	v_dual_fmac_f32 v4, v10, v14 :: v_dual_fmac_f32 v1, v9, v0
	v_fmac_f32_e32 v7, v10, v12
	v_fmac_f32_e32 v3, v11, v14
	s_delay_alu instid0(VALU_DEP_3) | instskip(NEXT) | instid1(VALU_DEP_4)
	v_fma_f32 v2, -v11, v15, v4
	v_fmac_f32_e32 v1, v11, v12
	s_delay_alu instid0(VALU_DEP_4) | instskip(NEXT) | instid1(VALU_DEP_4)
	v_fma_f32 v0, -v11, v13, v7
	v_fmac_f32_e32 v3, v10, v15
	s_delay_alu instid0(VALU_DEP_3)
	v_fmac_f32_e32 v1, v10, v13
	global_store_b128 v[5:6], v[0:3], off
.LBB159_29:
	s_nop 0
	s_sendmsg sendmsg(MSG_DEALLOC_VGPRS)
	s_endpgm
	.section	.rodata,"a",@progbits
	.p2align	6, 0x0
	.amdhsa_kernel _ZN9rocsparseL19gebsrmvn_2xn_kernelILj128ELj3ELj16E21rocsparse_complex_numIfEEEvi20rocsparse_direction_NS_24const_host_device_scalarIT2_EEPKiS8_PKS5_SA_S6_PS5_21rocsparse_index_base_b
		.amdhsa_group_segment_fixed_size 0
		.amdhsa_private_segment_fixed_size 0
		.amdhsa_kernarg_size 72
		.amdhsa_user_sgpr_count 15
		.amdhsa_user_sgpr_dispatch_ptr 0
		.amdhsa_user_sgpr_queue_ptr 0
		.amdhsa_user_sgpr_kernarg_segment_ptr 1
		.amdhsa_user_sgpr_dispatch_id 0
		.amdhsa_user_sgpr_private_segment_size 0
		.amdhsa_wavefront_size32 1
		.amdhsa_uses_dynamic_stack 0
		.amdhsa_enable_private_segment 0
		.amdhsa_system_sgpr_workgroup_id_x 1
		.amdhsa_system_sgpr_workgroup_id_y 0
		.amdhsa_system_sgpr_workgroup_id_z 0
		.amdhsa_system_sgpr_workgroup_info 0
		.amdhsa_system_vgpr_workitem_id 0
		.amdhsa_next_free_vgpr 35
		.amdhsa_next_free_sgpr 16
		.amdhsa_reserve_vcc 1
		.amdhsa_float_round_mode_32 0
		.amdhsa_float_round_mode_16_64 0
		.amdhsa_float_denorm_mode_32 3
		.amdhsa_float_denorm_mode_16_64 3
		.amdhsa_dx10_clamp 1
		.amdhsa_ieee_mode 1
		.amdhsa_fp16_overflow 0
		.amdhsa_workgroup_processor_mode 1
		.amdhsa_memory_ordered 1
		.amdhsa_forward_progress 0
		.amdhsa_shared_vgpr_count 0
		.amdhsa_exception_fp_ieee_invalid_op 0
		.amdhsa_exception_fp_denorm_src 0
		.amdhsa_exception_fp_ieee_div_zero 0
		.amdhsa_exception_fp_ieee_overflow 0
		.amdhsa_exception_fp_ieee_underflow 0
		.amdhsa_exception_fp_ieee_inexact 0
		.amdhsa_exception_int_div_zero 0
	.end_amdhsa_kernel
	.section	.text._ZN9rocsparseL19gebsrmvn_2xn_kernelILj128ELj3ELj16E21rocsparse_complex_numIfEEEvi20rocsparse_direction_NS_24const_host_device_scalarIT2_EEPKiS8_PKS5_SA_S6_PS5_21rocsparse_index_base_b,"axG",@progbits,_ZN9rocsparseL19gebsrmvn_2xn_kernelILj128ELj3ELj16E21rocsparse_complex_numIfEEEvi20rocsparse_direction_NS_24const_host_device_scalarIT2_EEPKiS8_PKS5_SA_S6_PS5_21rocsparse_index_base_b,comdat
.Lfunc_end159:
	.size	_ZN9rocsparseL19gebsrmvn_2xn_kernelILj128ELj3ELj16E21rocsparse_complex_numIfEEEvi20rocsparse_direction_NS_24const_host_device_scalarIT2_EEPKiS8_PKS5_SA_S6_PS5_21rocsparse_index_base_b, .Lfunc_end159-_ZN9rocsparseL19gebsrmvn_2xn_kernelILj128ELj3ELj16E21rocsparse_complex_numIfEEEvi20rocsparse_direction_NS_24const_host_device_scalarIT2_EEPKiS8_PKS5_SA_S6_PS5_21rocsparse_index_base_b
                                        ; -- End function
	.section	.AMDGPU.csdata,"",@progbits
; Kernel info:
; codeLenInByte = 2228
; NumSgprs: 18
; NumVgprs: 35
; ScratchSize: 0
; MemoryBound: 0
; FloatMode: 240
; IeeeMode: 1
; LDSByteSize: 0 bytes/workgroup (compile time only)
; SGPRBlocks: 2
; VGPRBlocks: 4
; NumSGPRsForWavesPerEU: 18
; NumVGPRsForWavesPerEU: 35
; Occupancy: 16
; WaveLimiterHint : 1
; COMPUTE_PGM_RSRC2:SCRATCH_EN: 0
; COMPUTE_PGM_RSRC2:USER_SGPR: 15
; COMPUTE_PGM_RSRC2:TRAP_HANDLER: 0
; COMPUTE_PGM_RSRC2:TGID_X_EN: 1
; COMPUTE_PGM_RSRC2:TGID_Y_EN: 0
; COMPUTE_PGM_RSRC2:TGID_Z_EN: 0
; COMPUTE_PGM_RSRC2:TIDIG_COMP_CNT: 0
	.section	.text._ZN9rocsparseL19gebsrmvn_2xn_kernelILj128ELj3ELj32E21rocsparse_complex_numIfEEEvi20rocsparse_direction_NS_24const_host_device_scalarIT2_EEPKiS8_PKS5_SA_S6_PS5_21rocsparse_index_base_b,"axG",@progbits,_ZN9rocsparseL19gebsrmvn_2xn_kernelILj128ELj3ELj32E21rocsparse_complex_numIfEEEvi20rocsparse_direction_NS_24const_host_device_scalarIT2_EEPKiS8_PKS5_SA_S6_PS5_21rocsparse_index_base_b,comdat
	.globl	_ZN9rocsparseL19gebsrmvn_2xn_kernelILj128ELj3ELj32E21rocsparse_complex_numIfEEEvi20rocsparse_direction_NS_24const_host_device_scalarIT2_EEPKiS8_PKS5_SA_S6_PS5_21rocsparse_index_base_b ; -- Begin function _ZN9rocsparseL19gebsrmvn_2xn_kernelILj128ELj3ELj32E21rocsparse_complex_numIfEEEvi20rocsparse_direction_NS_24const_host_device_scalarIT2_EEPKiS8_PKS5_SA_S6_PS5_21rocsparse_index_base_b
	.p2align	8
	.type	_ZN9rocsparseL19gebsrmvn_2xn_kernelILj128ELj3ELj32E21rocsparse_complex_numIfEEEvi20rocsparse_direction_NS_24const_host_device_scalarIT2_EEPKiS8_PKS5_SA_S6_PS5_21rocsparse_index_base_b,@function
_ZN9rocsparseL19gebsrmvn_2xn_kernelILj128ELj3ELj32E21rocsparse_complex_numIfEEEvi20rocsparse_direction_NS_24const_host_device_scalarIT2_EEPKiS8_PKS5_SA_S6_PS5_21rocsparse_index_base_b: ; @_ZN9rocsparseL19gebsrmvn_2xn_kernelILj128ELj3ELj32E21rocsparse_complex_numIfEEEvi20rocsparse_direction_NS_24const_host_device_scalarIT2_EEPKiS8_PKS5_SA_S6_PS5_21rocsparse_index_base_b
; %bb.0:
	s_clause 0x2
	s_load_b64 s[12:13], s[0:1], 0x40
	s_load_b64 s[4:5], s[0:1], 0x8
	;; [unrolled: 1-line block ×3, first 2 shown]
	s_waitcnt lgkmcnt(0)
	s_bitcmp1_b32 s13, 0
	v_mov_b32_e32 v8, s4
	s_cselect_b32 s6, -1, 0
	s_delay_alu instid0(SALU_CYCLE_1)
	s_and_b32 vcc_lo, exec_lo, s6
	s_xor_b32 s6, s6, -1
	s_cbranch_vccz .LBB160_15
; %bb.1:
	v_cndmask_b32_e64 v1, 0, 1, s6
	v_mov_b32_e32 v9, s5
	s_and_not1_b32 vcc_lo, exec_lo, s6
	s_cbranch_vccz .LBB160_16
.LBB160_2:
	s_delay_alu instid0(VALU_DEP_2)
	v_cmp_ne_u32_e32 vcc_lo, 1, v1
	v_mov_b32_e32 v10, s2
	s_cbranch_vccz .LBB160_17
.LBB160_3:
	v_cmp_ne_u32_e32 vcc_lo, 1, v1
	v_mov_b32_e32 v11, s3
	s_cbranch_vccnz .LBB160_5
.LBB160_4:
	v_dual_mov_b32 v1, s2 :: v_dual_mov_b32 v2, s3
	flat_load_b32 v11, v[1:2] offset:4
.LBB160_5:
	s_waitcnt vmcnt(0) lgkmcnt(0)
	v_cmp_eq_f32_e32 vcc_lo, 0, v8
	v_cmp_eq_f32_e64 s2, 0, v9
	s_delay_alu instid0(VALU_DEP_1)
	s_and_b32 s4, vcc_lo, s2
	s_mov_b32 s2, -1
	s_and_saveexec_b32 s3, s4
; %bb.6:
	v_cmp_neq_f32_e32 vcc_lo, 1.0, v10
	v_cmp_neq_f32_e64 s2, 0, v11
	s_delay_alu instid0(VALU_DEP_1) | instskip(NEXT) | instid1(SALU_CYCLE_1)
	s_or_b32 s2, vcc_lo, s2
	s_or_not1_b32 s2, s2, exec_lo
; %bb.7:
	s_or_b32 exec_lo, exec_lo, s3
	s_and_saveexec_b32 s3, s2
	s_cbranch_execz .LBB160_29
; %bb.8:
	s_load_b64 s[2:3], s[0:1], 0x0
	v_lshrrev_b32_e32 v1, 5, v0
	s_delay_alu instid0(VALU_DEP_1) | instskip(SKIP_1) | instid1(VALU_DEP_1)
	v_lshl_or_b32 v1, s15, 2, v1
	s_waitcnt lgkmcnt(0)
	v_cmp_gt_i32_e32 vcc_lo, s2, v1
	s_and_b32 exec_lo, exec_lo, vcc_lo
	s_cbranch_execz .LBB160_29
; %bb.9:
	s_load_b256 s[4:11], s[0:1], 0x10
	v_ashrrev_i32_e32 v2, 31, v1
	v_and_b32_e32 v0, 31, v0
	s_cmp_lg_u32 s3, 0
	s_delay_alu instid0(VALU_DEP_2) | instskip(SKIP_1) | instid1(VALU_DEP_1)
	v_lshlrev_b64 v[2:3], 2, v[1:2]
	s_waitcnt lgkmcnt(0)
	v_add_co_u32 v2, vcc_lo, s4, v2
	s_delay_alu instid0(VALU_DEP_2) | instskip(SKIP_4) | instid1(VALU_DEP_2)
	v_add_co_ci_u32_e32 v3, vcc_lo, s5, v3, vcc_lo
	global_load_b64 v[2:3], v[2:3], off
	s_waitcnt vmcnt(0)
	v_subrev_nc_u32_e32 v2, s12, v2
	v_subrev_nc_u32_e32 v14, s12, v3
	v_add_nc_u32_e32 v2, v2, v0
	s_delay_alu instid0(VALU_DEP_1)
	v_cmp_lt_i32_e64 s2, v2, v14
	s_cbranch_scc0 .LBB160_18
; %bb.10:
	v_dual_mov_b32 v12, 0 :: v_dual_mov_b32 v15, 0
	v_dual_mov_b32 v16, 0 :: v_dual_mov_b32 v13, 0
	s_mov_b32 s3, 0
	s_and_saveexec_b32 s4, s2
	s_cbranch_execz .LBB160_14
; %bb.11:
	v_dual_mov_b32 v4, 0 :: v_dual_mov_b32 v5, v2
	v_mul_lo_u32 v3, v2, 6
	s_mov_b32 s5, 0
	s_delay_alu instid0(VALU_DEP_2)
	v_mov_b32_e32 v12, v4
	v_mov_b32_e32 v15, v4
	;; [unrolled: 1-line block ×4, first 2 shown]
.LBB160_12:                             ; =>This Inner Loop Header: Depth=1
	v_ashrrev_i32_e32 v6, 31, v5
	v_dual_mov_b32 v18, v4 :: v_dual_add_nc_u32 v17, 2, v3
	v_dual_mov_b32 v20, v4 :: v_dual_add_nc_u32 v19, 4, v3
	s_delay_alu instid0(VALU_DEP_3) | instskip(NEXT) | instid1(VALU_DEP_3)
	v_lshlrev_b64 v[6:7], 2, v[5:6]
	v_lshlrev_b64 v[21:22], 3, v[17:18]
	s_delay_alu instid0(VALU_DEP_3) | instskip(NEXT) | instid1(VALU_DEP_3)
	v_lshlrev_b64 v[23:24], 3, v[19:20]
	v_add_co_u32 v6, vcc_lo, s6, v6
	s_delay_alu instid0(VALU_DEP_4) | instskip(SKIP_3) | instid1(VALU_DEP_2)
	v_add_co_ci_u32_e32 v7, vcc_lo, s7, v7, vcc_lo
	global_load_b32 v25, v[6:7], off
	v_lshlrev_b64 v[6:7], 3, v[3:4]
	v_add_nc_u32_e32 v3, 0xc0, v3
	v_add_co_u32 v6, vcc_lo, s8, v6
	s_delay_alu instid0(VALU_DEP_3)
	v_add_co_ci_u32_e32 v7, vcc_lo, s9, v7, vcc_lo
	global_load_b128 v[17:20], v[6:7], off
	v_add_co_u32 v6, vcc_lo, s8, v21
	v_add_co_ci_u32_e32 v7, vcc_lo, s9, v22, vcc_lo
	v_add_co_u32 v31, vcc_lo, s8, v23
	v_add_co_ci_u32_e32 v32, vcc_lo, s9, v24, vcc_lo
	global_load_b128 v[21:24], v[6:7], off
	s_waitcnt vmcnt(2)
	v_subrev_nc_u32_e32 v6, s12, v25
	s_delay_alu instid0(VALU_DEP_1) | instskip(SKIP_1) | instid1(VALU_DEP_2)
	v_lshl_add_u32 v25, v6, 1, v6
	v_mov_b32_e32 v26, v4
	v_dual_mov_b32 v28, v4 :: v_dual_add_nc_u32 v29, 2, v25
	v_add_nc_u32_e32 v27, 1, v25
	s_delay_alu instid0(VALU_DEP_3) | instskip(NEXT) | instid1(VALU_DEP_2)
	v_lshlrev_b64 v[6:7], 3, v[25:26]
	v_lshlrev_b64 v[25:26], 3, v[27:28]
	s_delay_alu instid0(VALU_DEP_2) | instskip(NEXT) | instid1(VALU_DEP_3)
	v_add_co_u32 v6, vcc_lo, s10, v6
	v_add_co_ci_u32_e32 v7, vcc_lo, s11, v7, vcc_lo
	s_delay_alu instid0(VALU_DEP_3) | instskip(NEXT) | instid1(VALU_DEP_4)
	v_add_co_u32 v25, vcc_lo, s10, v25
	v_add_co_ci_u32_e32 v26, vcc_lo, s11, v26, vcc_lo
	s_clause 0x1
	global_load_b64 v[6:7], v[6:7], off
	global_load_b64 v[33:34], v[25:26], off
	s_waitcnt vmcnt(1)
	v_dual_mov_b32 v30, v4 :: v_dual_fmac_f32 v15, v17, v6
	s_delay_alu instid0(VALU_DEP_1) | instskip(SKIP_1) | instid1(VALU_DEP_1)
	v_lshlrev_b64 v[27:28], 3, v[29:30]
	v_fmac_f32_e32 v13, v20, v6
	v_dual_fmac_f32 v12, v18, v6 :: v_dual_fmac_f32 v13, v19, v7
	s_delay_alu instid0(VALU_DEP_3) | instskip(NEXT) | instid1(VALU_DEP_4)
	v_add_co_u32 v29, vcc_lo, s10, v27
	v_add_co_ci_u32_e32 v30, vcc_lo, s11, v28, vcc_lo
	global_load_b128 v[25:28], v[31:32], off
	global_load_b64 v[29:30], v[29:30], off
	s_waitcnt vmcnt(2)
	v_dual_fmac_f32 v16, v19, v6 :: v_dual_fmac_f32 v13, v24, v33
	v_fmac_f32_e32 v12, v17, v7
	v_fma_f32 v6, -v18, v7, v15
	s_delay_alu instid0(VALU_DEP_3) | instskip(NEXT) | instid1(VALU_DEP_3)
	v_fma_f32 v15, -v20, v7, v16
	v_dual_fmac_f32 v13, v23, v34 :: v_dual_fmac_f32 v12, v22, v33
	s_delay_alu instid0(VALU_DEP_3) | instskip(NEXT) | instid1(VALU_DEP_2)
	v_fmac_f32_e32 v6, v21, v33
	v_dual_fmac_f32 v15, v23, v33 :: v_dual_fmac_f32 v12, v21, v34
	s_delay_alu instid0(VALU_DEP_2) | instskip(NEXT) | instid1(VALU_DEP_2)
	v_fma_f32 v6, -v22, v34, v6
	v_fma_f32 v7, -v24, v34, v15
	s_waitcnt vmcnt(0)
	s_delay_alu instid0(VALU_DEP_3) | instskip(SKIP_1) | instid1(VALU_DEP_3)
	v_fmac_f32_e32 v12, v26, v29
	v_add_nc_u32_e32 v5, 32, v5
	v_fmac_f32_e32 v7, v27, v29
	v_fmac_f32_e32 v13, v28, v29
	;; [unrolled: 1-line block ×4, first 2 shown]
	v_cmp_ge_i32_e32 vcc_lo, v5, v14
	v_fma_f32 v16, -v28, v30, v7
	v_fmac_f32_e32 v13, v27, v30
	v_fma_f32 v15, -v26, v30, v6
	s_or_b32 s5, vcc_lo, s5
	s_delay_alu instid0(SALU_CYCLE_1)
	s_and_not1_b32 exec_lo, exec_lo, s5
	s_cbranch_execnz .LBB160_12
; %bb.13:
	s_or_b32 exec_lo, exec_lo, s5
.LBB160_14:
	s_delay_alu instid0(SALU_CYCLE_1) | instskip(NEXT) | instid1(SALU_CYCLE_1)
	s_or_b32 exec_lo, exec_lo, s4
	s_and_not1_b32 vcc_lo, exec_lo, s3
	s_cbranch_vccz .LBB160_19
	s_branch .LBB160_24
.LBB160_15:
	v_dual_mov_b32 v1, s4 :: v_dual_mov_b32 v2, s5
	flat_load_b32 v8, v[1:2]
	v_cndmask_b32_e64 v1, 0, 1, s6
	v_mov_b32_e32 v9, s5
	s_and_not1_b32 vcc_lo, exec_lo, s6
	s_cbranch_vccnz .LBB160_2
.LBB160_16:
	v_dual_mov_b32 v2, s4 :: v_dual_mov_b32 v3, s5
	flat_load_b32 v9, v[2:3] offset:4
	v_cmp_ne_u32_e32 vcc_lo, 1, v1
	v_mov_b32_e32 v10, s2
	s_cbranch_vccnz .LBB160_3
.LBB160_17:
	v_dual_mov_b32 v2, s2 :: v_dual_mov_b32 v3, s3
	flat_load_b32 v10, v[2:3]
	v_cmp_ne_u32_e32 vcc_lo, 1, v1
	v_mov_b32_e32 v11, s3
	s_cbranch_vccz .LBB160_4
	s_branch .LBB160_5
.LBB160_18:
                                        ; implicit-def: $vgpr12
                                        ; implicit-def: $vgpr15
                                        ; implicit-def: $vgpr16
                                        ; implicit-def: $vgpr13
.LBB160_19:
	v_dual_mov_b32 v12, 0 :: v_dual_mov_b32 v15, 0
	v_dual_mov_b32 v16, 0 :: v_dual_mov_b32 v13, 0
	s_delay_alu instid0(VALU_DEP_3)
	s_and_saveexec_b32 s3, s2
	s_cbranch_execz .LBB160_23
; %bb.20:
	v_mad_u64_u32 v[4:5], null, v2, 6, 5
	v_dual_mov_b32 v7, 0 :: v_dual_mov_b32 v12, 0
	v_dual_mov_b32 v15, 0 :: v_dual_mov_b32 v16, 0
	v_mov_b32_e32 v13, 0
	s_mov_b32 s2, 0
.LBB160_21:                             ; =>This Inner Loop Header: Depth=1
	v_ashrrev_i32_e32 v3, 31, v2
	v_dual_mov_b32 v22, v7 :: v_dual_add_nc_u32 v17, -2, v4
	v_mov_b32_e32 v18, v7
	s_delay_alu instid0(VALU_DEP_3) | instskip(NEXT) | instid1(VALU_DEP_2)
	v_lshlrev_b64 v[5:6], 2, v[2:3]
	v_lshlrev_b64 v[17:18], 3, v[17:18]
	s_delay_alu instid0(VALU_DEP_2) | instskip(NEXT) | instid1(VALU_DEP_3)
	v_add_co_u32 v5, vcc_lo, s6, v5
	v_add_co_ci_u32_e32 v6, vcc_lo, s7, v6, vcc_lo
	global_load_b32 v3, v[5:6], off
	v_dual_mov_b32 v5, v7 :: v_dual_add_nc_u32 v6, -5, v4
	s_delay_alu instid0(VALU_DEP_1) | instskip(NEXT) | instid1(VALU_DEP_2)
	v_lshlrev_b64 v[19:20], 3, v[6:7]
	v_lshlrev_b64 v[5:6], 3, v[4:5]
	s_delay_alu instid0(VALU_DEP_2) | instskip(NEXT) | instid1(VALU_DEP_3)
	v_add_co_u32 v19, vcc_lo, s8, v19
	v_add_co_ci_u32_e32 v20, vcc_lo, s9, v20, vcc_lo
	v_add_co_u32 v23, vcc_lo, s8, v17
	v_add_co_ci_u32_e32 v24, vcc_lo, s9, v18, vcc_lo
	;; [unrolled: 2-line block ×3, first 2 shown]
	s_clause 0x2
	global_load_b128 v[17:20], v[19:20], off
	global_load_b64 v[23:24], v[23:24], off
	global_load_b64 v[25:26], v[5:6], off
	s_waitcnt vmcnt(3)
	v_subrev_nc_u32_e32 v3, s12, v3
	s_delay_alu instid0(VALU_DEP_1) | instskip(NEXT) | instid1(VALU_DEP_1)
	v_lshl_add_u32 v21, v3, 1, v3
	v_lshlrev_b64 v[27:28], 3, v[21:22]
	s_delay_alu instid0(VALU_DEP_1) | instskip(NEXT) | instid1(VALU_DEP_2)
	v_add_co_u32 v27, vcc_lo, s10, v27
	v_add_co_ci_u32_e32 v28, vcc_lo, s11, v28, vcc_lo
	global_load_b64 v[27:28], v[27:28], off
	v_add_nc_u32_e32 v6, 1, v21
	s_delay_alu instid0(VALU_DEP_1) | instskip(NEXT) | instid1(VALU_DEP_1)
	v_lshlrev_b64 v[29:30], 3, v[6:7]
	v_add_co_u32 v29, vcc_lo, s10, v29
	s_delay_alu instid0(VALU_DEP_2)
	v_add_co_ci_u32_e32 v30, vcc_lo, s11, v30, vcc_lo
	global_load_b64 v[29:30], v[29:30], off
	s_waitcnt vmcnt(1)
	v_fmac_f32_e32 v13, v24, v27
	v_fmac_f32_e32 v15, v17, v27
	;; [unrolled: 1-line block ×3, first 2 shown]
	s_delay_alu instid0(VALU_DEP_3) | instskip(NEXT) | instid1(VALU_DEP_3)
	v_fmac_f32_e32 v13, v23, v28
	v_fma_f32 v3, -v18, v28, v15
	v_add_nc_u32_e32 v6, -1, v4
	s_delay_alu instid0(VALU_DEP_4) | instskip(SKIP_1) | instid1(VALU_DEP_3)
	v_fma_f32 v15, -v24, v28, v16
	s_waitcnt vmcnt(0)
	v_fmac_f32_e32 v3, v19, v29
	s_delay_alu instid0(VALU_DEP_3) | instskip(SKIP_2) | instid1(VALU_DEP_4)
	v_lshlrev_b64 v[31:32], 3, v[6:7]
	v_add_nc_u32_e32 v6, -3, v4
	v_add_nc_u32_e32 v4, 0xc0, v4
	v_fma_f32 v3, -v20, v30, v3
	s_delay_alu instid0(VALU_DEP_3) | instskip(SKIP_3) | instid1(VALU_DEP_3)
	v_lshlrev_b64 v[33:34], 3, v[6:7]
	v_add_nc_u32_e32 v6, 2, v21
	v_add_co_u32 v21, vcc_lo, s8, v31
	v_add_co_ci_u32_e32 v22, vcc_lo, s9, v32, vcc_lo
	v_lshlrev_b64 v[5:6], 3, v[6:7]
	v_add_co_u32 v31, vcc_lo, s8, v33
	global_load_b64 v[21:22], v[21:22], off
	v_add_co_ci_u32_e32 v32, vcc_lo, s9, v34, vcc_lo
	v_add_co_u32 v5, vcc_lo, s10, v5
	v_add_co_ci_u32_e32 v6, vcc_lo, s11, v6, vcc_lo
	global_load_b64 v[31:32], v[31:32], off
	global_load_b64 v[5:6], v[5:6], off
	s_waitcnt vmcnt(2)
	v_fmac_f32_e32 v13, v22, v29
	v_dual_fmac_f32 v12, v18, v27 :: v_dual_fmac_f32 v15, v21, v29
	s_delay_alu instid0(VALU_DEP_2) | instskip(NEXT) | instid1(VALU_DEP_2)
	v_fmac_f32_e32 v13, v21, v30
	v_fmac_f32_e32 v12, v17, v28
	v_add_nc_u32_e32 v2, 32, v2
	s_delay_alu instid0(VALU_DEP_4)
	v_fma_f32 v16, -v22, v30, v15
	s_waitcnt vmcnt(0)
	v_fmac_f32_e32 v3, v31, v5
	v_fmac_f32_e32 v13, v26, v5
	;; [unrolled: 1-line block ×3, first 2 shown]
	v_cmp_ge_i32_e32 vcc_lo, v2, v14
	v_fmac_f32_e32 v16, v25, v5
	v_fma_f32 v15, -v32, v6, v3
	v_fmac_f32_e32 v13, v25, v6
	v_fmac_f32_e32 v12, v19, v30
	s_or_b32 s2, vcc_lo, s2
	v_fma_f32 v16, -v26, v6, v16
	s_delay_alu instid0(VALU_DEP_2) | instskip(NEXT) | instid1(VALU_DEP_1)
	v_fmac_f32_e32 v12, v32, v5
	v_fmac_f32_e32 v12, v31, v6
	s_and_not1_b32 exec_lo, exec_lo, s2
	s_cbranch_execnz .LBB160_21
; %bb.22:
	s_or_b32 exec_lo, exec_lo, s2
.LBB160_23:
	s_delay_alu instid0(SALU_CYCLE_1)
	s_or_b32 exec_lo, exec_lo, s3
.LBB160_24:
	v_mbcnt_lo_u32_b32 v2, -1, 0
	s_delay_alu instid0(VALU_DEP_1) | instskip(SKIP_1) | instid1(VALU_DEP_2)
	v_xor_b32_e32 v3, 16, v2
	v_xor_b32_e32 v7, 8, v2
	v_cmp_gt_i32_e32 vcc_lo, 32, v3
	v_cndmask_b32_e32 v3, v2, v3, vcc_lo
	s_delay_alu instid0(VALU_DEP_3) | instskip(NEXT) | instid1(VALU_DEP_2)
	v_cmp_gt_i32_e32 vcc_lo, 32, v7
	v_lshlrev_b32_e32 v3, 2, v3
	ds_bpermute_b32 v6, v3, v16
	s_waitcnt lgkmcnt(0)
	v_add_f32_e32 v6, v16, v6
	ds_bpermute_b32 v4, v3, v15
	ds_bpermute_b32 v5, v3, v12
	;; [unrolled: 1-line block ×3, first 2 shown]
	s_waitcnt lgkmcnt(2)
	v_dual_add_f32 v4, v15, v4 :: v_dual_cndmask_b32 v7, v2, v7
	s_waitcnt lgkmcnt(1)
	v_add_f32_e32 v5, v12, v5
	v_xor_b32_e32 v15, 4, v2
	s_delay_alu instid0(VALU_DEP_3) | instskip(NEXT) | instid1(VALU_DEP_2)
	v_lshlrev_b32_e32 v7, 2, v7
	v_cmp_gt_i32_e32 vcc_lo, 32, v15
	ds_bpermute_b32 v14, v7, v6
	v_cndmask_b32_e32 v15, v2, v15, vcc_lo
	s_waitcnt lgkmcnt(0)
	s_delay_alu instid0(VALU_DEP_1)
	v_dual_add_f32 v6, v6, v14 :: v_dual_lshlrev_b32 v15, 2, v15
	v_add_f32_e32 v3, v13, v3
	ds_bpermute_b32 v12, v7, v4
	ds_bpermute_b32 v13, v7, v5
	s_waitcnt lgkmcnt(0)
	v_dual_add_f32 v4, v4, v12 :: v_dual_add_f32 v5, v5, v13
	ds_bpermute_b32 v13, v15, v6
	s_waitcnt lgkmcnt(0)
	v_add_f32_e32 v6, v6, v13
	ds_bpermute_b32 v7, v7, v3
	s_waitcnt lgkmcnt(0)
	v_add_f32_e32 v3, v3, v7
	ds_bpermute_b32 v7, v15, v4
	ds_bpermute_b32 v14, v15, v3
	s_waitcnt lgkmcnt(1)
	v_add_f32_e32 v4, v4, v7
	ds_bpermute_b32 v12, v15, v5
	v_xor_b32_e32 v15, 2, v2
	s_waitcnt lgkmcnt(1)
	v_add_f32_e32 v3, v3, v14
	s_delay_alu instid0(VALU_DEP_2) | instskip(SKIP_1) | instid1(VALU_DEP_1)
	v_cmp_gt_i32_e32 vcc_lo, 32, v15
	v_cndmask_b32_e32 v15, v2, v15, vcc_lo
	v_lshlrev_b32_e32 v15, 2, v15
	ds_bpermute_b32 v7, v15, v4
	s_waitcnt lgkmcnt(1)
	v_add_f32_e32 v5, v5, v12
	ds_bpermute_b32 v13, v15, v6
	ds_bpermute_b32 v14, v15, v3
	s_waitcnt lgkmcnt(2)
	v_add_f32_e32 v4, v4, v7
	ds_bpermute_b32 v12, v15, v5
	v_xor_b32_e32 v15, 1, v2
	s_waitcnt lgkmcnt(1)
	v_add_f32_e32 v3, v3, v14
	s_delay_alu instid0(VALU_DEP_2) | instskip(SKIP_2) | instid1(VALU_DEP_2)
	v_cmp_gt_i32_e32 vcc_lo, 32, v15
	v_cndmask_b32_e32 v2, v2, v15, vcc_lo
	v_cmp_eq_u32_e32 vcc_lo, 31, v0
	v_dual_add_f32 v2, v6, v13 :: v_dual_lshlrev_b32 v15, 2, v2
	s_waitcnt lgkmcnt(0)
	v_add_f32_e32 v5, v5, v12
	ds_bpermute_b32 v12, v15, v4
	ds_bpermute_b32 v6, v15, v2
	;; [unrolled: 1-line block ×4, first 2 shown]
	s_and_b32 exec_lo, exec_lo, vcc_lo
	s_cbranch_execz .LBB160_29
; %bb.25:
	s_load_b64 s[2:3], s[0:1], 0x38
	v_cmp_eq_f32_e32 vcc_lo, 0, v10
	v_cmp_eq_f32_e64 s0, 0, v11
	s_waitcnt lgkmcnt(0)
	v_dual_add_f32 v0, v4, v12 :: v_dual_add_f32 v3, v3, v7
	v_add_f32_e32 v4, v5, v13
	v_add_f32_e32 v2, v2, v6
	s_and_b32 s0, vcc_lo, s0
	s_delay_alu instid0(SALU_CYCLE_1) | instskip(NEXT) | instid1(SALU_CYCLE_1)
	s_and_saveexec_b32 s1, s0
	s_xor_b32 s0, exec_lo, s1
	s_cbranch_execz .LBB160_27
; %bb.26:
	v_mul_f32_e64 v10, v4, -v9
	v_lshlrev_b32_e32 v5, 1, v1
	v_mul_f32_e32 v11, v4, v8
	v_mul_f32_e64 v12, v3, -v9
	v_mul_f32_e32 v13, v3, v8
	v_fmac_f32_e32 v10, v8, v0
	v_ashrrev_i32_e32 v6, 31, v5
	s_delay_alu instid0(VALU_DEP_4) | instskip(NEXT) | instid1(VALU_DEP_4)
	v_dual_fmac_f32 v11, v9, v0 :: v_dual_fmac_f32 v12, v8, v2
	v_fmac_f32_e32 v13, v9, v2
                                        ; implicit-def: $vgpr8
                                        ; implicit-def: $vgpr9
                                        ; implicit-def: $vgpr2
                                        ; implicit-def: $vgpr3
	s_delay_alu instid0(VALU_DEP_3) | instskip(NEXT) | instid1(VALU_DEP_1)
	v_lshlrev_b64 v[4:5], 3, v[5:6]
	v_add_co_u32 v0, vcc_lo, s2, v4
	s_delay_alu instid0(VALU_DEP_2)
	v_add_co_ci_u32_e32 v1, vcc_lo, s3, v5, vcc_lo
                                        ; implicit-def: $vgpr4
	global_store_b128 v[0:1], v[10:13], off
                                        ; implicit-def: $vgpr10
                                        ; implicit-def: $vgpr11
                                        ; implicit-def: $vgpr1
                                        ; implicit-def: $vgpr0
.LBB160_27:
	s_and_not1_saveexec_b32 s0, s0
	s_cbranch_execz .LBB160_29
; %bb.28:
	v_lshlrev_b32_e32 v5, 1, v1
	v_mul_f32_e64 v7, v4, -v9
	v_mul_f32_e32 v1, v4, v8
	v_mul_f32_e64 v4, v3, -v9
	v_mul_f32_e32 v3, v3, v8
	s_delay_alu instid0(VALU_DEP_4) | instskip(NEXT) | instid1(VALU_DEP_3)
	v_fmac_f32_e32 v7, v8, v0
	v_fmac_f32_e32 v4, v8, v2
	v_ashrrev_i32_e32 v6, 31, v5
	s_delay_alu instid0(VALU_DEP_4) | instskip(NEXT) | instid1(VALU_DEP_2)
	v_fmac_f32_e32 v3, v9, v2
	v_lshlrev_b64 v[5:6], 3, v[5:6]
	s_delay_alu instid0(VALU_DEP_1) | instskip(NEXT) | instid1(VALU_DEP_2)
	v_add_co_u32 v5, vcc_lo, s2, v5
	v_add_co_ci_u32_e32 v6, vcc_lo, s3, v6, vcc_lo
	global_load_b128 v[12:15], v[5:6], off
	s_waitcnt vmcnt(0)
	v_dual_fmac_f32 v4, v10, v14 :: v_dual_fmac_f32 v1, v9, v0
	v_fmac_f32_e32 v7, v10, v12
	v_fmac_f32_e32 v3, v11, v14
	s_delay_alu instid0(VALU_DEP_3) | instskip(NEXT) | instid1(VALU_DEP_4)
	v_fma_f32 v2, -v11, v15, v4
	v_fmac_f32_e32 v1, v11, v12
	s_delay_alu instid0(VALU_DEP_4) | instskip(NEXT) | instid1(VALU_DEP_4)
	v_fma_f32 v0, -v11, v13, v7
	v_fmac_f32_e32 v3, v10, v15
	s_delay_alu instid0(VALU_DEP_3)
	v_fmac_f32_e32 v1, v10, v13
	global_store_b128 v[5:6], v[0:3], off
.LBB160_29:
	s_nop 0
	s_sendmsg sendmsg(MSG_DEALLOC_VGPRS)
	s_endpgm
	.section	.rodata,"a",@progbits
	.p2align	6, 0x0
	.amdhsa_kernel _ZN9rocsparseL19gebsrmvn_2xn_kernelILj128ELj3ELj32E21rocsparse_complex_numIfEEEvi20rocsparse_direction_NS_24const_host_device_scalarIT2_EEPKiS8_PKS5_SA_S6_PS5_21rocsparse_index_base_b
		.amdhsa_group_segment_fixed_size 0
		.amdhsa_private_segment_fixed_size 0
		.amdhsa_kernarg_size 72
		.amdhsa_user_sgpr_count 15
		.amdhsa_user_sgpr_dispatch_ptr 0
		.amdhsa_user_sgpr_queue_ptr 0
		.amdhsa_user_sgpr_kernarg_segment_ptr 1
		.amdhsa_user_sgpr_dispatch_id 0
		.amdhsa_user_sgpr_private_segment_size 0
		.amdhsa_wavefront_size32 1
		.amdhsa_uses_dynamic_stack 0
		.amdhsa_enable_private_segment 0
		.amdhsa_system_sgpr_workgroup_id_x 1
		.amdhsa_system_sgpr_workgroup_id_y 0
		.amdhsa_system_sgpr_workgroup_id_z 0
		.amdhsa_system_sgpr_workgroup_info 0
		.amdhsa_system_vgpr_workitem_id 0
		.amdhsa_next_free_vgpr 35
		.amdhsa_next_free_sgpr 16
		.amdhsa_reserve_vcc 1
		.amdhsa_float_round_mode_32 0
		.amdhsa_float_round_mode_16_64 0
		.amdhsa_float_denorm_mode_32 3
		.amdhsa_float_denorm_mode_16_64 3
		.amdhsa_dx10_clamp 1
		.amdhsa_ieee_mode 1
		.amdhsa_fp16_overflow 0
		.amdhsa_workgroup_processor_mode 1
		.amdhsa_memory_ordered 1
		.amdhsa_forward_progress 0
		.amdhsa_shared_vgpr_count 0
		.amdhsa_exception_fp_ieee_invalid_op 0
		.amdhsa_exception_fp_denorm_src 0
		.amdhsa_exception_fp_ieee_div_zero 0
		.amdhsa_exception_fp_ieee_overflow 0
		.amdhsa_exception_fp_ieee_underflow 0
		.amdhsa_exception_fp_ieee_inexact 0
		.amdhsa_exception_int_div_zero 0
	.end_amdhsa_kernel
	.section	.text._ZN9rocsparseL19gebsrmvn_2xn_kernelILj128ELj3ELj32E21rocsparse_complex_numIfEEEvi20rocsparse_direction_NS_24const_host_device_scalarIT2_EEPKiS8_PKS5_SA_S6_PS5_21rocsparse_index_base_b,"axG",@progbits,_ZN9rocsparseL19gebsrmvn_2xn_kernelILj128ELj3ELj32E21rocsparse_complex_numIfEEEvi20rocsparse_direction_NS_24const_host_device_scalarIT2_EEPKiS8_PKS5_SA_S6_PS5_21rocsparse_index_base_b,comdat
.Lfunc_end160:
	.size	_ZN9rocsparseL19gebsrmvn_2xn_kernelILj128ELj3ELj32E21rocsparse_complex_numIfEEEvi20rocsparse_direction_NS_24const_host_device_scalarIT2_EEPKiS8_PKS5_SA_S6_PS5_21rocsparse_index_base_b, .Lfunc_end160-_ZN9rocsparseL19gebsrmvn_2xn_kernelILj128ELj3ELj32E21rocsparse_complex_numIfEEEvi20rocsparse_direction_NS_24const_host_device_scalarIT2_EEPKiS8_PKS5_SA_S6_PS5_21rocsparse_index_base_b
                                        ; -- End function
	.section	.AMDGPU.csdata,"",@progbits
; Kernel info:
; codeLenInByte = 2316
; NumSgprs: 18
; NumVgprs: 35
; ScratchSize: 0
; MemoryBound: 0
; FloatMode: 240
; IeeeMode: 1
; LDSByteSize: 0 bytes/workgroup (compile time only)
; SGPRBlocks: 2
; VGPRBlocks: 4
; NumSGPRsForWavesPerEU: 18
; NumVGPRsForWavesPerEU: 35
; Occupancy: 16
; WaveLimiterHint : 1
; COMPUTE_PGM_RSRC2:SCRATCH_EN: 0
; COMPUTE_PGM_RSRC2:USER_SGPR: 15
; COMPUTE_PGM_RSRC2:TRAP_HANDLER: 0
; COMPUTE_PGM_RSRC2:TGID_X_EN: 1
; COMPUTE_PGM_RSRC2:TGID_Y_EN: 0
; COMPUTE_PGM_RSRC2:TGID_Z_EN: 0
; COMPUTE_PGM_RSRC2:TIDIG_COMP_CNT: 0
	.section	.text._ZN9rocsparseL19gebsrmvn_2xn_kernelILj128ELj3ELj64E21rocsparse_complex_numIfEEEvi20rocsparse_direction_NS_24const_host_device_scalarIT2_EEPKiS8_PKS5_SA_S6_PS5_21rocsparse_index_base_b,"axG",@progbits,_ZN9rocsparseL19gebsrmvn_2xn_kernelILj128ELj3ELj64E21rocsparse_complex_numIfEEEvi20rocsparse_direction_NS_24const_host_device_scalarIT2_EEPKiS8_PKS5_SA_S6_PS5_21rocsparse_index_base_b,comdat
	.globl	_ZN9rocsparseL19gebsrmvn_2xn_kernelILj128ELj3ELj64E21rocsparse_complex_numIfEEEvi20rocsparse_direction_NS_24const_host_device_scalarIT2_EEPKiS8_PKS5_SA_S6_PS5_21rocsparse_index_base_b ; -- Begin function _ZN9rocsparseL19gebsrmvn_2xn_kernelILj128ELj3ELj64E21rocsparse_complex_numIfEEEvi20rocsparse_direction_NS_24const_host_device_scalarIT2_EEPKiS8_PKS5_SA_S6_PS5_21rocsparse_index_base_b
	.p2align	8
	.type	_ZN9rocsparseL19gebsrmvn_2xn_kernelILj128ELj3ELj64E21rocsparse_complex_numIfEEEvi20rocsparse_direction_NS_24const_host_device_scalarIT2_EEPKiS8_PKS5_SA_S6_PS5_21rocsparse_index_base_b,@function
_ZN9rocsparseL19gebsrmvn_2xn_kernelILj128ELj3ELj64E21rocsparse_complex_numIfEEEvi20rocsparse_direction_NS_24const_host_device_scalarIT2_EEPKiS8_PKS5_SA_S6_PS5_21rocsparse_index_base_b: ; @_ZN9rocsparseL19gebsrmvn_2xn_kernelILj128ELj3ELj64E21rocsparse_complex_numIfEEEvi20rocsparse_direction_NS_24const_host_device_scalarIT2_EEPKiS8_PKS5_SA_S6_PS5_21rocsparse_index_base_b
; %bb.0:
	s_clause 0x2
	s_load_b64 s[12:13], s[0:1], 0x40
	s_load_b64 s[4:5], s[0:1], 0x8
	;; [unrolled: 1-line block ×3, first 2 shown]
	s_waitcnt lgkmcnt(0)
	s_bitcmp1_b32 s13, 0
	v_mov_b32_e32 v8, s4
	s_cselect_b32 s6, -1, 0
	s_delay_alu instid0(SALU_CYCLE_1)
	s_and_b32 vcc_lo, exec_lo, s6
	s_xor_b32 s6, s6, -1
	s_cbranch_vccz .LBB161_15
; %bb.1:
	v_cndmask_b32_e64 v1, 0, 1, s6
	v_mov_b32_e32 v9, s5
	s_and_not1_b32 vcc_lo, exec_lo, s6
	s_cbranch_vccz .LBB161_16
.LBB161_2:
	s_delay_alu instid0(VALU_DEP_2)
	v_cmp_ne_u32_e32 vcc_lo, 1, v1
	v_mov_b32_e32 v10, s2
	s_cbranch_vccz .LBB161_17
.LBB161_3:
	v_cmp_ne_u32_e32 vcc_lo, 1, v1
	v_mov_b32_e32 v11, s3
	s_cbranch_vccnz .LBB161_5
.LBB161_4:
	v_dual_mov_b32 v1, s2 :: v_dual_mov_b32 v2, s3
	flat_load_b32 v11, v[1:2] offset:4
.LBB161_5:
	s_waitcnt vmcnt(0) lgkmcnt(0)
	v_cmp_eq_f32_e32 vcc_lo, 0, v8
	v_cmp_eq_f32_e64 s2, 0, v9
	s_delay_alu instid0(VALU_DEP_1)
	s_and_b32 s4, vcc_lo, s2
	s_mov_b32 s2, -1
	s_and_saveexec_b32 s3, s4
; %bb.6:
	v_cmp_neq_f32_e32 vcc_lo, 1.0, v10
	v_cmp_neq_f32_e64 s2, 0, v11
	s_delay_alu instid0(VALU_DEP_1) | instskip(NEXT) | instid1(SALU_CYCLE_1)
	s_or_b32 s2, vcc_lo, s2
	s_or_not1_b32 s2, s2, exec_lo
; %bb.7:
	s_or_b32 exec_lo, exec_lo, s3
	s_and_saveexec_b32 s3, s2
	s_cbranch_execz .LBB161_29
; %bb.8:
	s_load_b64 s[2:3], s[0:1], 0x0
	v_lshrrev_b32_e32 v1, 6, v0
	s_delay_alu instid0(VALU_DEP_1) | instskip(SKIP_1) | instid1(VALU_DEP_1)
	v_lshl_or_b32 v1, s15, 1, v1
	s_waitcnt lgkmcnt(0)
	v_cmp_gt_i32_e32 vcc_lo, s2, v1
	s_and_b32 exec_lo, exec_lo, vcc_lo
	s_cbranch_execz .LBB161_29
; %bb.9:
	s_load_b256 s[4:11], s[0:1], 0x10
	v_ashrrev_i32_e32 v2, 31, v1
	v_and_b32_e32 v0, 63, v0
	s_cmp_lg_u32 s3, 0
	s_delay_alu instid0(VALU_DEP_2) | instskip(SKIP_1) | instid1(VALU_DEP_1)
	v_lshlrev_b64 v[2:3], 2, v[1:2]
	s_waitcnt lgkmcnt(0)
	v_add_co_u32 v2, vcc_lo, s4, v2
	s_delay_alu instid0(VALU_DEP_2) | instskip(SKIP_4) | instid1(VALU_DEP_2)
	v_add_co_ci_u32_e32 v3, vcc_lo, s5, v3, vcc_lo
	global_load_b64 v[2:3], v[2:3], off
	s_waitcnt vmcnt(0)
	v_subrev_nc_u32_e32 v2, s12, v2
	v_subrev_nc_u32_e32 v14, s12, v3
	v_add_nc_u32_e32 v2, v2, v0
	s_delay_alu instid0(VALU_DEP_1)
	v_cmp_lt_i32_e64 s2, v2, v14
	s_cbranch_scc0 .LBB161_18
; %bb.10:
	v_dual_mov_b32 v12, 0 :: v_dual_mov_b32 v15, 0
	v_dual_mov_b32 v16, 0 :: v_dual_mov_b32 v13, 0
	s_mov_b32 s3, 0
	s_and_saveexec_b32 s4, s2
	s_cbranch_execz .LBB161_14
; %bb.11:
	v_dual_mov_b32 v4, 0 :: v_dual_mov_b32 v5, v2
	v_mul_lo_u32 v3, v2, 6
	s_mov_b32 s5, 0
	s_delay_alu instid0(VALU_DEP_2)
	v_mov_b32_e32 v12, v4
	v_mov_b32_e32 v15, v4
	;; [unrolled: 1-line block ×4, first 2 shown]
.LBB161_12:                             ; =>This Inner Loop Header: Depth=1
	v_ashrrev_i32_e32 v6, 31, v5
	v_dual_mov_b32 v18, v4 :: v_dual_add_nc_u32 v17, 2, v3
	v_dual_mov_b32 v20, v4 :: v_dual_add_nc_u32 v19, 4, v3
	s_delay_alu instid0(VALU_DEP_3) | instskip(NEXT) | instid1(VALU_DEP_3)
	v_lshlrev_b64 v[6:7], 2, v[5:6]
	v_lshlrev_b64 v[21:22], 3, v[17:18]
	s_delay_alu instid0(VALU_DEP_3) | instskip(NEXT) | instid1(VALU_DEP_3)
	v_lshlrev_b64 v[23:24], 3, v[19:20]
	v_add_co_u32 v6, vcc_lo, s6, v6
	s_delay_alu instid0(VALU_DEP_4) | instskip(SKIP_3) | instid1(VALU_DEP_2)
	v_add_co_ci_u32_e32 v7, vcc_lo, s7, v7, vcc_lo
	global_load_b32 v25, v[6:7], off
	v_lshlrev_b64 v[6:7], 3, v[3:4]
	v_add_nc_u32_e32 v3, 0x180, v3
	v_add_co_u32 v6, vcc_lo, s8, v6
	s_delay_alu instid0(VALU_DEP_3)
	v_add_co_ci_u32_e32 v7, vcc_lo, s9, v7, vcc_lo
	global_load_b128 v[17:20], v[6:7], off
	v_add_co_u32 v6, vcc_lo, s8, v21
	v_add_co_ci_u32_e32 v7, vcc_lo, s9, v22, vcc_lo
	v_add_co_u32 v31, vcc_lo, s8, v23
	v_add_co_ci_u32_e32 v32, vcc_lo, s9, v24, vcc_lo
	global_load_b128 v[21:24], v[6:7], off
	s_waitcnt vmcnt(2)
	v_subrev_nc_u32_e32 v6, s12, v25
	s_delay_alu instid0(VALU_DEP_1) | instskip(SKIP_1) | instid1(VALU_DEP_2)
	v_lshl_add_u32 v25, v6, 1, v6
	v_mov_b32_e32 v26, v4
	v_dual_mov_b32 v28, v4 :: v_dual_add_nc_u32 v29, 2, v25
	v_add_nc_u32_e32 v27, 1, v25
	s_delay_alu instid0(VALU_DEP_3) | instskip(NEXT) | instid1(VALU_DEP_2)
	v_lshlrev_b64 v[6:7], 3, v[25:26]
	v_lshlrev_b64 v[25:26], 3, v[27:28]
	s_delay_alu instid0(VALU_DEP_2) | instskip(NEXT) | instid1(VALU_DEP_3)
	v_add_co_u32 v6, vcc_lo, s10, v6
	v_add_co_ci_u32_e32 v7, vcc_lo, s11, v7, vcc_lo
	s_delay_alu instid0(VALU_DEP_3) | instskip(NEXT) | instid1(VALU_DEP_4)
	v_add_co_u32 v25, vcc_lo, s10, v25
	v_add_co_ci_u32_e32 v26, vcc_lo, s11, v26, vcc_lo
	s_clause 0x1
	global_load_b64 v[6:7], v[6:7], off
	global_load_b64 v[33:34], v[25:26], off
	s_waitcnt vmcnt(1)
	v_dual_mov_b32 v30, v4 :: v_dual_fmac_f32 v15, v17, v6
	s_delay_alu instid0(VALU_DEP_1) | instskip(SKIP_1) | instid1(VALU_DEP_1)
	v_lshlrev_b64 v[27:28], 3, v[29:30]
	v_fmac_f32_e32 v13, v20, v6
	v_dual_fmac_f32 v12, v18, v6 :: v_dual_fmac_f32 v13, v19, v7
	s_delay_alu instid0(VALU_DEP_3) | instskip(NEXT) | instid1(VALU_DEP_4)
	v_add_co_u32 v29, vcc_lo, s10, v27
	v_add_co_ci_u32_e32 v30, vcc_lo, s11, v28, vcc_lo
	global_load_b128 v[25:28], v[31:32], off
	global_load_b64 v[29:30], v[29:30], off
	s_waitcnt vmcnt(2)
	v_dual_fmac_f32 v16, v19, v6 :: v_dual_fmac_f32 v13, v24, v33
	v_fmac_f32_e32 v12, v17, v7
	v_fma_f32 v6, -v18, v7, v15
	s_delay_alu instid0(VALU_DEP_3) | instskip(NEXT) | instid1(VALU_DEP_3)
	v_fma_f32 v15, -v20, v7, v16
	v_dual_fmac_f32 v13, v23, v34 :: v_dual_fmac_f32 v12, v22, v33
	s_delay_alu instid0(VALU_DEP_3) | instskip(NEXT) | instid1(VALU_DEP_2)
	v_fmac_f32_e32 v6, v21, v33
	v_dual_fmac_f32 v15, v23, v33 :: v_dual_fmac_f32 v12, v21, v34
	s_delay_alu instid0(VALU_DEP_2) | instskip(NEXT) | instid1(VALU_DEP_2)
	v_fma_f32 v6, -v22, v34, v6
	v_fma_f32 v7, -v24, v34, v15
	s_waitcnt vmcnt(0)
	s_delay_alu instid0(VALU_DEP_3) | instskip(SKIP_1) | instid1(VALU_DEP_3)
	v_fmac_f32_e32 v12, v26, v29
	v_add_nc_u32_e32 v5, 64, v5
	v_fmac_f32_e32 v7, v27, v29
	v_fmac_f32_e32 v13, v28, v29
	;; [unrolled: 1-line block ×4, first 2 shown]
	v_cmp_ge_i32_e32 vcc_lo, v5, v14
	v_fma_f32 v16, -v28, v30, v7
	v_fmac_f32_e32 v13, v27, v30
	v_fma_f32 v15, -v26, v30, v6
	s_or_b32 s5, vcc_lo, s5
	s_delay_alu instid0(SALU_CYCLE_1)
	s_and_not1_b32 exec_lo, exec_lo, s5
	s_cbranch_execnz .LBB161_12
; %bb.13:
	s_or_b32 exec_lo, exec_lo, s5
.LBB161_14:
	s_delay_alu instid0(SALU_CYCLE_1) | instskip(NEXT) | instid1(SALU_CYCLE_1)
	s_or_b32 exec_lo, exec_lo, s4
	s_and_not1_b32 vcc_lo, exec_lo, s3
	s_cbranch_vccz .LBB161_19
	s_branch .LBB161_24
.LBB161_15:
	v_dual_mov_b32 v1, s4 :: v_dual_mov_b32 v2, s5
	flat_load_b32 v8, v[1:2]
	v_cndmask_b32_e64 v1, 0, 1, s6
	v_mov_b32_e32 v9, s5
	s_and_not1_b32 vcc_lo, exec_lo, s6
	s_cbranch_vccnz .LBB161_2
.LBB161_16:
	v_dual_mov_b32 v2, s4 :: v_dual_mov_b32 v3, s5
	flat_load_b32 v9, v[2:3] offset:4
	v_cmp_ne_u32_e32 vcc_lo, 1, v1
	v_mov_b32_e32 v10, s2
	s_cbranch_vccnz .LBB161_3
.LBB161_17:
	v_dual_mov_b32 v2, s2 :: v_dual_mov_b32 v3, s3
	flat_load_b32 v10, v[2:3]
	v_cmp_ne_u32_e32 vcc_lo, 1, v1
	v_mov_b32_e32 v11, s3
	s_cbranch_vccz .LBB161_4
	s_branch .LBB161_5
.LBB161_18:
                                        ; implicit-def: $vgpr12
                                        ; implicit-def: $vgpr15
                                        ; implicit-def: $vgpr16
                                        ; implicit-def: $vgpr13
.LBB161_19:
	v_dual_mov_b32 v12, 0 :: v_dual_mov_b32 v15, 0
	v_dual_mov_b32 v16, 0 :: v_dual_mov_b32 v13, 0
	s_delay_alu instid0(VALU_DEP_3)
	s_and_saveexec_b32 s3, s2
	s_cbranch_execz .LBB161_23
; %bb.20:
	v_mad_u64_u32 v[4:5], null, v2, 6, 5
	v_dual_mov_b32 v7, 0 :: v_dual_mov_b32 v12, 0
	v_dual_mov_b32 v15, 0 :: v_dual_mov_b32 v16, 0
	v_mov_b32_e32 v13, 0
	s_mov_b32 s2, 0
.LBB161_21:                             ; =>This Inner Loop Header: Depth=1
	v_ashrrev_i32_e32 v3, 31, v2
	v_dual_mov_b32 v22, v7 :: v_dual_add_nc_u32 v17, -2, v4
	v_mov_b32_e32 v18, v7
	s_delay_alu instid0(VALU_DEP_3) | instskip(NEXT) | instid1(VALU_DEP_2)
	v_lshlrev_b64 v[5:6], 2, v[2:3]
	v_lshlrev_b64 v[17:18], 3, v[17:18]
	s_delay_alu instid0(VALU_DEP_2) | instskip(NEXT) | instid1(VALU_DEP_3)
	v_add_co_u32 v5, vcc_lo, s6, v5
	v_add_co_ci_u32_e32 v6, vcc_lo, s7, v6, vcc_lo
	global_load_b32 v3, v[5:6], off
	v_dual_mov_b32 v5, v7 :: v_dual_add_nc_u32 v6, -5, v4
	s_delay_alu instid0(VALU_DEP_1) | instskip(NEXT) | instid1(VALU_DEP_2)
	v_lshlrev_b64 v[19:20], 3, v[6:7]
	v_lshlrev_b64 v[5:6], 3, v[4:5]
	s_delay_alu instid0(VALU_DEP_2) | instskip(NEXT) | instid1(VALU_DEP_3)
	v_add_co_u32 v19, vcc_lo, s8, v19
	v_add_co_ci_u32_e32 v20, vcc_lo, s9, v20, vcc_lo
	v_add_co_u32 v23, vcc_lo, s8, v17
	v_add_co_ci_u32_e32 v24, vcc_lo, s9, v18, vcc_lo
	;; [unrolled: 2-line block ×3, first 2 shown]
	s_clause 0x2
	global_load_b128 v[17:20], v[19:20], off
	global_load_b64 v[23:24], v[23:24], off
	global_load_b64 v[25:26], v[5:6], off
	s_waitcnt vmcnt(3)
	v_subrev_nc_u32_e32 v3, s12, v3
	s_delay_alu instid0(VALU_DEP_1) | instskip(NEXT) | instid1(VALU_DEP_1)
	v_lshl_add_u32 v21, v3, 1, v3
	v_lshlrev_b64 v[27:28], 3, v[21:22]
	s_delay_alu instid0(VALU_DEP_1) | instskip(NEXT) | instid1(VALU_DEP_2)
	v_add_co_u32 v27, vcc_lo, s10, v27
	v_add_co_ci_u32_e32 v28, vcc_lo, s11, v28, vcc_lo
	global_load_b64 v[27:28], v[27:28], off
	v_add_nc_u32_e32 v6, 1, v21
	s_delay_alu instid0(VALU_DEP_1) | instskip(NEXT) | instid1(VALU_DEP_1)
	v_lshlrev_b64 v[29:30], 3, v[6:7]
	v_add_co_u32 v29, vcc_lo, s10, v29
	s_delay_alu instid0(VALU_DEP_2)
	v_add_co_ci_u32_e32 v30, vcc_lo, s11, v30, vcc_lo
	global_load_b64 v[29:30], v[29:30], off
	s_waitcnt vmcnt(1)
	v_fmac_f32_e32 v13, v24, v27
	v_fmac_f32_e32 v15, v17, v27
	;; [unrolled: 1-line block ×3, first 2 shown]
	s_delay_alu instid0(VALU_DEP_3) | instskip(NEXT) | instid1(VALU_DEP_3)
	v_fmac_f32_e32 v13, v23, v28
	v_fma_f32 v3, -v18, v28, v15
	v_add_nc_u32_e32 v6, -1, v4
	s_delay_alu instid0(VALU_DEP_4) | instskip(SKIP_1) | instid1(VALU_DEP_3)
	v_fma_f32 v15, -v24, v28, v16
	s_waitcnt vmcnt(0)
	v_fmac_f32_e32 v3, v19, v29
	s_delay_alu instid0(VALU_DEP_3) | instskip(SKIP_2) | instid1(VALU_DEP_4)
	v_lshlrev_b64 v[31:32], 3, v[6:7]
	v_add_nc_u32_e32 v6, -3, v4
	v_add_nc_u32_e32 v4, 0x180, v4
	v_fma_f32 v3, -v20, v30, v3
	s_delay_alu instid0(VALU_DEP_3) | instskip(SKIP_3) | instid1(VALU_DEP_3)
	v_lshlrev_b64 v[33:34], 3, v[6:7]
	v_add_nc_u32_e32 v6, 2, v21
	v_add_co_u32 v21, vcc_lo, s8, v31
	v_add_co_ci_u32_e32 v22, vcc_lo, s9, v32, vcc_lo
	v_lshlrev_b64 v[5:6], 3, v[6:7]
	v_add_co_u32 v31, vcc_lo, s8, v33
	global_load_b64 v[21:22], v[21:22], off
	v_add_co_ci_u32_e32 v32, vcc_lo, s9, v34, vcc_lo
	v_add_co_u32 v5, vcc_lo, s10, v5
	v_add_co_ci_u32_e32 v6, vcc_lo, s11, v6, vcc_lo
	global_load_b64 v[31:32], v[31:32], off
	global_load_b64 v[5:6], v[5:6], off
	s_waitcnt vmcnt(2)
	v_fmac_f32_e32 v13, v22, v29
	v_dual_fmac_f32 v12, v18, v27 :: v_dual_fmac_f32 v15, v21, v29
	s_delay_alu instid0(VALU_DEP_2) | instskip(NEXT) | instid1(VALU_DEP_2)
	v_fmac_f32_e32 v13, v21, v30
	v_fmac_f32_e32 v12, v17, v28
	v_add_nc_u32_e32 v2, 64, v2
	s_delay_alu instid0(VALU_DEP_4)
	v_fma_f32 v16, -v22, v30, v15
	s_waitcnt vmcnt(0)
	v_fmac_f32_e32 v3, v31, v5
	v_fmac_f32_e32 v13, v26, v5
	;; [unrolled: 1-line block ×3, first 2 shown]
	v_cmp_ge_i32_e32 vcc_lo, v2, v14
	v_fmac_f32_e32 v16, v25, v5
	v_fma_f32 v15, -v32, v6, v3
	v_fmac_f32_e32 v13, v25, v6
	v_fmac_f32_e32 v12, v19, v30
	s_or_b32 s2, vcc_lo, s2
	v_fma_f32 v16, -v26, v6, v16
	s_delay_alu instid0(VALU_DEP_2) | instskip(NEXT) | instid1(VALU_DEP_1)
	v_fmac_f32_e32 v12, v32, v5
	v_fmac_f32_e32 v12, v31, v6
	s_and_not1_b32 exec_lo, exec_lo, s2
	s_cbranch_execnz .LBB161_21
; %bb.22:
	s_or_b32 exec_lo, exec_lo, s2
.LBB161_23:
	s_delay_alu instid0(SALU_CYCLE_1)
	s_or_b32 exec_lo, exec_lo, s3
.LBB161_24:
	v_mbcnt_lo_u32_b32 v2, -1, 0
	s_delay_alu instid0(VALU_DEP_1) | instskip(SKIP_1) | instid1(VALU_DEP_2)
	v_or_b32_e32 v3, 32, v2
	v_xor_b32_e32 v7, 16, v2
	v_cmp_gt_i32_e32 vcc_lo, 32, v3
	v_cndmask_b32_e32 v3, v2, v3, vcc_lo
	s_delay_alu instid0(VALU_DEP_3) | instskip(NEXT) | instid1(VALU_DEP_2)
	v_cmp_gt_i32_e32 vcc_lo, 32, v7
	v_lshlrev_b32_e32 v3, 2, v3
	ds_bpermute_b32 v6, v3, v16
	s_waitcnt lgkmcnt(0)
	v_add_f32_e32 v6, v16, v6
	ds_bpermute_b32 v4, v3, v15
	ds_bpermute_b32 v5, v3, v12
	;; [unrolled: 1-line block ×3, first 2 shown]
	s_waitcnt lgkmcnt(2)
	v_dual_add_f32 v4, v15, v4 :: v_dual_cndmask_b32 v7, v2, v7
	s_waitcnt lgkmcnt(1)
	v_add_f32_e32 v5, v12, v5
	v_xor_b32_e32 v15, 8, v2
	s_delay_alu instid0(VALU_DEP_3) | instskip(NEXT) | instid1(VALU_DEP_2)
	v_lshlrev_b32_e32 v7, 2, v7
	v_cmp_gt_i32_e32 vcc_lo, 32, v15
	ds_bpermute_b32 v14, v7, v6
	v_cndmask_b32_e32 v15, v2, v15, vcc_lo
	s_waitcnt lgkmcnt(0)
	s_delay_alu instid0(VALU_DEP_1)
	v_dual_add_f32 v6, v6, v14 :: v_dual_lshlrev_b32 v15, 2, v15
	v_add_f32_e32 v3, v13, v3
	ds_bpermute_b32 v12, v7, v4
	ds_bpermute_b32 v13, v7, v5
	s_waitcnt lgkmcnt(0)
	v_dual_add_f32 v4, v4, v12 :: v_dual_add_f32 v5, v5, v13
	ds_bpermute_b32 v13, v15, v6
	s_waitcnt lgkmcnt(0)
	v_add_f32_e32 v6, v6, v13
	ds_bpermute_b32 v7, v7, v3
	s_waitcnt lgkmcnt(0)
	v_add_f32_e32 v3, v3, v7
	ds_bpermute_b32 v7, v15, v4
	ds_bpermute_b32 v14, v15, v3
	s_waitcnt lgkmcnt(1)
	v_add_f32_e32 v4, v4, v7
	ds_bpermute_b32 v12, v15, v5
	v_xor_b32_e32 v15, 4, v2
	s_delay_alu instid0(VALU_DEP_1) | instskip(SKIP_1) | instid1(VALU_DEP_1)
	v_cmp_gt_i32_e32 vcc_lo, 32, v15
	v_cndmask_b32_e32 v15, v2, v15, vcc_lo
	v_lshlrev_b32_e32 v15, 2, v15
	ds_bpermute_b32 v7, v15, v4
	s_waitcnt lgkmcnt(1)
	v_add_f32_e32 v5, v5, v12
	ds_bpermute_b32 v13, v15, v6
	s_waitcnt lgkmcnt(1)
	v_dual_add_f32 v4, v4, v7 :: v_dual_add_f32 v3, v3, v14
	ds_bpermute_b32 v12, v15, v5
	s_waitcnt lgkmcnt(1)
	v_add_f32_e32 v6, v6, v13
	ds_bpermute_b32 v14, v15, v3
	v_xor_b32_e32 v15, 2, v2
	s_delay_alu instid0(VALU_DEP_1) | instskip(SKIP_1) | instid1(VALU_DEP_1)
	v_cmp_gt_i32_e32 vcc_lo, 32, v15
	v_cndmask_b32_e32 v15, v2, v15, vcc_lo
	v_lshlrev_b32_e32 v15, 2, v15
	s_waitcnt lgkmcnt(1)
	v_add_f32_e32 v5, v5, v12
	ds_bpermute_b32 v7, v15, v4
	ds_bpermute_b32 v12, v15, v5
	;; [unrolled: 1-line block ×3, first 2 shown]
	s_waitcnt lgkmcnt(2)
	v_dual_add_f32 v4, v4, v7 :: v_dual_add_f32 v3, v3, v14
	s_waitcnt lgkmcnt(1)
	v_add_f32_e32 v5, v5, v12
	ds_bpermute_b32 v14, v15, v3
	v_xor_b32_e32 v15, 1, v2
	s_delay_alu instid0(VALU_DEP_1) | instskip(SKIP_3) | instid1(VALU_DEP_2)
	v_cmp_gt_i32_e32 vcc_lo, 32, v15
	v_cndmask_b32_e32 v2, v2, v15, vcc_lo
	v_cmp_eq_u32_e32 vcc_lo, 63, v0
	s_waitcnt lgkmcnt(1)
	v_dual_add_f32 v2, v6, v13 :: v_dual_lshlrev_b32 v15, 2, v2
	s_waitcnt lgkmcnt(0)
	v_add_f32_e32 v3, v3, v14
	ds_bpermute_b32 v12, v15, v4
	ds_bpermute_b32 v13, v15, v5
	;; [unrolled: 1-line block ×4, first 2 shown]
	s_and_b32 exec_lo, exec_lo, vcc_lo
	s_cbranch_execz .LBB161_29
; %bb.25:
	s_load_b64 s[2:3], s[0:1], 0x38
	v_cmp_eq_f32_e32 vcc_lo, 0, v10
	v_cmp_eq_f32_e64 s0, 0, v11
	s_waitcnt lgkmcnt(0)
	v_dual_add_f32 v0, v4, v12 :: v_dual_add_f32 v3, v3, v7
	v_add_f32_e32 v4, v5, v13
	v_add_f32_e32 v2, v2, v6
	s_and_b32 s0, vcc_lo, s0
	s_delay_alu instid0(SALU_CYCLE_1) | instskip(NEXT) | instid1(SALU_CYCLE_1)
	s_and_saveexec_b32 s1, s0
	s_xor_b32 s0, exec_lo, s1
	s_cbranch_execz .LBB161_27
; %bb.26:
	v_mul_f32_e64 v10, v4, -v9
	v_lshlrev_b32_e32 v5, 1, v1
	v_mul_f32_e32 v11, v4, v8
	v_mul_f32_e64 v12, v3, -v9
	v_mul_f32_e32 v13, v3, v8
	v_fmac_f32_e32 v10, v8, v0
	v_ashrrev_i32_e32 v6, 31, v5
	s_delay_alu instid0(VALU_DEP_4) | instskip(NEXT) | instid1(VALU_DEP_4)
	v_dual_fmac_f32 v11, v9, v0 :: v_dual_fmac_f32 v12, v8, v2
	v_fmac_f32_e32 v13, v9, v2
                                        ; implicit-def: $vgpr8
                                        ; implicit-def: $vgpr9
                                        ; implicit-def: $vgpr2
                                        ; implicit-def: $vgpr3
	s_delay_alu instid0(VALU_DEP_3) | instskip(NEXT) | instid1(VALU_DEP_1)
	v_lshlrev_b64 v[4:5], 3, v[5:6]
	v_add_co_u32 v0, vcc_lo, s2, v4
	s_delay_alu instid0(VALU_DEP_2)
	v_add_co_ci_u32_e32 v1, vcc_lo, s3, v5, vcc_lo
                                        ; implicit-def: $vgpr4
	global_store_b128 v[0:1], v[10:13], off
                                        ; implicit-def: $vgpr10
                                        ; implicit-def: $vgpr11
                                        ; implicit-def: $vgpr1
                                        ; implicit-def: $vgpr0
.LBB161_27:
	s_and_not1_saveexec_b32 s0, s0
	s_cbranch_execz .LBB161_29
; %bb.28:
	v_lshlrev_b32_e32 v5, 1, v1
	v_mul_f32_e64 v7, v4, -v9
	v_mul_f32_e32 v1, v4, v8
	v_mul_f32_e64 v4, v3, -v9
	v_mul_f32_e32 v3, v3, v8
	s_delay_alu instid0(VALU_DEP_4) | instskip(NEXT) | instid1(VALU_DEP_3)
	v_fmac_f32_e32 v7, v8, v0
	v_fmac_f32_e32 v4, v8, v2
	v_ashrrev_i32_e32 v6, 31, v5
	s_delay_alu instid0(VALU_DEP_4) | instskip(NEXT) | instid1(VALU_DEP_2)
	v_fmac_f32_e32 v3, v9, v2
	v_lshlrev_b64 v[5:6], 3, v[5:6]
	s_delay_alu instid0(VALU_DEP_1) | instskip(NEXT) | instid1(VALU_DEP_2)
	v_add_co_u32 v5, vcc_lo, s2, v5
	v_add_co_ci_u32_e32 v6, vcc_lo, s3, v6, vcc_lo
	global_load_b128 v[12:15], v[5:6], off
	s_waitcnt vmcnt(0)
	v_dual_fmac_f32 v4, v10, v14 :: v_dual_fmac_f32 v1, v9, v0
	v_fmac_f32_e32 v7, v10, v12
	v_fmac_f32_e32 v3, v11, v14
	s_delay_alu instid0(VALU_DEP_3) | instskip(NEXT) | instid1(VALU_DEP_4)
	v_fma_f32 v2, -v11, v15, v4
	v_fmac_f32_e32 v1, v11, v12
	s_delay_alu instid0(VALU_DEP_4) | instskip(NEXT) | instid1(VALU_DEP_4)
	v_fma_f32 v0, -v11, v13, v7
	v_fmac_f32_e32 v3, v10, v15
	s_delay_alu instid0(VALU_DEP_3)
	v_fmac_f32_e32 v1, v10, v13
	global_store_b128 v[5:6], v[0:3], off
.LBB161_29:
	s_nop 0
	s_sendmsg sendmsg(MSG_DEALLOC_VGPRS)
	s_endpgm
	.section	.rodata,"a",@progbits
	.p2align	6, 0x0
	.amdhsa_kernel _ZN9rocsparseL19gebsrmvn_2xn_kernelILj128ELj3ELj64E21rocsparse_complex_numIfEEEvi20rocsparse_direction_NS_24const_host_device_scalarIT2_EEPKiS8_PKS5_SA_S6_PS5_21rocsparse_index_base_b
		.amdhsa_group_segment_fixed_size 0
		.amdhsa_private_segment_fixed_size 0
		.amdhsa_kernarg_size 72
		.amdhsa_user_sgpr_count 15
		.amdhsa_user_sgpr_dispatch_ptr 0
		.amdhsa_user_sgpr_queue_ptr 0
		.amdhsa_user_sgpr_kernarg_segment_ptr 1
		.amdhsa_user_sgpr_dispatch_id 0
		.amdhsa_user_sgpr_private_segment_size 0
		.amdhsa_wavefront_size32 1
		.amdhsa_uses_dynamic_stack 0
		.amdhsa_enable_private_segment 0
		.amdhsa_system_sgpr_workgroup_id_x 1
		.amdhsa_system_sgpr_workgroup_id_y 0
		.amdhsa_system_sgpr_workgroup_id_z 0
		.amdhsa_system_sgpr_workgroup_info 0
		.amdhsa_system_vgpr_workitem_id 0
		.amdhsa_next_free_vgpr 35
		.amdhsa_next_free_sgpr 16
		.amdhsa_reserve_vcc 1
		.amdhsa_float_round_mode_32 0
		.amdhsa_float_round_mode_16_64 0
		.amdhsa_float_denorm_mode_32 3
		.amdhsa_float_denorm_mode_16_64 3
		.amdhsa_dx10_clamp 1
		.amdhsa_ieee_mode 1
		.amdhsa_fp16_overflow 0
		.amdhsa_workgroup_processor_mode 1
		.amdhsa_memory_ordered 1
		.amdhsa_forward_progress 0
		.amdhsa_shared_vgpr_count 0
		.amdhsa_exception_fp_ieee_invalid_op 0
		.amdhsa_exception_fp_denorm_src 0
		.amdhsa_exception_fp_ieee_div_zero 0
		.amdhsa_exception_fp_ieee_overflow 0
		.amdhsa_exception_fp_ieee_underflow 0
		.amdhsa_exception_fp_ieee_inexact 0
		.amdhsa_exception_int_div_zero 0
	.end_amdhsa_kernel
	.section	.text._ZN9rocsparseL19gebsrmvn_2xn_kernelILj128ELj3ELj64E21rocsparse_complex_numIfEEEvi20rocsparse_direction_NS_24const_host_device_scalarIT2_EEPKiS8_PKS5_SA_S6_PS5_21rocsparse_index_base_b,"axG",@progbits,_ZN9rocsparseL19gebsrmvn_2xn_kernelILj128ELj3ELj64E21rocsparse_complex_numIfEEEvi20rocsparse_direction_NS_24const_host_device_scalarIT2_EEPKiS8_PKS5_SA_S6_PS5_21rocsparse_index_base_b,comdat
.Lfunc_end161:
	.size	_ZN9rocsparseL19gebsrmvn_2xn_kernelILj128ELj3ELj64E21rocsparse_complex_numIfEEEvi20rocsparse_direction_NS_24const_host_device_scalarIT2_EEPKiS8_PKS5_SA_S6_PS5_21rocsparse_index_base_b, .Lfunc_end161-_ZN9rocsparseL19gebsrmvn_2xn_kernelILj128ELj3ELj64E21rocsparse_complex_numIfEEEvi20rocsparse_direction_NS_24const_host_device_scalarIT2_EEPKiS8_PKS5_SA_S6_PS5_21rocsparse_index_base_b
                                        ; -- End function
	.section	.AMDGPU.csdata,"",@progbits
; Kernel info:
; codeLenInByte = 2396
; NumSgprs: 18
; NumVgprs: 35
; ScratchSize: 0
; MemoryBound: 0
; FloatMode: 240
; IeeeMode: 1
; LDSByteSize: 0 bytes/workgroup (compile time only)
; SGPRBlocks: 2
; VGPRBlocks: 4
; NumSGPRsForWavesPerEU: 18
; NumVGPRsForWavesPerEU: 35
; Occupancy: 16
; WaveLimiterHint : 1
; COMPUTE_PGM_RSRC2:SCRATCH_EN: 0
; COMPUTE_PGM_RSRC2:USER_SGPR: 15
; COMPUTE_PGM_RSRC2:TRAP_HANDLER: 0
; COMPUTE_PGM_RSRC2:TGID_X_EN: 1
; COMPUTE_PGM_RSRC2:TGID_Y_EN: 0
; COMPUTE_PGM_RSRC2:TGID_Z_EN: 0
; COMPUTE_PGM_RSRC2:TIDIG_COMP_CNT: 0
	.section	.text._ZN9rocsparseL19gebsrmvn_2xn_kernelILj128ELj4ELj4E21rocsparse_complex_numIfEEEvi20rocsparse_direction_NS_24const_host_device_scalarIT2_EEPKiS8_PKS5_SA_S6_PS5_21rocsparse_index_base_b,"axG",@progbits,_ZN9rocsparseL19gebsrmvn_2xn_kernelILj128ELj4ELj4E21rocsparse_complex_numIfEEEvi20rocsparse_direction_NS_24const_host_device_scalarIT2_EEPKiS8_PKS5_SA_S6_PS5_21rocsparse_index_base_b,comdat
	.globl	_ZN9rocsparseL19gebsrmvn_2xn_kernelILj128ELj4ELj4E21rocsparse_complex_numIfEEEvi20rocsparse_direction_NS_24const_host_device_scalarIT2_EEPKiS8_PKS5_SA_S6_PS5_21rocsparse_index_base_b ; -- Begin function _ZN9rocsparseL19gebsrmvn_2xn_kernelILj128ELj4ELj4E21rocsparse_complex_numIfEEEvi20rocsparse_direction_NS_24const_host_device_scalarIT2_EEPKiS8_PKS5_SA_S6_PS5_21rocsparse_index_base_b
	.p2align	8
	.type	_ZN9rocsparseL19gebsrmvn_2xn_kernelILj128ELj4ELj4E21rocsparse_complex_numIfEEEvi20rocsparse_direction_NS_24const_host_device_scalarIT2_EEPKiS8_PKS5_SA_S6_PS5_21rocsparse_index_base_b,@function
_ZN9rocsparseL19gebsrmvn_2xn_kernelILj128ELj4ELj4E21rocsparse_complex_numIfEEEvi20rocsparse_direction_NS_24const_host_device_scalarIT2_EEPKiS8_PKS5_SA_S6_PS5_21rocsparse_index_base_b: ; @_ZN9rocsparseL19gebsrmvn_2xn_kernelILj128ELj4ELj4E21rocsparse_complex_numIfEEEvi20rocsparse_direction_NS_24const_host_device_scalarIT2_EEPKiS8_PKS5_SA_S6_PS5_21rocsparse_index_base_b
; %bb.0:
	s_clause 0x2
	s_load_b64 s[12:13], s[0:1], 0x40
	s_load_b64 s[4:5], s[0:1], 0x8
	;; [unrolled: 1-line block ×3, first 2 shown]
	s_waitcnt lgkmcnt(0)
	s_bitcmp1_b32 s13, 0
	v_mov_b32_e32 v7, s4
	s_cselect_b32 s6, -1, 0
	s_delay_alu instid0(SALU_CYCLE_1)
	s_and_b32 vcc_lo, exec_lo, s6
	s_xor_b32 s6, s6, -1
	s_cbranch_vccz .LBB162_15
; %bb.1:
	v_cndmask_b32_e64 v1, 0, 1, s6
	v_mov_b32_e32 v8, s5
	s_and_not1_b32 vcc_lo, exec_lo, s6
	s_cbranch_vccz .LBB162_16
.LBB162_2:
	s_delay_alu instid0(VALU_DEP_2)
	v_cmp_ne_u32_e32 vcc_lo, 1, v1
	v_mov_b32_e32 v9, s2
	s_cbranch_vccz .LBB162_17
.LBB162_3:
	v_cmp_ne_u32_e32 vcc_lo, 1, v1
	v_mov_b32_e32 v10, s3
	s_cbranch_vccnz .LBB162_5
.LBB162_4:
	v_dual_mov_b32 v1, s2 :: v_dual_mov_b32 v2, s3
	flat_load_b32 v10, v[1:2] offset:4
.LBB162_5:
	s_waitcnt vmcnt(0) lgkmcnt(0)
	v_cmp_eq_f32_e32 vcc_lo, 0, v7
	v_cmp_eq_f32_e64 s2, 0, v8
	s_delay_alu instid0(VALU_DEP_1)
	s_and_b32 s4, vcc_lo, s2
	s_mov_b32 s2, -1
	s_and_saveexec_b32 s3, s4
; %bb.6:
	v_cmp_neq_f32_e32 vcc_lo, 1.0, v9
	v_cmp_neq_f32_e64 s2, 0, v10
	s_delay_alu instid0(VALU_DEP_1) | instskip(NEXT) | instid1(SALU_CYCLE_1)
	s_or_b32 s2, vcc_lo, s2
	s_or_not1_b32 s2, s2, exec_lo
; %bb.7:
	s_or_b32 exec_lo, exec_lo, s3
	s_and_saveexec_b32 s3, s2
	s_cbranch_execz .LBB162_29
; %bb.8:
	s_load_b64 s[2:3], s[0:1], 0x0
	v_lshrrev_b32_e32 v1, 2, v0
	s_delay_alu instid0(VALU_DEP_1) | instskip(SKIP_1) | instid1(VALU_DEP_1)
	v_lshl_or_b32 v1, s15, 5, v1
	s_waitcnt lgkmcnt(0)
	v_cmp_gt_i32_e32 vcc_lo, s2, v1
	s_and_b32 exec_lo, exec_lo, vcc_lo
	s_cbranch_execz .LBB162_29
; %bb.9:
	s_load_b256 s[4:11], s[0:1], 0x10
	v_ashrrev_i32_e32 v2, 31, v1
	v_and_b32_e32 v0, 3, v0
	s_cmp_lg_u32 s3, 0
	s_delay_alu instid0(VALU_DEP_2) | instskip(SKIP_1) | instid1(VALU_DEP_1)
	v_lshlrev_b64 v[2:3], 2, v[1:2]
	s_waitcnt lgkmcnt(0)
	v_add_co_u32 v2, vcc_lo, s4, v2
	s_delay_alu instid0(VALU_DEP_2) | instskip(SKIP_4) | instid1(VALU_DEP_2)
	v_add_co_ci_u32_e32 v3, vcc_lo, s5, v3, vcc_lo
	global_load_b64 v[2:3], v[2:3], off
	s_waitcnt vmcnt(0)
	v_subrev_nc_u32_e32 v2, s12, v2
	v_subrev_nc_u32_e32 v13, s12, v3
	v_add_nc_u32_e32 v2, v2, v0
	s_delay_alu instid0(VALU_DEP_1)
	v_cmp_lt_i32_e64 s2, v2, v13
	s_cbranch_scc0 .LBB162_18
; %bb.10:
	v_dual_mov_b32 v11, 0 :: v_dual_mov_b32 v14, 0
	v_dual_mov_b32 v15, 0 :: v_dual_mov_b32 v12, 0
	s_mov_b32 s3, 0
	s_and_saveexec_b32 s4, s2
	s_cbranch_execz .LBB162_14
; %bb.11:
	v_dual_mov_b32 v4, 0 :: v_dual_lshlrev_b32 v3, 3, v2
	v_mov_b32_e32 v5, v2
	s_mov_b32 s5, 0
	s_delay_alu instid0(VALU_DEP_2)
	v_mov_b32_e32 v14, v4
	v_mov_b32_e32 v11, v4
	;; [unrolled: 1-line block ×4, first 2 shown]
.LBB162_12:                             ; =>This Inner Loop Header: Depth=1
	v_ashrrev_i32_e32 v6, 31, v5
	s_delay_alu instid0(VALU_DEP_1) | instskip(SKIP_1) | instid1(VALU_DEP_2)
	v_lshlrev_b64 v[16:17], 2, v[5:6]
	v_add_nc_u32_e32 v5, 4, v5
	v_add_co_u32 v16, vcc_lo, s6, v16
	s_delay_alu instid0(VALU_DEP_3) | instskip(SKIP_3) | instid1(VALU_DEP_2)
	v_add_co_ci_u32_e32 v17, vcc_lo, s7, v17, vcc_lo
	global_load_b32 v6, v[16:17], off
	v_lshlrev_b64 v[16:17], 3, v[3:4]
	v_add_nc_u32_e32 v3, 32, v3
	v_add_co_u32 v36, vcc_lo, s8, v16
	s_delay_alu instid0(VALU_DEP_3) | instskip(SKIP_3) | instid1(VALU_DEP_1)
	v_add_co_ci_u32_e32 v37, vcc_lo, s9, v17, vcc_lo
	global_load_b128 v[16:19], v[36:37], off offset:16
	s_waitcnt vmcnt(1)
	v_subrev_nc_u32_e32 v6, s12, v6
	v_dual_mov_b32 v21, v4 :: v_dual_lshlrev_b32 v20, 2, v6
	s_delay_alu instid0(VALU_DEP_1) | instskip(NEXT) | instid1(VALU_DEP_1)
	v_lshlrev_b64 v[20:21], 3, v[20:21]
	v_add_co_u32 v28, vcc_lo, s10, v20
	s_delay_alu instid0(VALU_DEP_2)
	v_add_co_ci_u32_e32 v29, vcc_lo, s11, v21, vcc_lo
	global_load_b128 v[20:23], v[36:37], off
	s_clause 0x1
	global_load_b128 v[24:27], v[28:29], off
	global_load_b128 v[28:31], v[28:29], off offset:16
	s_clause 0x1
	global_load_b128 v[32:35], v[36:37], off offset:32
	global_load_b128 v[36:39], v[36:37], off offset:48
	v_cmp_ge_i32_e32 vcc_lo, v5, v13
	s_or_b32 s5, vcc_lo, s5
	s_waitcnt vmcnt(3)
	v_fmac_f32_e32 v12, v23, v24
	s_delay_alu instid0(VALU_DEP_1) | instskip(NEXT) | instid1(VALU_DEP_1)
	v_dual_fmac_f32 v11, v21, v24 :: v_dual_fmac_f32 v12, v22, v25
	v_fmac_f32_e32 v11, v20, v25
	s_delay_alu instid0(VALU_DEP_1) | instskip(NEXT) | instid1(VALU_DEP_1)
	v_dual_fmac_f32 v14, v20, v24 :: v_dual_fmac_f32 v11, v17, v26
	v_fma_f32 v6, -v21, v25, v14
	v_fmac_f32_e32 v15, v22, v24
	s_delay_alu instid0(VALU_DEP_3) | instskip(NEXT) | instid1(VALU_DEP_3)
	v_fmac_f32_e32 v11, v16, v27
	v_fmac_f32_e32 v6, v16, v26
	s_delay_alu instid0(VALU_DEP_3) | instskip(SKIP_1) | instid1(VALU_DEP_3)
	v_fma_f32 v14, -v23, v25, v15
	s_waitcnt vmcnt(1)
	v_dual_fmac_f32 v12, v19, v26 :: v_dual_fmac_f32 v11, v33, v28
	s_delay_alu instid0(VALU_DEP_3) | instskip(NEXT) | instid1(VALU_DEP_3)
	v_fma_f32 v6, -v17, v27, v6
	v_fmac_f32_e32 v14, v18, v26
	s_delay_alu instid0(VALU_DEP_3) | instskip(NEXT) | instid1(VALU_DEP_3)
	v_dual_fmac_f32 v12, v18, v27 :: v_dual_fmac_f32 v11, v32, v29
	v_fmac_f32_e32 v6, v32, v28
	s_delay_alu instid0(VALU_DEP_3) | instskip(SKIP_1) | instid1(VALU_DEP_3)
	v_fma_f32 v14, -v19, v27, v14
	s_waitcnt vmcnt(0)
	v_dual_fmac_f32 v12, v35, v28 :: v_dual_fmac_f32 v11, v37, v30
	s_delay_alu instid0(VALU_DEP_3) | instskip(NEXT) | instid1(VALU_DEP_3)
	v_fma_f32 v6, -v33, v29, v6
	v_fmac_f32_e32 v14, v34, v28
	s_delay_alu instid0(VALU_DEP_3) | instskip(NEXT) | instid1(VALU_DEP_3)
	v_dual_fmac_f32 v12, v34, v29 :: v_dual_fmac_f32 v11, v36, v31
	v_fmac_f32_e32 v6, v36, v30
	s_delay_alu instid0(VALU_DEP_3) | instskip(NEXT) | instid1(VALU_DEP_3)
	v_fma_f32 v15, -v35, v29, v14
	v_fmac_f32_e32 v12, v39, v30
	s_delay_alu instid0(VALU_DEP_3) | instskip(NEXT) | instid1(VALU_DEP_3)
	v_fma_f32 v14, -v37, v31, v6
	v_fmac_f32_e32 v15, v38, v30
	s_delay_alu instid0(VALU_DEP_3) | instskip(NEXT) | instid1(VALU_DEP_2)
	v_fmac_f32_e32 v12, v38, v31
	v_fma_f32 v15, -v39, v31, v15
	s_and_not1_b32 exec_lo, exec_lo, s5
	s_cbranch_execnz .LBB162_12
; %bb.13:
	s_or_b32 exec_lo, exec_lo, s5
.LBB162_14:
	s_delay_alu instid0(SALU_CYCLE_1) | instskip(NEXT) | instid1(SALU_CYCLE_1)
	s_or_b32 exec_lo, exec_lo, s4
	s_and_not1_b32 vcc_lo, exec_lo, s3
	s_cbranch_vccz .LBB162_19
	s_branch .LBB162_24
.LBB162_15:
	v_dual_mov_b32 v1, s4 :: v_dual_mov_b32 v2, s5
	flat_load_b32 v7, v[1:2]
	v_cndmask_b32_e64 v1, 0, 1, s6
	v_mov_b32_e32 v8, s5
	s_and_not1_b32 vcc_lo, exec_lo, s6
	s_cbranch_vccnz .LBB162_2
.LBB162_16:
	v_dual_mov_b32 v2, s4 :: v_dual_mov_b32 v3, s5
	flat_load_b32 v8, v[2:3] offset:4
	v_cmp_ne_u32_e32 vcc_lo, 1, v1
	v_mov_b32_e32 v9, s2
	s_cbranch_vccnz .LBB162_3
.LBB162_17:
	v_dual_mov_b32 v2, s2 :: v_dual_mov_b32 v3, s3
	flat_load_b32 v9, v[2:3]
	v_cmp_ne_u32_e32 vcc_lo, 1, v1
	v_mov_b32_e32 v10, s3
	s_cbranch_vccz .LBB162_4
	s_branch .LBB162_5
.LBB162_18:
                                        ; implicit-def: $vgpr11
                                        ; implicit-def: $vgpr14
                                        ; implicit-def: $vgpr15
                                        ; implicit-def: $vgpr12
.LBB162_19:
	v_dual_mov_b32 v11, 0 :: v_dual_mov_b32 v14, 0
	v_dual_mov_b32 v15, 0 :: v_dual_mov_b32 v12, 0
	s_delay_alu instid0(VALU_DEP_3)
	s_and_saveexec_b32 s3, s2
	s_cbranch_execz .LBB162_23
; %bb.20:
	v_dual_mov_b32 v5, 0 :: v_dual_lshlrev_b32 v4, 3, v2
	s_mov_b32 s2, 0
	s_delay_alu instid0(VALU_DEP_1)
	v_mov_b32_e32 v11, v5
	v_mov_b32_e32 v14, v5
	;; [unrolled: 1-line block ×4, first 2 shown]
.LBB162_21:                             ; =>This Inner Loop Header: Depth=1
	v_ashrrev_i32_e32 v3, 31, v2
	s_delay_alu instid0(VALU_DEP_1) | instskip(SKIP_1) | instid1(VALU_DEP_2)
	v_lshlrev_b64 v[16:17], 2, v[2:3]
	v_add_nc_u32_e32 v2, 4, v2
	v_add_co_u32 v16, vcc_lo, s6, v16
	s_delay_alu instid0(VALU_DEP_3) | instskip(SKIP_2) | instid1(VALU_DEP_1)
	v_add_co_ci_u32_e32 v17, vcc_lo, s7, v17, vcc_lo
	global_load_b32 v3, v[16:17], off
	v_lshlrev_b64 v[16:17], 3, v[4:5]
	v_add_co_u32 v30, vcc_lo, s8, v16
	s_delay_alu instid0(VALU_DEP_2)
	v_add_co_ci_u32_e32 v31, vcc_lo, s9, v17, vcc_lo
	s_clause 0x2
	global_load_b128 v[16:19], v[30:31], off offset:16
	global_load_b128 v[20:23], v[30:31], off offset:48
	;; [unrolled: 1-line block ×3, first 2 shown]
	s_waitcnt vmcnt(3)
	v_subrev_nc_u32_e32 v3, s12, v3
	s_delay_alu instid0(VALU_DEP_1) | instskip(NEXT) | instid1(VALU_DEP_1)
	v_dual_mov_b32 v29, v5 :: v_dual_lshlrev_b32 v28, 2, v3
	v_lshlrev_b64 v[28:29], 3, v[28:29]
	s_delay_alu instid0(VALU_DEP_1) | instskip(NEXT) | instid1(VALU_DEP_2)
	v_add_co_u32 v36, vcc_lo, s10, v28
	v_add_co_ci_u32_e32 v37, vcc_lo, s11, v29, vcc_lo
	global_load_b128 v[28:31], v[30:31], off
	s_clause 0x1
	global_load_b128 v[32:35], v[36:37], off
	global_load_b128 v[36:39], v[36:37], off offset:16
	v_cmp_ge_i32_e32 vcc_lo, v2, v13
	s_or_b32 s2, vcc_lo, s2
	s_waitcnt vmcnt(1)
	v_fmac_f32_e32 v14, v28, v32
	v_fmac_f32_e32 v15, v24, v32
	;; [unrolled: 1-line block ×4, first 2 shown]
	s_delay_alu instid0(VALU_DEP_4) | instskip(NEXT) | instid1(VALU_DEP_4)
	v_fma_f32 v3, -v29, v33, v14
	v_fma_f32 v6, -v25, v33, v15
	s_delay_alu instid0(VALU_DEP_4) | instskip(NEXT) | instid1(VALU_DEP_4)
	v_fmac_f32_e32 v12, v24, v33
	v_fmac_f32_e32 v11, v28, v33
	s_delay_alu instid0(VALU_DEP_4) | instskip(NEXT) | instid1(VALU_DEP_4)
	v_fmac_f32_e32 v3, v30, v34
	v_fmac_f32_e32 v6, v26, v34
	;; [unrolled: 3-line block ×3, first 2 shown]
	s_delay_alu instid0(VALU_DEP_4) | instskip(NEXT) | instid1(VALU_DEP_4)
	v_fma_f32 v3, -v31, v35, v3
	v_fma_f32 v6, -v27, v35, v6
	s_delay_alu instid0(VALU_DEP_4) | instskip(NEXT) | instid1(VALU_DEP_4)
	v_fmac_f32_e32 v12, v26, v35
	v_fmac_f32_e32 v11, v30, v35
	s_waitcnt vmcnt(0)
	v_fmac_f32_e32 v3, v16, v36
	s_delay_alu instid0(VALU_DEP_3) | instskip(NEXT) | instid1(VALU_DEP_3)
	v_fmac_f32_e32 v12, v21, v36
	v_fmac_f32_e32 v11, v17, v36
	s_delay_alu instid0(VALU_DEP_3) | instskip(SKIP_1) | instid1(VALU_DEP_4)
	v_fma_f32 v3, -v17, v37, v3
	v_fmac_f32_e32 v6, v20, v36
	v_fmac_f32_e32 v12, v20, v37
	s_delay_alu instid0(VALU_DEP_4) | instskip(NEXT) | instid1(VALU_DEP_4)
	v_dual_fmac_f32 v11, v16, v37 :: v_dual_add_nc_u32 v4, 32, v4
	v_fmac_f32_e32 v3, v18, v38
	s_delay_alu instid0(VALU_DEP_4) | instskip(NEXT) | instid1(VALU_DEP_3)
	v_fma_f32 v6, -v21, v37, v6
	v_fmac_f32_e32 v11, v19, v38
	v_fmac_f32_e32 v12, v23, v38
	s_delay_alu instid0(VALU_DEP_4) | instskip(NEXT) | instid1(VALU_DEP_4)
	v_fma_f32 v14, -v19, v39, v3
	v_fmac_f32_e32 v6, v22, v38
	s_delay_alu instid0(VALU_DEP_4) | instskip(NEXT) | instid1(VALU_DEP_4)
	v_fmac_f32_e32 v11, v18, v39
	v_fmac_f32_e32 v12, v22, v39
	s_delay_alu instid0(VALU_DEP_3)
	v_fma_f32 v15, -v23, v39, v6
	s_and_not1_b32 exec_lo, exec_lo, s2
	s_cbranch_execnz .LBB162_21
; %bb.22:
	s_or_b32 exec_lo, exec_lo, s2
.LBB162_23:
	s_delay_alu instid0(SALU_CYCLE_1)
	s_or_b32 exec_lo, exec_lo, s3
.LBB162_24:
	v_mbcnt_lo_u32_b32 v2, -1, 0
	s_delay_alu instid0(VALU_DEP_1) | instskip(SKIP_1) | instid1(VALU_DEP_2)
	v_xor_b32_e32 v3, 2, v2
	v_xor_b32_e32 v13, 1, v2
	v_cmp_gt_i32_e32 vcc_lo, 32, v3
	v_cndmask_b32_e32 v3, v2, v3, vcc_lo
	s_delay_alu instid0(VALU_DEP_3) | instskip(SKIP_2) | instid1(VALU_DEP_2)
	v_cmp_gt_i32_e32 vcc_lo, 32, v13
	v_cndmask_b32_e32 v2, v2, v13, vcc_lo
	v_cmp_eq_u32_e32 vcc_lo, 3, v0
	v_lshlrev_b32_e32 v16, 2, v2
	v_lshlrev_b32_e32 v3, 2, v3
	ds_bpermute_b32 v4, v3, v14
	s_waitcnt lgkmcnt(0)
	v_add_f32_e32 v4, v14, v4
	ds_bpermute_b32 v5, v3, v11
	ds_bpermute_b32 v6, v3, v15
	;; [unrolled: 1-line block ×3, first 2 shown]
	s_waitcnt lgkmcnt(2)
	v_add_f32_e32 v5, v11, v5
	s_waitcnt lgkmcnt(0)
	v_dual_add_f32 v2, v15, v6 :: v_dual_add_f32 v3, v12, v3
	ds_bpermute_b32 v12, v16, v4
	ds_bpermute_b32 v13, v16, v5
	ds_bpermute_b32 v6, v16, v2
	ds_bpermute_b32 v11, v16, v3
	s_and_b32 exec_lo, exec_lo, vcc_lo
	s_cbranch_execz .LBB162_29
; %bb.25:
	s_load_b64 s[2:3], s[0:1], 0x38
	v_cmp_eq_f32_e32 vcc_lo, 0, v9
	v_cmp_eq_f32_e64 s0, 0, v10
	s_waitcnt lgkmcnt(0)
	v_dual_add_f32 v0, v4, v12 :: v_dual_add_f32 v3, v3, v11
	v_add_f32_e32 v4, v5, v13
	v_add_f32_e32 v2, v2, v6
	s_and_b32 s0, vcc_lo, s0
	s_delay_alu instid0(SALU_CYCLE_1) | instskip(NEXT) | instid1(SALU_CYCLE_1)
	s_and_saveexec_b32 s1, s0
	s_xor_b32 s0, exec_lo, s1
	s_cbranch_execz .LBB162_27
; %bb.26:
	v_dual_mul_f32 v10, v4, v7 :: v_dual_lshlrev_b32 v5, 1, v1
	v_mul_f32_e64 v9, v4, -v8
	v_mul_f32_e64 v11, v3, -v8
	v_mul_f32_e32 v12, v3, v7
	s_delay_alu instid0(VALU_DEP_4)
	v_ashrrev_i32_e32 v6, 31, v5
	v_fmac_f32_e32 v10, v8, v0
	v_fmac_f32_e32 v9, v7, v0
	;; [unrolled: 1-line block ×4, first 2 shown]
	v_lshlrev_b64 v[4:5], 3, v[5:6]
                                        ; implicit-def: $vgpr7
                                        ; implicit-def: $vgpr8
                                        ; implicit-def: $vgpr2
                                        ; implicit-def: $vgpr3
	s_delay_alu instid0(VALU_DEP_1) | instskip(NEXT) | instid1(VALU_DEP_2)
	v_add_co_u32 v0, vcc_lo, s2, v4
	v_add_co_ci_u32_e32 v1, vcc_lo, s3, v5, vcc_lo
                                        ; implicit-def: $vgpr4
	global_store_b128 v[0:1], v[9:12], off
                                        ; implicit-def: $vgpr9
                                        ; implicit-def: $vgpr10
                                        ; implicit-def: $vgpr1
                                        ; implicit-def: $vgpr0
.LBB162_27:
	s_and_not1_saveexec_b32 s0, s0
	s_cbranch_execz .LBB162_29
; %bb.28:
	v_lshlrev_b32_e32 v5, 1, v1
	v_mul_f32_e64 v15, v4, -v8
	v_mul_f32_e32 v1, v4, v7
	v_mul_f32_e64 v4, v3, -v8
	v_mul_f32_e32 v3, v3, v7
	s_delay_alu instid0(VALU_DEP_4) | instskip(NEXT) | instid1(VALU_DEP_3)
	v_fmac_f32_e32 v15, v7, v0
	v_fmac_f32_e32 v4, v7, v2
	v_ashrrev_i32_e32 v6, 31, v5
	s_delay_alu instid0(VALU_DEP_4) | instskip(NEXT) | instid1(VALU_DEP_2)
	v_fmac_f32_e32 v3, v8, v2
	v_lshlrev_b64 v[5:6], 3, v[5:6]
	s_delay_alu instid0(VALU_DEP_1) | instskip(NEXT) | instid1(VALU_DEP_2)
	v_add_co_u32 v5, vcc_lo, s2, v5
	v_add_co_ci_u32_e32 v6, vcc_lo, s3, v6, vcc_lo
	global_load_b128 v[11:14], v[5:6], off
	s_waitcnt vmcnt(0)
	v_dual_fmac_f32 v4, v9, v13 :: v_dual_fmac_f32 v1, v8, v0
	v_fmac_f32_e32 v15, v9, v11
	v_fmac_f32_e32 v3, v10, v13
	s_delay_alu instid0(VALU_DEP_3) | instskip(NEXT) | instid1(VALU_DEP_4)
	v_fma_f32 v2, -v10, v14, v4
	v_fmac_f32_e32 v1, v10, v11
	s_delay_alu instid0(VALU_DEP_4) | instskip(NEXT) | instid1(VALU_DEP_4)
	v_fma_f32 v0, -v10, v12, v15
	v_fmac_f32_e32 v3, v9, v14
	s_delay_alu instid0(VALU_DEP_3)
	v_fmac_f32_e32 v1, v9, v12
	global_store_b128 v[5:6], v[0:3], off
.LBB162_29:
	s_nop 0
	s_sendmsg sendmsg(MSG_DEALLOC_VGPRS)
	s_endpgm
	.section	.rodata,"a",@progbits
	.p2align	6, 0x0
	.amdhsa_kernel _ZN9rocsparseL19gebsrmvn_2xn_kernelILj128ELj4ELj4E21rocsparse_complex_numIfEEEvi20rocsparse_direction_NS_24const_host_device_scalarIT2_EEPKiS8_PKS5_SA_S6_PS5_21rocsparse_index_base_b
		.amdhsa_group_segment_fixed_size 0
		.amdhsa_private_segment_fixed_size 0
		.amdhsa_kernarg_size 72
		.amdhsa_user_sgpr_count 15
		.amdhsa_user_sgpr_dispatch_ptr 0
		.amdhsa_user_sgpr_queue_ptr 0
		.amdhsa_user_sgpr_kernarg_segment_ptr 1
		.amdhsa_user_sgpr_dispatch_id 0
		.amdhsa_user_sgpr_private_segment_size 0
		.amdhsa_wavefront_size32 1
		.amdhsa_uses_dynamic_stack 0
		.amdhsa_enable_private_segment 0
		.amdhsa_system_sgpr_workgroup_id_x 1
		.amdhsa_system_sgpr_workgroup_id_y 0
		.amdhsa_system_sgpr_workgroup_id_z 0
		.amdhsa_system_sgpr_workgroup_info 0
		.amdhsa_system_vgpr_workitem_id 0
		.amdhsa_next_free_vgpr 40
		.amdhsa_next_free_sgpr 16
		.amdhsa_reserve_vcc 1
		.amdhsa_float_round_mode_32 0
		.amdhsa_float_round_mode_16_64 0
		.amdhsa_float_denorm_mode_32 3
		.amdhsa_float_denorm_mode_16_64 3
		.amdhsa_dx10_clamp 1
		.amdhsa_ieee_mode 1
		.amdhsa_fp16_overflow 0
		.amdhsa_workgroup_processor_mode 1
		.amdhsa_memory_ordered 1
		.amdhsa_forward_progress 0
		.amdhsa_shared_vgpr_count 0
		.amdhsa_exception_fp_ieee_invalid_op 0
		.amdhsa_exception_fp_denorm_src 0
		.amdhsa_exception_fp_ieee_div_zero 0
		.amdhsa_exception_fp_ieee_overflow 0
		.amdhsa_exception_fp_ieee_underflow 0
		.amdhsa_exception_fp_ieee_inexact 0
		.amdhsa_exception_int_div_zero 0
	.end_amdhsa_kernel
	.section	.text._ZN9rocsparseL19gebsrmvn_2xn_kernelILj128ELj4ELj4E21rocsparse_complex_numIfEEEvi20rocsparse_direction_NS_24const_host_device_scalarIT2_EEPKiS8_PKS5_SA_S6_PS5_21rocsparse_index_base_b,"axG",@progbits,_ZN9rocsparseL19gebsrmvn_2xn_kernelILj128ELj4ELj4E21rocsparse_complex_numIfEEEvi20rocsparse_direction_NS_24const_host_device_scalarIT2_EEPKiS8_PKS5_SA_S6_PS5_21rocsparse_index_base_b,comdat
.Lfunc_end162:
	.size	_ZN9rocsparseL19gebsrmvn_2xn_kernelILj128ELj4ELj4E21rocsparse_complex_numIfEEEvi20rocsparse_direction_NS_24const_host_device_scalarIT2_EEPKiS8_PKS5_SA_S6_PS5_21rocsparse_index_base_b, .Lfunc_end162-_ZN9rocsparseL19gebsrmvn_2xn_kernelILj128ELj4ELj4E21rocsparse_complex_numIfEEEvi20rocsparse_direction_NS_24const_host_device_scalarIT2_EEPKiS8_PKS5_SA_S6_PS5_21rocsparse_index_base_b
                                        ; -- End function
	.section	.AMDGPU.csdata,"",@progbits
; Kernel info:
; codeLenInByte = 1864
; NumSgprs: 18
; NumVgprs: 40
; ScratchSize: 0
; MemoryBound: 0
; FloatMode: 240
; IeeeMode: 1
; LDSByteSize: 0 bytes/workgroup (compile time only)
; SGPRBlocks: 2
; VGPRBlocks: 4
; NumSGPRsForWavesPerEU: 18
; NumVGPRsForWavesPerEU: 40
; Occupancy: 16
; WaveLimiterHint : 1
; COMPUTE_PGM_RSRC2:SCRATCH_EN: 0
; COMPUTE_PGM_RSRC2:USER_SGPR: 15
; COMPUTE_PGM_RSRC2:TRAP_HANDLER: 0
; COMPUTE_PGM_RSRC2:TGID_X_EN: 1
; COMPUTE_PGM_RSRC2:TGID_Y_EN: 0
; COMPUTE_PGM_RSRC2:TGID_Z_EN: 0
; COMPUTE_PGM_RSRC2:TIDIG_COMP_CNT: 0
	.section	.text._ZN9rocsparseL19gebsrmvn_2xn_kernelILj128ELj4ELj8E21rocsparse_complex_numIfEEEvi20rocsparse_direction_NS_24const_host_device_scalarIT2_EEPKiS8_PKS5_SA_S6_PS5_21rocsparse_index_base_b,"axG",@progbits,_ZN9rocsparseL19gebsrmvn_2xn_kernelILj128ELj4ELj8E21rocsparse_complex_numIfEEEvi20rocsparse_direction_NS_24const_host_device_scalarIT2_EEPKiS8_PKS5_SA_S6_PS5_21rocsparse_index_base_b,comdat
	.globl	_ZN9rocsparseL19gebsrmvn_2xn_kernelILj128ELj4ELj8E21rocsparse_complex_numIfEEEvi20rocsparse_direction_NS_24const_host_device_scalarIT2_EEPKiS8_PKS5_SA_S6_PS5_21rocsparse_index_base_b ; -- Begin function _ZN9rocsparseL19gebsrmvn_2xn_kernelILj128ELj4ELj8E21rocsparse_complex_numIfEEEvi20rocsparse_direction_NS_24const_host_device_scalarIT2_EEPKiS8_PKS5_SA_S6_PS5_21rocsparse_index_base_b
	.p2align	8
	.type	_ZN9rocsparseL19gebsrmvn_2xn_kernelILj128ELj4ELj8E21rocsparse_complex_numIfEEEvi20rocsparse_direction_NS_24const_host_device_scalarIT2_EEPKiS8_PKS5_SA_S6_PS5_21rocsparse_index_base_b,@function
_ZN9rocsparseL19gebsrmvn_2xn_kernelILj128ELj4ELj8E21rocsparse_complex_numIfEEEvi20rocsparse_direction_NS_24const_host_device_scalarIT2_EEPKiS8_PKS5_SA_S6_PS5_21rocsparse_index_base_b: ; @_ZN9rocsparseL19gebsrmvn_2xn_kernelILj128ELj4ELj8E21rocsparse_complex_numIfEEEvi20rocsparse_direction_NS_24const_host_device_scalarIT2_EEPKiS8_PKS5_SA_S6_PS5_21rocsparse_index_base_b
; %bb.0:
	s_clause 0x2
	s_load_b64 s[12:13], s[0:1], 0x40
	s_load_b64 s[4:5], s[0:1], 0x8
	;; [unrolled: 1-line block ×3, first 2 shown]
	s_waitcnt lgkmcnt(0)
	s_bitcmp1_b32 s13, 0
	v_mov_b32_e32 v7, s4
	s_cselect_b32 s6, -1, 0
	s_delay_alu instid0(SALU_CYCLE_1)
	s_and_b32 vcc_lo, exec_lo, s6
	s_xor_b32 s6, s6, -1
	s_cbranch_vccz .LBB163_15
; %bb.1:
	v_cndmask_b32_e64 v1, 0, 1, s6
	v_mov_b32_e32 v8, s5
	s_and_not1_b32 vcc_lo, exec_lo, s6
	s_cbranch_vccz .LBB163_16
.LBB163_2:
	s_delay_alu instid0(VALU_DEP_2)
	v_cmp_ne_u32_e32 vcc_lo, 1, v1
	v_mov_b32_e32 v9, s2
	s_cbranch_vccz .LBB163_17
.LBB163_3:
	v_cmp_ne_u32_e32 vcc_lo, 1, v1
	v_mov_b32_e32 v10, s3
	s_cbranch_vccnz .LBB163_5
.LBB163_4:
	v_dual_mov_b32 v1, s2 :: v_dual_mov_b32 v2, s3
	flat_load_b32 v10, v[1:2] offset:4
.LBB163_5:
	s_waitcnt vmcnt(0) lgkmcnt(0)
	v_cmp_eq_f32_e32 vcc_lo, 0, v7
	v_cmp_eq_f32_e64 s2, 0, v8
	s_delay_alu instid0(VALU_DEP_1)
	s_and_b32 s4, vcc_lo, s2
	s_mov_b32 s2, -1
	s_and_saveexec_b32 s3, s4
; %bb.6:
	v_cmp_neq_f32_e32 vcc_lo, 1.0, v9
	v_cmp_neq_f32_e64 s2, 0, v10
	s_delay_alu instid0(VALU_DEP_1) | instskip(NEXT) | instid1(SALU_CYCLE_1)
	s_or_b32 s2, vcc_lo, s2
	s_or_not1_b32 s2, s2, exec_lo
; %bb.7:
	s_or_b32 exec_lo, exec_lo, s3
	s_and_saveexec_b32 s3, s2
	s_cbranch_execz .LBB163_29
; %bb.8:
	s_load_b64 s[2:3], s[0:1], 0x0
	v_lshrrev_b32_e32 v1, 3, v0
	s_delay_alu instid0(VALU_DEP_1) | instskip(SKIP_1) | instid1(VALU_DEP_1)
	v_lshl_or_b32 v1, s15, 4, v1
	s_waitcnt lgkmcnt(0)
	v_cmp_gt_i32_e32 vcc_lo, s2, v1
	s_and_b32 exec_lo, exec_lo, vcc_lo
	s_cbranch_execz .LBB163_29
; %bb.9:
	s_load_b256 s[4:11], s[0:1], 0x10
	v_ashrrev_i32_e32 v2, 31, v1
	v_and_b32_e32 v0, 7, v0
	s_cmp_lg_u32 s3, 0
	s_delay_alu instid0(VALU_DEP_2) | instskip(SKIP_1) | instid1(VALU_DEP_1)
	v_lshlrev_b64 v[2:3], 2, v[1:2]
	s_waitcnt lgkmcnt(0)
	v_add_co_u32 v2, vcc_lo, s4, v2
	s_delay_alu instid0(VALU_DEP_2) | instskip(SKIP_4) | instid1(VALU_DEP_2)
	v_add_co_ci_u32_e32 v3, vcc_lo, s5, v3, vcc_lo
	global_load_b64 v[2:3], v[2:3], off
	s_waitcnt vmcnt(0)
	v_subrev_nc_u32_e32 v2, s12, v2
	v_subrev_nc_u32_e32 v13, s12, v3
	v_add_nc_u32_e32 v2, v2, v0
	s_delay_alu instid0(VALU_DEP_1)
	v_cmp_lt_i32_e64 s2, v2, v13
	s_cbranch_scc0 .LBB163_18
; %bb.10:
	v_dual_mov_b32 v11, 0 :: v_dual_mov_b32 v14, 0
	v_dual_mov_b32 v15, 0 :: v_dual_mov_b32 v12, 0
	s_mov_b32 s3, 0
	s_and_saveexec_b32 s4, s2
	s_cbranch_execz .LBB163_14
; %bb.11:
	v_dual_mov_b32 v4, 0 :: v_dual_lshlrev_b32 v3, 3, v2
	v_mov_b32_e32 v5, v2
	s_mov_b32 s5, 0
	s_delay_alu instid0(VALU_DEP_2)
	v_mov_b32_e32 v14, v4
	v_mov_b32_e32 v11, v4
	;; [unrolled: 1-line block ×4, first 2 shown]
.LBB163_12:                             ; =>This Inner Loop Header: Depth=1
	v_ashrrev_i32_e32 v6, 31, v5
	s_delay_alu instid0(VALU_DEP_1) | instskip(SKIP_1) | instid1(VALU_DEP_2)
	v_lshlrev_b64 v[16:17], 2, v[5:6]
	v_add_nc_u32_e32 v5, 8, v5
	v_add_co_u32 v16, vcc_lo, s6, v16
	s_delay_alu instid0(VALU_DEP_3) | instskip(SKIP_3) | instid1(VALU_DEP_2)
	v_add_co_ci_u32_e32 v17, vcc_lo, s7, v17, vcc_lo
	global_load_b32 v6, v[16:17], off
	v_lshlrev_b64 v[16:17], 3, v[3:4]
	v_add_nc_u32_e32 v3, 64, v3
	v_add_co_u32 v36, vcc_lo, s8, v16
	s_delay_alu instid0(VALU_DEP_3) | instskip(SKIP_3) | instid1(VALU_DEP_1)
	v_add_co_ci_u32_e32 v37, vcc_lo, s9, v17, vcc_lo
	global_load_b128 v[16:19], v[36:37], off offset:16
	s_waitcnt vmcnt(1)
	v_subrev_nc_u32_e32 v6, s12, v6
	v_dual_mov_b32 v21, v4 :: v_dual_lshlrev_b32 v20, 2, v6
	s_delay_alu instid0(VALU_DEP_1) | instskip(NEXT) | instid1(VALU_DEP_1)
	v_lshlrev_b64 v[20:21], 3, v[20:21]
	v_add_co_u32 v28, vcc_lo, s10, v20
	s_delay_alu instid0(VALU_DEP_2)
	v_add_co_ci_u32_e32 v29, vcc_lo, s11, v21, vcc_lo
	global_load_b128 v[20:23], v[36:37], off
	s_clause 0x1
	global_load_b128 v[24:27], v[28:29], off
	global_load_b128 v[28:31], v[28:29], off offset:16
	s_clause 0x1
	global_load_b128 v[32:35], v[36:37], off offset:32
	global_load_b128 v[36:39], v[36:37], off offset:48
	v_cmp_ge_i32_e32 vcc_lo, v5, v13
	s_or_b32 s5, vcc_lo, s5
	s_waitcnt vmcnt(3)
	v_fmac_f32_e32 v12, v23, v24
	s_delay_alu instid0(VALU_DEP_1) | instskip(NEXT) | instid1(VALU_DEP_1)
	v_dual_fmac_f32 v11, v21, v24 :: v_dual_fmac_f32 v12, v22, v25
	v_fmac_f32_e32 v11, v20, v25
	s_delay_alu instid0(VALU_DEP_1) | instskip(NEXT) | instid1(VALU_DEP_1)
	v_dual_fmac_f32 v14, v20, v24 :: v_dual_fmac_f32 v11, v17, v26
	v_fma_f32 v6, -v21, v25, v14
	v_fmac_f32_e32 v15, v22, v24
	s_delay_alu instid0(VALU_DEP_3) | instskip(NEXT) | instid1(VALU_DEP_3)
	v_fmac_f32_e32 v11, v16, v27
	v_fmac_f32_e32 v6, v16, v26
	s_delay_alu instid0(VALU_DEP_3) | instskip(SKIP_1) | instid1(VALU_DEP_3)
	v_fma_f32 v14, -v23, v25, v15
	s_waitcnt vmcnt(1)
	v_dual_fmac_f32 v12, v19, v26 :: v_dual_fmac_f32 v11, v33, v28
	s_delay_alu instid0(VALU_DEP_3) | instskip(NEXT) | instid1(VALU_DEP_3)
	v_fma_f32 v6, -v17, v27, v6
	v_fmac_f32_e32 v14, v18, v26
	s_delay_alu instid0(VALU_DEP_3) | instskip(NEXT) | instid1(VALU_DEP_3)
	v_dual_fmac_f32 v12, v18, v27 :: v_dual_fmac_f32 v11, v32, v29
	v_fmac_f32_e32 v6, v32, v28
	s_delay_alu instid0(VALU_DEP_3) | instskip(SKIP_1) | instid1(VALU_DEP_3)
	v_fma_f32 v14, -v19, v27, v14
	s_waitcnt vmcnt(0)
	v_dual_fmac_f32 v12, v35, v28 :: v_dual_fmac_f32 v11, v37, v30
	s_delay_alu instid0(VALU_DEP_3) | instskip(NEXT) | instid1(VALU_DEP_3)
	v_fma_f32 v6, -v33, v29, v6
	v_fmac_f32_e32 v14, v34, v28
	s_delay_alu instid0(VALU_DEP_3) | instskip(NEXT) | instid1(VALU_DEP_3)
	v_dual_fmac_f32 v12, v34, v29 :: v_dual_fmac_f32 v11, v36, v31
	v_fmac_f32_e32 v6, v36, v30
	s_delay_alu instid0(VALU_DEP_3) | instskip(NEXT) | instid1(VALU_DEP_3)
	v_fma_f32 v15, -v35, v29, v14
	v_fmac_f32_e32 v12, v39, v30
	s_delay_alu instid0(VALU_DEP_3) | instskip(NEXT) | instid1(VALU_DEP_3)
	v_fma_f32 v14, -v37, v31, v6
	v_fmac_f32_e32 v15, v38, v30
	s_delay_alu instid0(VALU_DEP_3) | instskip(NEXT) | instid1(VALU_DEP_2)
	v_fmac_f32_e32 v12, v38, v31
	v_fma_f32 v15, -v39, v31, v15
	s_and_not1_b32 exec_lo, exec_lo, s5
	s_cbranch_execnz .LBB163_12
; %bb.13:
	s_or_b32 exec_lo, exec_lo, s5
.LBB163_14:
	s_delay_alu instid0(SALU_CYCLE_1) | instskip(NEXT) | instid1(SALU_CYCLE_1)
	s_or_b32 exec_lo, exec_lo, s4
	s_and_not1_b32 vcc_lo, exec_lo, s3
	s_cbranch_vccz .LBB163_19
	s_branch .LBB163_24
.LBB163_15:
	v_dual_mov_b32 v1, s4 :: v_dual_mov_b32 v2, s5
	flat_load_b32 v7, v[1:2]
	v_cndmask_b32_e64 v1, 0, 1, s6
	v_mov_b32_e32 v8, s5
	s_and_not1_b32 vcc_lo, exec_lo, s6
	s_cbranch_vccnz .LBB163_2
.LBB163_16:
	v_dual_mov_b32 v2, s4 :: v_dual_mov_b32 v3, s5
	flat_load_b32 v8, v[2:3] offset:4
	v_cmp_ne_u32_e32 vcc_lo, 1, v1
	v_mov_b32_e32 v9, s2
	s_cbranch_vccnz .LBB163_3
.LBB163_17:
	v_dual_mov_b32 v2, s2 :: v_dual_mov_b32 v3, s3
	flat_load_b32 v9, v[2:3]
	v_cmp_ne_u32_e32 vcc_lo, 1, v1
	v_mov_b32_e32 v10, s3
	s_cbranch_vccz .LBB163_4
	s_branch .LBB163_5
.LBB163_18:
                                        ; implicit-def: $vgpr11
                                        ; implicit-def: $vgpr14
                                        ; implicit-def: $vgpr15
                                        ; implicit-def: $vgpr12
.LBB163_19:
	v_dual_mov_b32 v11, 0 :: v_dual_mov_b32 v14, 0
	v_dual_mov_b32 v15, 0 :: v_dual_mov_b32 v12, 0
	s_delay_alu instid0(VALU_DEP_3)
	s_and_saveexec_b32 s3, s2
	s_cbranch_execz .LBB163_23
; %bb.20:
	v_dual_mov_b32 v5, 0 :: v_dual_lshlrev_b32 v4, 3, v2
	s_mov_b32 s2, 0
	s_delay_alu instid0(VALU_DEP_1)
	v_mov_b32_e32 v11, v5
	v_mov_b32_e32 v14, v5
	;; [unrolled: 1-line block ×4, first 2 shown]
.LBB163_21:                             ; =>This Inner Loop Header: Depth=1
	v_ashrrev_i32_e32 v3, 31, v2
	s_delay_alu instid0(VALU_DEP_1) | instskip(SKIP_1) | instid1(VALU_DEP_2)
	v_lshlrev_b64 v[16:17], 2, v[2:3]
	v_add_nc_u32_e32 v2, 8, v2
	v_add_co_u32 v16, vcc_lo, s6, v16
	s_delay_alu instid0(VALU_DEP_3) | instskip(SKIP_2) | instid1(VALU_DEP_1)
	v_add_co_ci_u32_e32 v17, vcc_lo, s7, v17, vcc_lo
	global_load_b32 v3, v[16:17], off
	v_lshlrev_b64 v[16:17], 3, v[4:5]
	v_add_co_u32 v30, vcc_lo, s8, v16
	s_delay_alu instid0(VALU_DEP_2)
	v_add_co_ci_u32_e32 v31, vcc_lo, s9, v17, vcc_lo
	s_clause 0x2
	global_load_b128 v[16:19], v[30:31], off offset:16
	global_load_b128 v[20:23], v[30:31], off offset:48
	;; [unrolled: 1-line block ×3, first 2 shown]
	s_waitcnt vmcnt(3)
	v_subrev_nc_u32_e32 v3, s12, v3
	s_delay_alu instid0(VALU_DEP_1) | instskip(NEXT) | instid1(VALU_DEP_1)
	v_dual_mov_b32 v29, v5 :: v_dual_lshlrev_b32 v28, 2, v3
	v_lshlrev_b64 v[28:29], 3, v[28:29]
	s_delay_alu instid0(VALU_DEP_1) | instskip(NEXT) | instid1(VALU_DEP_2)
	v_add_co_u32 v36, vcc_lo, s10, v28
	v_add_co_ci_u32_e32 v37, vcc_lo, s11, v29, vcc_lo
	global_load_b128 v[28:31], v[30:31], off
	s_clause 0x1
	global_load_b128 v[32:35], v[36:37], off
	global_load_b128 v[36:39], v[36:37], off offset:16
	v_cmp_ge_i32_e32 vcc_lo, v2, v13
	s_or_b32 s2, vcc_lo, s2
	s_waitcnt vmcnt(1)
	v_fmac_f32_e32 v14, v28, v32
	v_fmac_f32_e32 v15, v24, v32
	;; [unrolled: 1-line block ×4, first 2 shown]
	s_delay_alu instid0(VALU_DEP_4) | instskip(NEXT) | instid1(VALU_DEP_4)
	v_fma_f32 v3, -v29, v33, v14
	v_fma_f32 v6, -v25, v33, v15
	s_delay_alu instid0(VALU_DEP_4) | instskip(NEXT) | instid1(VALU_DEP_4)
	v_fmac_f32_e32 v12, v24, v33
	v_fmac_f32_e32 v11, v28, v33
	s_delay_alu instid0(VALU_DEP_4) | instskip(NEXT) | instid1(VALU_DEP_4)
	v_fmac_f32_e32 v3, v30, v34
	v_fmac_f32_e32 v6, v26, v34
	;; [unrolled: 3-line block ×3, first 2 shown]
	s_delay_alu instid0(VALU_DEP_4) | instskip(NEXT) | instid1(VALU_DEP_4)
	v_fma_f32 v3, -v31, v35, v3
	v_fma_f32 v6, -v27, v35, v6
	s_delay_alu instid0(VALU_DEP_4) | instskip(NEXT) | instid1(VALU_DEP_4)
	v_fmac_f32_e32 v12, v26, v35
	v_fmac_f32_e32 v11, v30, v35
	s_waitcnt vmcnt(0)
	v_fmac_f32_e32 v3, v16, v36
	s_delay_alu instid0(VALU_DEP_3) | instskip(NEXT) | instid1(VALU_DEP_3)
	v_fmac_f32_e32 v12, v21, v36
	v_fmac_f32_e32 v11, v17, v36
	s_delay_alu instid0(VALU_DEP_3) | instskip(SKIP_1) | instid1(VALU_DEP_4)
	v_fma_f32 v3, -v17, v37, v3
	v_fmac_f32_e32 v6, v20, v36
	v_fmac_f32_e32 v12, v20, v37
	s_delay_alu instid0(VALU_DEP_4) | instskip(NEXT) | instid1(VALU_DEP_4)
	v_dual_fmac_f32 v11, v16, v37 :: v_dual_add_nc_u32 v4, 64, v4
	v_fmac_f32_e32 v3, v18, v38
	s_delay_alu instid0(VALU_DEP_4) | instskip(NEXT) | instid1(VALU_DEP_3)
	v_fma_f32 v6, -v21, v37, v6
	v_fmac_f32_e32 v11, v19, v38
	v_fmac_f32_e32 v12, v23, v38
	s_delay_alu instid0(VALU_DEP_4) | instskip(NEXT) | instid1(VALU_DEP_4)
	v_fma_f32 v14, -v19, v39, v3
	v_fmac_f32_e32 v6, v22, v38
	s_delay_alu instid0(VALU_DEP_4) | instskip(NEXT) | instid1(VALU_DEP_4)
	v_fmac_f32_e32 v11, v18, v39
	v_fmac_f32_e32 v12, v22, v39
	s_delay_alu instid0(VALU_DEP_3)
	v_fma_f32 v15, -v23, v39, v6
	s_and_not1_b32 exec_lo, exec_lo, s2
	s_cbranch_execnz .LBB163_21
; %bb.22:
	s_or_b32 exec_lo, exec_lo, s2
.LBB163_23:
	s_delay_alu instid0(SALU_CYCLE_1)
	s_or_b32 exec_lo, exec_lo, s3
.LBB163_24:
	v_mbcnt_lo_u32_b32 v2, -1, 0
	s_delay_alu instid0(VALU_DEP_1) | instskip(SKIP_1) | instid1(VALU_DEP_2)
	v_xor_b32_e32 v3, 4, v2
	v_xor_b32_e32 v13, 2, v2
	v_cmp_gt_i32_e32 vcc_lo, 32, v3
	v_cndmask_b32_e32 v3, v2, v3, vcc_lo
	s_delay_alu instid0(VALU_DEP_3) | instskip(NEXT) | instid1(VALU_DEP_2)
	v_cmp_gt_i32_e32 vcc_lo, 32, v13
	v_lshlrev_b32_e32 v3, 2, v3
	ds_bpermute_b32 v4, v3, v14
	s_waitcnt lgkmcnt(0)
	v_add_f32_e32 v4, v14, v4
	ds_bpermute_b32 v6, v3, v15
	v_cndmask_b32_e32 v13, v2, v13, vcc_lo
	ds_bpermute_b32 v5, v3, v11
	ds_bpermute_b32 v3, v3, v12
	s_waitcnt lgkmcnt(2)
	v_add_f32_e32 v6, v15, v6
	v_xor_b32_e32 v15, 1, v2
	s_waitcnt lgkmcnt(0)
	v_add_f32_e32 v3, v12, v3
	s_delay_alu instid0(VALU_DEP_2)
	v_cmp_gt_i32_e32 vcc_lo, 32, v15
	v_dual_cndmask_b32 v2, v2, v15 :: v_dual_lshlrev_b32 v13, 2, v13
	ds_bpermute_b32 v14, v13, v6
	v_add_f32_e32 v5, v11, v5
	ds_bpermute_b32 v11, v13, v4
	v_cmp_eq_u32_e32 vcc_lo, 7, v0
	v_lshlrev_b32_e32 v15, 2, v2
	s_waitcnt lgkmcnt(1)
	v_add_f32_e32 v2, v6, v14
	ds_bpermute_b32 v12, v13, v5
	ds_bpermute_b32 v13, v13, v3
	s_waitcnt lgkmcnt(2)
	v_add_f32_e32 v4, v4, v11
	ds_bpermute_b32 v6, v15, v2
	s_waitcnt lgkmcnt(2)
	v_add_f32_e32 v5, v5, v12
	s_waitcnt lgkmcnt(1)
	v_add_f32_e32 v3, v3, v13
	ds_bpermute_b32 v12, v15, v4
	ds_bpermute_b32 v13, v15, v5
	;; [unrolled: 1-line block ×3, first 2 shown]
	s_and_b32 exec_lo, exec_lo, vcc_lo
	s_cbranch_execz .LBB163_29
; %bb.25:
	s_load_b64 s[2:3], s[0:1], 0x38
	v_cmp_eq_f32_e32 vcc_lo, 0, v9
	v_cmp_eq_f32_e64 s0, 0, v10
	s_waitcnt lgkmcnt(0)
	v_dual_add_f32 v0, v4, v12 :: v_dual_add_f32 v3, v3, v11
	v_add_f32_e32 v4, v5, v13
	v_add_f32_e32 v2, v2, v6
	s_and_b32 s0, vcc_lo, s0
	s_delay_alu instid0(SALU_CYCLE_1) | instskip(NEXT) | instid1(SALU_CYCLE_1)
	s_and_saveexec_b32 s1, s0
	s_xor_b32 s0, exec_lo, s1
	s_cbranch_execz .LBB163_27
; %bb.26:
	v_dual_mul_f32 v10, v4, v7 :: v_dual_lshlrev_b32 v5, 1, v1
	v_mul_f32_e64 v9, v4, -v8
	v_mul_f32_e64 v11, v3, -v8
	v_mul_f32_e32 v12, v3, v7
	s_delay_alu instid0(VALU_DEP_4)
	v_ashrrev_i32_e32 v6, 31, v5
	v_fmac_f32_e32 v10, v8, v0
	v_fmac_f32_e32 v9, v7, v0
	;; [unrolled: 1-line block ×4, first 2 shown]
	v_lshlrev_b64 v[4:5], 3, v[5:6]
                                        ; implicit-def: $vgpr7
                                        ; implicit-def: $vgpr8
                                        ; implicit-def: $vgpr2
                                        ; implicit-def: $vgpr3
	s_delay_alu instid0(VALU_DEP_1) | instskip(NEXT) | instid1(VALU_DEP_2)
	v_add_co_u32 v0, vcc_lo, s2, v4
	v_add_co_ci_u32_e32 v1, vcc_lo, s3, v5, vcc_lo
                                        ; implicit-def: $vgpr4
	global_store_b128 v[0:1], v[9:12], off
                                        ; implicit-def: $vgpr9
                                        ; implicit-def: $vgpr10
                                        ; implicit-def: $vgpr1
                                        ; implicit-def: $vgpr0
.LBB163_27:
	s_and_not1_saveexec_b32 s0, s0
	s_cbranch_execz .LBB163_29
; %bb.28:
	v_lshlrev_b32_e32 v5, 1, v1
	v_mul_f32_e64 v15, v4, -v8
	v_mul_f32_e32 v1, v4, v7
	v_mul_f32_e64 v4, v3, -v8
	v_mul_f32_e32 v3, v3, v7
	s_delay_alu instid0(VALU_DEP_4) | instskip(NEXT) | instid1(VALU_DEP_3)
	v_fmac_f32_e32 v15, v7, v0
	v_fmac_f32_e32 v4, v7, v2
	v_ashrrev_i32_e32 v6, 31, v5
	s_delay_alu instid0(VALU_DEP_4) | instskip(NEXT) | instid1(VALU_DEP_2)
	v_fmac_f32_e32 v3, v8, v2
	v_lshlrev_b64 v[5:6], 3, v[5:6]
	s_delay_alu instid0(VALU_DEP_1) | instskip(NEXT) | instid1(VALU_DEP_2)
	v_add_co_u32 v5, vcc_lo, s2, v5
	v_add_co_ci_u32_e32 v6, vcc_lo, s3, v6, vcc_lo
	global_load_b128 v[11:14], v[5:6], off
	s_waitcnt vmcnt(0)
	v_dual_fmac_f32 v4, v9, v13 :: v_dual_fmac_f32 v1, v8, v0
	v_fmac_f32_e32 v15, v9, v11
	v_fmac_f32_e32 v3, v10, v13
	s_delay_alu instid0(VALU_DEP_3) | instskip(NEXT) | instid1(VALU_DEP_4)
	v_fma_f32 v2, -v10, v14, v4
	v_fmac_f32_e32 v1, v10, v11
	s_delay_alu instid0(VALU_DEP_4) | instskip(NEXT) | instid1(VALU_DEP_4)
	v_fma_f32 v0, -v10, v12, v15
	v_fmac_f32_e32 v3, v9, v14
	s_delay_alu instid0(VALU_DEP_3)
	v_fmac_f32_e32 v1, v9, v12
	global_store_b128 v[5:6], v[0:3], off
.LBB163_29:
	s_nop 0
	s_sendmsg sendmsg(MSG_DEALLOC_VGPRS)
	s_endpgm
	.section	.rodata,"a",@progbits
	.p2align	6, 0x0
	.amdhsa_kernel _ZN9rocsparseL19gebsrmvn_2xn_kernelILj128ELj4ELj8E21rocsparse_complex_numIfEEEvi20rocsparse_direction_NS_24const_host_device_scalarIT2_EEPKiS8_PKS5_SA_S6_PS5_21rocsparse_index_base_b
		.amdhsa_group_segment_fixed_size 0
		.amdhsa_private_segment_fixed_size 0
		.amdhsa_kernarg_size 72
		.amdhsa_user_sgpr_count 15
		.amdhsa_user_sgpr_dispatch_ptr 0
		.amdhsa_user_sgpr_queue_ptr 0
		.amdhsa_user_sgpr_kernarg_segment_ptr 1
		.amdhsa_user_sgpr_dispatch_id 0
		.amdhsa_user_sgpr_private_segment_size 0
		.amdhsa_wavefront_size32 1
		.amdhsa_uses_dynamic_stack 0
		.amdhsa_enable_private_segment 0
		.amdhsa_system_sgpr_workgroup_id_x 1
		.amdhsa_system_sgpr_workgroup_id_y 0
		.amdhsa_system_sgpr_workgroup_id_z 0
		.amdhsa_system_sgpr_workgroup_info 0
		.amdhsa_system_vgpr_workitem_id 0
		.amdhsa_next_free_vgpr 40
		.amdhsa_next_free_sgpr 16
		.amdhsa_reserve_vcc 1
		.amdhsa_float_round_mode_32 0
		.amdhsa_float_round_mode_16_64 0
		.amdhsa_float_denorm_mode_32 3
		.amdhsa_float_denorm_mode_16_64 3
		.amdhsa_dx10_clamp 1
		.amdhsa_ieee_mode 1
		.amdhsa_fp16_overflow 0
		.amdhsa_workgroup_processor_mode 1
		.amdhsa_memory_ordered 1
		.amdhsa_forward_progress 0
		.amdhsa_shared_vgpr_count 0
		.amdhsa_exception_fp_ieee_invalid_op 0
		.amdhsa_exception_fp_denorm_src 0
		.amdhsa_exception_fp_ieee_div_zero 0
		.amdhsa_exception_fp_ieee_overflow 0
		.amdhsa_exception_fp_ieee_underflow 0
		.amdhsa_exception_fp_ieee_inexact 0
		.amdhsa_exception_int_div_zero 0
	.end_amdhsa_kernel
	.section	.text._ZN9rocsparseL19gebsrmvn_2xn_kernelILj128ELj4ELj8E21rocsparse_complex_numIfEEEvi20rocsparse_direction_NS_24const_host_device_scalarIT2_EEPKiS8_PKS5_SA_S6_PS5_21rocsparse_index_base_b,"axG",@progbits,_ZN9rocsparseL19gebsrmvn_2xn_kernelILj128ELj4ELj8E21rocsparse_complex_numIfEEEvi20rocsparse_direction_NS_24const_host_device_scalarIT2_EEPKiS8_PKS5_SA_S6_PS5_21rocsparse_index_base_b,comdat
.Lfunc_end163:
	.size	_ZN9rocsparseL19gebsrmvn_2xn_kernelILj128ELj4ELj8E21rocsparse_complex_numIfEEEvi20rocsparse_direction_NS_24const_host_device_scalarIT2_EEPKiS8_PKS5_SA_S6_PS5_21rocsparse_index_base_b, .Lfunc_end163-_ZN9rocsparseL19gebsrmvn_2xn_kernelILj128ELj4ELj8E21rocsparse_complex_numIfEEEvi20rocsparse_direction_NS_24const_host_device_scalarIT2_EEPKiS8_PKS5_SA_S6_PS5_21rocsparse_index_base_b
                                        ; -- End function
	.section	.AMDGPU.csdata,"",@progbits
; Kernel info:
; codeLenInByte = 1948
; NumSgprs: 18
; NumVgprs: 40
; ScratchSize: 0
; MemoryBound: 0
; FloatMode: 240
; IeeeMode: 1
; LDSByteSize: 0 bytes/workgroup (compile time only)
; SGPRBlocks: 2
; VGPRBlocks: 4
; NumSGPRsForWavesPerEU: 18
; NumVGPRsForWavesPerEU: 40
; Occupancy: 16
; WaveLimiterHint : 1
; COMPUTE_PGM_RSRC2:SCRATCH_EN: 0
; COMPUTE_PGM_RSRC2:USER_SGPR: 15
; COMPUTE_PGM_RSRC2:TRAP_HANDLER: 0
; COMPUTE_PGM_RSRC2:TGID_X_EN: 1
; COMPUTE_PGM_RSRC2:TGID_Y_EN: 0
; COMPUTE_PGM_RSRC2:TGID_Z_EN: 0
; COMPUTE_PGM_RSRC2:TIDIG_COMP_CNT: 0
	.section	.text._ZN9rocsparseL19gebsrmvn_2xn_kernelILj128ELj4ELj16E21rocsparse_complex_numIfEEEvi20rocsparse_direction_NS_24const_host_device_scalarIT2_EEPKiS8_PKS5_SA_S6_PS5_21rocsparse_index_base_b,"axG",@progbits,_ZN9rocsparseL19gebsrmvn_2xn_kernelILj128ELj4ELj16E21rocsparse_complex_numIfEEEvi20rocsparse_direction_NS_24const_host_device_scalarIT2_EEPKiS8_PKS5_SA_S6_PS5_21rocsparse_index_base_b,comdat
	.globl	_ZN9rocsparseL19gebsrmvn_2xn_kernelILj128ELj4ELj16E21rocsparse_complex_numIfEEEvi20rocsparse_direction_NS_24const_host_device_scalarIT2_EEPKiS8_PKS5_SA_S6_PS5_21rocsparse_index_base_b ; -- Begin function _ZN9rocsparseL19gebsrmvn_2xn_kernelILj128ELj4ELj16E21rocsparse_complex_numIfEEEvi20rocsparse_direction_NS_24const_host_device_scalarIT2_EEPKiS8_PKS5_SA_S6_PS5_21rocsparse_index_base_b
	.p2align	8
	.type	_ZN9rocsparseL19gebsrmvn_2xn_kernelILj128ELj4ELj16E21rocsparse_complex_numIfEEEvi20rocsparse_direction_NS_24const_host_device_scalarIT2_EEPKiS8_PKS5_SA_S6_PS5_21rocsparse_index_base_b,@function
_ZN9rocsparseL19gebsrmvn_2xn_kernelILj128ELj4ELj16E21rocsparse_complex_numIfEEEvi20rocsparse_direction_NS_24const_host_device_scalarIT2_EEPKiS8_PKS5_SA_S6_PS5_21rocsparse_index_base_b: ; @_ZN9rocsparseL19gebsrmvn_2xn_kernelILj128ELj4ELj16E21rocsparse_complex_numIfEEEvi20rocsparse_direction_NS_24const_host_device_scalarIT2_EEPKiS8_PKS5_SA_S6_PS5_21rocsparse_index_base_b
; %bb.0:
	s_clause 0x2
	s_load_b64 s[12:13], s[0:1], 0x40
	s_load_b64 s[4:5], s[0:1], 0x8
	;; [unrolled: 1-line block ×3, first 2 shown]
	s_waitcnt lgkmcnt(0)
	s_bitcmp1_b32 s13, 0
	v_mov_b32_e32 v7, s4
	s_cselect_b32 s6, -1, 0
	s_delay_alu instid0(SALU_CYCLE_1)
	s_and_b32 vcc_lo, exec_lo, s6
	s_xor_b32 s6, s6, -1
	s_cbranch_vccz .LBB164_15
; %bb.1:
	v_cndmask_b32_e64 v1, 0, 1, s6
	v_mov_b32_e32 v8, s5
	s_and_not1_b32 vcc_lo, exec_lo, s6
	s_cbranch_vccz .LBB164_16
.LBB164_2:
	s_delay_alu instid0(VALU_DEP_2)
	v_cmp_ne_u32_e32 vcc_lo, 1, v1
	v_mov_b32_e32 v9, s2
	s_cbranch_vccz .LBB164_17
.LBB164_3:
	v_cmp_ne_u32_e32 vcc_lo, 1, v1
	v_mov_b32_e32 v10, s3
	s_cbranch_vccnz .LBB164_5
.LBB164_4:
	v_dual_mov_b32 v1, s2 :: v_dual_mov_b32 v2, s3
	flat_load_b32 v10, v[1:2] offset:4
.LBB164_5:
	s_waitcnt vmcnt(0) lgkmcnt(0)
	v_cmp_eq_f32_e32 vcc_lo, 0, v7
	v_cmp_eq_f32_e64 s2, 0, v8
	s_delay_alu instid0(VALU_DEP_1)
	s_and_b32 s4, vcc_lo, s2
	s_mov_b32 s2, -1
	s_and_saveexec_b32 s3, s4
; %bb.6:
	v_cmp_neq_f32_e32 vcc_lo, 1.0, v9
	v_cmp_neq_f32_e64 s2, 0, v10
	s_delay_alu instid0(VALU_DEP_1) | instskip(NEXT) | instid1(SALU_CYCLE_1)
	s_or_b32 s2, vcc_lo, s2
	s_or_not1_b32 s2, s2, exec_lo
; %bb.7:
	s_or_b32 exec_lo, exec_lo, s3
	s_and_saveexec_b32 s3, s2
	s_cbranch_execz .LBB164_29
; %bb.8:
	s_load_b64 s[2:3], s[0:1], 0x0
	v_lshrrev_b32_e32 v1, 4, v0
	s_delay_alu instid0(VALU_DEP_1) | instskip(SKIP_1) | instid1(VALU_DEP_1)
	v_lshl_or_b32 v1, s15, 3, v1
	s_waitcnt lgkmcnt(0)
	v_cmp_gt_i32_e32 vcc_lo, s2, v1
	s_and_b32 exec_lo, exec_lo, vcc_lo
	s_cbranch_execz .LBB164_29
; %bb.9:
	s_load_b256 s[4:11], s[0:1], 0x10
	v_ashrrev_i32_e32 v2, 31, v1
	v_and_b32_e32 v0, 15, v0
	s_cmp_lg_u32 s3, 0
	s_delay_alu instid0(VALU_DEP_2) | instskip(SKIP_1) | instid1(VALU_DEP_1)
	v_lshlrev_b64 v[2:3], 2, v[1:2]
	s_waitcnt lgkmcnt(0)
	v_add_co_u32 v2, vcc_lo, s4, v2
	s_delay_alu instid0(VALU_DEP_2) | instskip(SKIP_4) | instid1(VALU_DEP_2)
	v_add_co_ci_u32_e32 v3, vcc_lo, s5, v3, vcc_lo
	global_load_b64 v[2:3], v[2:3], off
	s_waitcnt vmcnt(0)
	v_subrev_nc_u32_e32 v2, s12, v2
	v_subrev_nc_u32_e32 v13, s12, v3
	v_add_nc_u32_e32 v2, v2, v0
	s_delay_alu instid0(VALU_DEP_1)
	v_cmp_lt_i32_e64 s2, v2, v13
	s_cbranch_scc0 .LBB164_18
; %bb.10:
	v_dual_mov_b32 v11, 0 :: v_dual_mov_b32 v14, 0
	v_dual_mov_b32 v15, 0 :: v_dual_mov_b32 v12, 0
	s_mov_b32 s3, 0
	s_and_saveexec_b32 s4, s2
	s_cbranch_execz .LBB164_14
; %bb.11:
	v_dual_mov_b32 v4, 0 :: v_dual_lshlrev_b32 v3, 3, v2
	v_mov_b32_e32 v5, v2
	s_mov_b32 s5, 0
	s_delay_alu instid0(VALU_DEP_2)
	v_mov_b32_e32 v14, v4
	v_mov_b32_e32 v11, v4
	v_mov_b32_e32 v15, v4
	v_mov_b32_e32 v12, v4
.LBB164_12:                             ; =>This Inner Loop Header: Depth=1
	v_ashrrev_i32_e32 v6, 31, v5
	s_delay_alu instid0(VALU_DEP_1) | instskip(SKIP_1) | instid1(VALU_DEP_2)
	v_lshlrev_b64 v[16:17], 2, v[5:6]
	v_add_nc_u32_e32 v5, 16, v5
	v_add_co_u32 v16, vcc_lo, s6, v16
	s_delay_alu instid0(VALU_DEP_3) | instskip(SKIP_3) | instid1(VALU_DEP_2)
	v_add_co_ci_u32_e32 v17, vcc_lo, s7, v17, vcc_lo
	global_load_b32 v6, v[16:17], off
	v_lshlrev_b64 v[16:17], 3, v[3:4]
	v_add_nc_u32_e32 v3, 0x80, v3
	v_add_co_u32 v36, vcc_lo, s8, v16
	s_delay_alu instid0(VALU_DEP_3) | instskip(SKIP_3) | instid1(VALU_DEP_1)
	v_add_co_ci_u32_e32 v37, vcc_lo, s9, v17, vcc_lo
	global_load_b128 v[16:19], v[36:37], off offset:16
	s_waitcnt vmcnt(1)
	v_subrev_nc_u32_e32 v6, s12, v6
	v_dual_mov_b32 v21, v4 :: v_dual_lshlrev_b32 v20, 2, v6
	s_delay_alu instid0(VALU_DEP_1) | instskip(NEXT) | instid1(VALU_DEP_1)
	v_lshlrev_b64 v[20:21], 3, v[20:21]
	v_add_co_u32 v28, vcc_lo, s10, v20
	s_delay_alu instid0(VALU_DEP_2)
	v_add_co_ci_u32_e32 v29, vcc_lo, s11, v21, vcc_lo
	global_load_b128 v[20:23], v[36:37], off
	s_clause 0x1
	global_load_b128 v[24:27], v[28:29], off
	global_load_b128 v[28:31], v[28:29], off offset:16
	s_clause 0x1
	global_load_b128 v[32:35], v[36:37], off offset:32
	global_load_b128 v[36:39], v[36:37], off offset:48
	v_cmp_ge_i32_e32 vcc_lo, v5, v13
	s_or_b32 s5, vcc_lo, s5
	s_waitcnt vmcnt(3)
	v_fmac_f32_e32 v12, v23, v24
	s_delay_alu instid0(VALU_DEP_1) | instskip(NEXT) | instid1(VALU_DEP_1)
	v_dual_fmac_f32 v11, v21, v24 :: v_dual_fmac_f32 v12, v22, v25
	v_fmac_f32_e32 v11, v20, v25
	s_delay_alu instid0(VALU_DEP_1) | instskip(NEXT) | instid1(VALU_DEP_1)
	v_dual_fmac_f32 v14, v20, v24 :: v_dual_fmac_f32 v11, v17, v26
	v_fma_f32 v6, -v21, v25, v14
	v_fmac_f32_e32 v15, v22, v24
	s_delay_alu instid0(VALU_DEP_3) | instskip(NEXT) | instid1(VALU_DEP_3)
	v_fmac_f32_e32 v11, v16, v27
	v_fmac_f32_e32 v6, v16, v26
	s_delay_alu instid0(VALU_DEP_3) | instskip(SKIP_1) | instid1(VALU_DEP_3)
	v_fma_f32 v14, -v23, v25, v15
	s_waitcnt vmcnt(1)
	v_dual_fmac_f32 v12, v19, v26 :: v_dual_fmac_f32 v11, v33, v28
	s_delay_alu instid0(VALU_DEP_3) | instskip(NEXT) | instid1(VALU_DEP_3)
	v_fma_f32 v6, -v17, v27, v6
	v_fmac_f32_e32 v14, v18, v26
	s_delay_alu instid0(VALU_DEP_3) | instskip(NEXT) | instid1(VALU_DEP_3)
	v_dual_fmac_f32 v12, v18, v27 :: v_dual_fmac_f32 v11, v32, v29
	v_fmac_f32_e32 v6, v32, v28
	s_delay_alu instid0(VALU_DEP_3) | instskip(SKIP_1) | instid1(VALU_DEP_3)
	v_fma_f32 v14, -v19, v27, v14
	s_waitcnt vmcnt(0)
	v_dual_fmac_f32 v12, v35, v28 :: v_dual_fmac_f32 v11, v37, v30
	s_delay_alu instid0(VALU_DEP_3) | instskip(NEXT) | instid1(VALU_DEP_3)
	v_fma_f32 v6, -v33, v29, v6
	v_fmac_f32_e32 v14, v34, v28
	s_delay_alu instid0(VALU_DEP_3) | instskip(NEXT) | instid1(VALU_DEP_3)
	v_dual_fmac_f32 v12, v34, v29 :: v_dual_fmac_f32 v11, v36, v31
	v_fmac_f32_e32 v6, v36, v30
	s_delay_alu instid0(VALU_DEP_3) | instskip(NEXT) | instid1(VALU_DEP_3)
	v_fma_f32 v15, -v35, v29, v14
	v_fmac_f32_e32 v12, v39, v30
	s_delay_alu instid0(VALU_DEP_3) | instskip(NEXT) | instid1(VALU_DEP_3)
	v_fma_f32 v14, -v37, v31, v6
	v_fmac_f32_e32 v15, v38, v30
	s_delay_alu instid0(VALU_DEP_3) | instskip(NEXT) | instid1(VALU_DEP_2)
	v_fmac_f32_e32 v12, v38, v31
	v_fma_f32 v15, -v39, v31, v15
	s_and_not1_b32 exec_lo, exec_lo, s5
	s_cbranch_execnz .LBB164_12
; %bb.13:
	s_or_b32 exec_lo, exec_lo, s5
.LBB164_14:
	s_delay_alu instid0(SALU_CYCLE_1) | instskip(NEXT) | instid1(SALU_CYCLE_1)
	s_or_b32 exec_lo, exec_lo, s4
	s_and_not1_b32 vcc_lo, exec_lo, s3
	s_cbranch_vccz .LBB164_19
	s_branch .LBB164_24
.LBB164_15:
	v_dual_mov_b32 v1, s4 :: v_dual_mov_b32 v2, s5
	flat_load_b32 v7, v[1:2]
	v_cndmask_b32_e64 v1, 0, 1, s6
	v_mov_b32_e32 v8, s5
	s_and_not1_b32 vcc_lo, exec_lo, s6
	s_cbranch_vccnz .LBB164_2
.LBB164_16:
	v_dual_mov_b32 v2, s4 :: v_dual_mov_b32 v3, s5
	flat_load_b32 v8, v[2:3] offset:4
	v_cmp_ne_u32_e32 vcc_lo, 1, v1
	v_mov_b32_e32 v9, s2
	s_cbranch_vccnz .LBB164_3
.LBB164_17:
	v_dual_mov_b32 v2, s2 :: v_dual_mov_b32 v3, s3
	flat_load_b32 v9, v[2:3]
	v_cmp_ne_u32_e32 vcc_lo, 1, v1
	v_mov_b32_e32 v10, s3
	s_cbranch_vccz .LBB164_4
	s_branch .LBB164_5
.LBB164_18:
                                        ; implicit-def: $vgpr11
                                        ; implicit-def: $vgpr14
                                        ; implicit-def: $vgpr15
                                        ; implicit-def: $vgpr12
.LBB164_19:
	v_dual_mov_b32 v11, 0 :: v_dual_mov_b32 v14, 0
	v_dual_mov_b32 v15, 0 :: v_dual_mov_b32 v12, 0
	s_delay_alu instid0(VALU_DEP_3)
	s_and_saveexec_b32 s3, s2
	s_cbranch_execz .LBB164_23
; %bb.20:
	v_dual_mov_b32 v5, 0 :: v_dual_lshlrev_b32 v4, 3, v2
	s_mov_b32 s2, 0
	s_delay_alu instid0(VALU_DEP_1)
	v_mov_b32_e32 v11, v5
	v_mov_b32_e32 v14, v5
	;; [unrolled: 1-line block ×4, first 2 shown]
.LBB164_21:                             ; =>This Inner Loop Header: Depth=1
	v_ashrrev_i32_e32 v3, 31, v2
	s_delay_alu instid0(VALU_DEP_1) | instskip(SKIP_1) | instid1(VALU_DEP_2)
	v_lshlrev_b64 v[16:17], 2, v[2:3]
	v_add_nc_u32_e32 v2, 16, v2
	v_add_co_u32 v16, vcc_lo, s6, v16
	s_delay_alu instid0(VALU_DEP_3) | instskip(SKIP_2) | instid1(VALU_DEP_1)
	v_add_co_ci_u32_e32 v17, vcc_lo, s7, v17, vcc_lo
	global_load_b32 v3, v[16:17], off
	v_lshlrev_b64 v[16:17], 3, v[4:5]
	v_add_co_u32 v30, vcc_lo, s8, v16
	s_delay_alu instid0(VALU_DEP_2)
	v_add_co_ci_u32_e32 v31, vcc_lo, s9, v17, vcc_lo
	s_clause 0x2
	global_load_b128 v[16:19], v[30:31], off offset:16
	global_load_b128 v[20:23], v[30:31], off offset:48
	;; [unrolled: 1-line block ×3, first 2 shown]
	s_waitcnt vmcnt(3)
	v_subrev_nc_u32_e32 v3, s12, v3
	s_delay_alu instid0(VALU_DEP_1) | instskip(NEXT) | instid1(VALU_DEP_1)
	v_dual_mov_b32 v29, v5 :: v_dual_lshlrev_b32 v28, 2, v3
	v_lshlrev_b64 v[28:29], 3, v[28:29]
	s_delay_alu instid0(VALU_DEP_1) | instskip(NEXT) | instid1(VALU_DEP_2)
	v_add_co_u32 v36, vcc_lo, s10, v28
	v_add_co_ci_u32_e32 v37, vcc_lo, s11, v29, vcc_lo
	global_load_b128 v[28:31], v[30:31], off
	s_clause 0x1
	global_load_b128 v[32:35], v[36:37], off
	global_load_b128 v[36:39], v[36:37], off offset:16
	v_cmp_ge_i32_e32 vcc_lo, v2, v13
	s_or_b32 s2, vcc_lo, s2
	s_waitcnt vmcnt(1)
	v_fmac_f32_e32 v14, v28, v32
	v_fmac_f32_e32 v15, v24, v32
	v_fmac_f32_e32 v12, v25, v32
	v_fmac_f32_e32 v11, v29, v32
	s_delay_alu instid0(VALU_DEP_4) | instskip(NEXT) | instid1(VALU_DEP_4)
	v_fma_f32 v3, -v29, v33, v14
	v_fma_f32 v6, -v25, v33, v15
	s_delay_alu instid0(VALU_DEP_4) | instskip(NEXT) | instid1(VALU_DEP_4)
	v_fmac_f32_e32 v12, v24, v33
	v_fmac_f32_e32 v11, v28, v33
	s_delay_alu instid0(VALU_DEP_4) | instskip(NEXT) | instid1(VALU_DEP_4)
	v_fmac_f32_e32 v3, v30, v34
	v_fmac_f32_e32 v6, v26, v34
	;; [unrolled: 3-line block ×3, first 2 shown]
	s_delay_alu instid0(VALU_DEP_4) | instskip(NEXT) | instid1(VALU_DEP_4)
	v_fma_f32 v3, -v31, v35, v3
	v_fma_f32 v6, -v27, v35, v6
	s_delay_alu instid0(VALU_DEP_4) | instskip(NEXT) | instid1(VALU_DEP_4)
	v_fmac_f32_e32 v12, v26, v35
	v_fmac_f32_e32 v11, v30, v35
	s_waitcnt vmcnt(0)
	v_fmac_f32_e32 v3, v16, v36
	s_delay_alu instid0(VALU_DEP_3) | instskip(NEXT) | instid1(VALU_DEP_3)
	v_fmac_f32_e32 v12, v21, v36
	v_fmac_f32_e32 v11, v17, v36
	s_delay_alu instid0(VALU_DEP_3) | instskip(SKIP_1) | instid1(VALU_DEP_4)
	v_fma_f32 v3, -v17, v37, v3
	v_fmac_f32_e32 v6, v20, v36
	v_fmac_f32_e32 v12, v20, v37
	s_delay_alu instid0(VALU_DEP_4) | instskip(NEXT) | instid1(VALU_DEP_4)
	v_dual_fmac_f32 v11, v16, v37 :: v_dual_add_nc_u32 v4, 0x80, v4
	v_fmac_f32_e32 v3, v18, v38
	s_delay_alu instid0(VALU_DEP_4) | instskip(NEXT) | instid1(VALU_DEP_3)
	v_fma_f32 v6, -v21, v37, v6
	v_fmac_f32_e32 v11, v19, v38
	v_fmac_f32_e32 v12, v23, v38
	s_delay_alu instid0(VALU_DEP_4) | instskip(NEXT) | instid1(VALU_DEP_4)
	v_fma_f32 v14, -v19, v39, v3
	v_fmac_f32_e32 v6, v22, v38
	s_delay_alu instid0(VALU_DEP_4) | instskip(NEXT) | instid1(VALU_DEP_4)
	v_fmac_f32_e32 v11, v18, v39
	v_fmac_f32_e32 v12, v22, v39
	s_delay_alu instid0(VALU_DEP_3)
	v_fma_f32 v15, -v23, v39, v6
	s_and_not1_b32 exec_lo, exec_lo, s2
	s_cbranch_execnz .LBB164_21
; %bb.22:
	s_or_b32 exec_lo, exec_lo, s2
.LBB164_23:
	s_delay_alu instid0(SALU_CYCLE_1)
	s_or_b32 exec_lo, exec_lo, s3
.LBB164_24:
	v_mbcnt_lo_u32_b32 v2, -1, 0
	s_delay_alu instid0(VALU_DEP_1) | instskip(SKIP_1) | instid1(VALU_DEP_2)
	v_xor_b32_e32 v3, 8, v2
	v_xor_b32_e32 v13, 4, v2
	v_cmp_gt_i32_e32 vcc_lo, 32, v3
	v_cndmask_b32_e32 v3, v2, v3, vcc_lo
	s_delay_alu instid0(VALU_DEP_3) | instskip(NEXT) | instid1(VALU_DEP_2)
	v_cmp_gt_i32_e32 vcc_lo, 32, v13
	v_lshlrev_b32_e32 v3, 2, v3
	ds_bpermute_b32 v4, v3, v14
	s_waitcnt lgkmcnt(0)
	v_add_f32_e32 v4, v14, v4
	ds_bpermute_b32 v6, v3, v15
	v_cndmask_b32_e32 v13, v2, v13, vcc_lo
	ds_bpermute_b32 v5, v3, v11
	ds_bpermute_b32 v3, v3, v12
	s_waitcnt lgkmcnt(2)
	v_dual_add_f32 v6, v15, v6 :: v_dual_lshlrev_b32 v13, 2, v13
	s_waitcnt lgkmcnt(1)
	v_add_f32_e32 v5, v11, v5
	v_xor_b32_e32 v15, 2, v2
	ds_bpermute_b32 v14, v13, v6
	v_cmp_gt_i32_e32 vcc_lo, 32, v15
	v_cndmask_b32_e32 v15, v2, v15, vcc_lo
	s_waitcnt lgkmcnt(0)
	s_delay_alu instid0(VALU_DEP_1)
	v_dual_add_f32 v6, v6, v14 :: v_dual_lshlrev_b32 v15, 2, v15
	ds_bpermute_b32 v11, v13, v4
	v_add_f32_e32 v3, v12, v3
	ds_bpermute_b32 v12, v13, v5
	ds_bpermute_b32 v13, v13, v3
	s_waitcnt lgkmcnt(2)
	v_add_f32_e32 v4, v4, v11
	ds_bpermute_b32 v11, v15, v4
	s_waitcnt lgkmcnt(2)
	v_add_f32_e32 v5, v5, v12
	s_waitcnt lgkmcnt(1)
	v_add_f32_e32 v3, v3, v13
	ds_bpermute_b32 v13, v15, v6
	ds_bpermute_b32 v14, v15, v3
	s_waitcnt lgkmcnt(2)
	v_add_f32_e32 v4, v4, v11
	ds_bpermute_b32 v12, v15, v5
	v_xor_b32_e32 v15, 1, v2
	s_delay_alu instid0(VALU_DEP_1) | instskip(SKIP_3) | instid1(VALU_DEP_2)
	v_cmp_gt_i32_e32 vcc_lo, 32, v15
	s_waitcnt lgkmcnt(1)
	v_dual_add_f32 v3, v3, v14 :: v_dual_cndmask_b32 v2, v2, v15
	v_cmp_eq_u32_e32 vcc_lo, 15, v0
	v_dual_add_f32 v2, v6, v13 :: v_dual_lshlrev_b32 v15, 2, v2
	s_waitcnt lgkmcnt(0)
	v_add_f32_e32 v5, v5, v12
	ds_bpermute_b32 v12, v15, v4
	ds_bpermute_b32 v6, v15, v2
	;; [unrolled: 1-line block ×4, first 2 shown]
	s_and_b32 exec_lo, exec_lo, vcc_lo
	s_cbranch_execz .LBB164_29
; %bb.25:
	s_load_b64 s[2:3], s[0:1], 0x38
	v_cmp_eq_f32_e32 vcc_lo, 0, v9
	v_cmp_eq_f32_e64 s0, 0, v10
	s_waitcnt lgkmcnt(0)
	v_dual_add_f32 v0, v4, v12 :: v_dual_add_f32 v3, v3, v11
	v_add_f32_e32 v4, v5, v13
	v_add_f32_e32 v2, v2, v6
	s_and_b32 s0, vcc_lo, s0
	s_delay_alu instid0(SALU_CYCLE_1) | instskip(NEXT) | instid1(SALU_CYCLE_1)
	s_and_saveexec_b32 s1, s0
	s_xor_b32 s0, exec_lo, s1
	s_cbranch_execz .LBB164_27
; %bb.26:
	v_dual_mul_f32 v10, v4, v7 :: v_dual_lshlrev_b32 v5, 1, v1
	v_mul_f32_e64 v9, v4, -v8
	v_mul_f32_e64 v11, v3, -v8
	v_mul_f32_e32 v12, v3, v7
	s_delay_alu instid0(VALU_DEP_4)
	v_ashrrev_i32_e32 v6, 31, v5
	v_fmac_f32_e32 v10, v8, v0
	v_fmac_f32_e32 v9, v7, v0
	v_fmac_f32_e32 v11, v7, v2
	v_fmac_f32_e32 v12, v8, v2
	v_lshlrev_b64 v[4:5], 3, v[5:6]
                                        ; implicit-def: $vgpr7
                                        ; implicit-def: $vgpr8
                                        ; implicit-def: $vgpr2
                                        ; implicit-def: $vgpr3
	s_delay_alu instid0(VALU_DEP_1) | instskip(NEXT) | instid1(VALU_DEP_2)
	v_add_co_u32 v0, vcc_lo, s2, v4
	v_add_co_ci_u32_e32 v1, vcc_lo, s3, v5, vcc_lo
                                        ; implicit-def: $vgpr4
	global_store_b128 v[0:1], v[9:12], off
                                        ; implicit-def: $vgpr9
                                        ; implicit-def: $vgpr10
                                        ; implicit-def: $vgpr1
                                        ; implicit-def: $vgpr0
.LBB164_27:
	s_and_not1_saveexec_b32 s0, s0
	s_cbranch_execz .LBB164_29
; %bb.28:
	v_lshlrev_b32_e32 v5, 1, v1
	v_mul_f32_e64 v15, v4, -v8
	v_mul_f32_e32 v1, v4, v7
	v_mul_f32_e64 v4, v3, -v8
	v_mul_f32_e32 v3, v3, v7
	s_delay_alu instid0(VALU_DEP_4) | instskip(NEXT) | instid1(VALU_DEP_3)
	v_fmac_f32_e32 v15, v7, v0
	v_fmac_f32_e32 v4, v7, v2
	v_ashrrev_i32_e32 v6, 31, v5
	s_delay_alu instid0(VALU_DEP_4) | instskip(NEXT) | instid1(VALU_DEP_2)
	v_fmac_f32_e32 v3, v8, v2
	v_lshlrev_b64 v[5:6], 3, v[5:6]
	s_delay_alu instid0(VALU_DEP_1) | instskip(NEXT) | instid1(VALU_DEP_2)
	v_add_co_u32 v5, vcc_lo, s2, v5
	v_add_co_ci_u32_e32 v6, vcc_lo, s3, v6, vcc_lo
	global_load_b128 v[11:14], v[5:6], off
	s_waitcnt vmcnt(0)
	v_dual_fmac_f32 v4, v9, v13 :: v_dual_fmac_f32 v1, v8, v0
	v_fmac_f32_e32 v15, v9, v11
	v_fmac_f32_e32 v3, v10, v13
	s_delay_alu instid0(VALU_DEP_3) | instskip(NEXT) | instid1(VALU_DEP_4)
	v_fma_f32 v2, -v10, v14, v4
	v_fmac_f32_e32 v1, v10, v11
	s_delay_alu instid0(VALU_DEP_4) | instskip(NEXT) | instid1(VALU_DEP_4)
	v_fma_f32 v0, -v10, v12, v15
	v_fmac_f32_e32 v3, v9, v14
	s_delay_alu instid0(VALU_DEP_3)
	v_fmac_f32_e32 v1, v9, v12
	global_store_b128 v[5:6], v[0:3], off
.LBB164_29:
	s_nop 0
	s_sendmsg sendmsg(MSG_DEALLOC_VGPRS)
	s_endpgm
	.section	.rodata,"a",@progbits
	.p2align	6, 0x0
	.amdhsa_kernel _ZN9rocsparseL19gebsrmvn_2xn_kernelILj128ELj4ELj16E21rocsparse_complex_numIfEEEvi20rocsparse_direction_NS_24const_host_device_scalarIT2_EEPKiS8_PKS5_SA_S6_PS5_21rocsparse_index_base_b
		.amdhsa_group_segment_fixed_size 0
		.amdhsa_private_segment_fixed_size 0
		.amdhsa_kernarg_size 72
		.amdhsa_user_sgpr_count 15
		.amdhsa_user_sgpr_dispatch_ptr 0
		.amdhsa_user_sgpr_queue_ptr 0
		.amdhsa_user_sgpr_kernarg_segment_ptr 1
		.amdhsa_user_sgpr_dispatch_id 0
		.amdhsa_user_sgpr_private_segment_size 0
		.amdhsa_wavefront_size32 1
		.amdhsa_uses_dynamic_stack 0
		.amdhsa_enable_private_segment 0
		.amdhsa_system_sgpr_workgroup_id_x 1
		.amdhsa_system_sgpr_workgroup_id_y 0
		.amdhsa_system_sgpr_workgroup_id_z 0
		.amdhsa_system_sgpr_workgroup_info 0
		.amdhsa_system_vgpr_workitem_id 0
		.amdhsa_next_free_vgpr 40
		.amdhsa_next_free_sgpr 16
		.amdhsa_reserve_vcc 1
		.amdhsa_float_round_mode_32 0
		.amdhsa_float_round_mode_16_64 0
		.amdhsa_float_denorm_mode_32 3
		.amdhsa_float_denorm_mode_16_64 3
		.amdhsa_dx10_clamp 1
		.amdhsa_ieee_mode 1
		.amdhsa_fp16_overflow 0
		.amdhsa_workgroup_processor_mode 1
		.amdhsa_memory_ordered 1
		.amdhsa_forward_progress 0
		.amdhsa_shared_vgpr_count 0
		.amdhsa_exception_fp_ieee_invalid_op 0
		.amdhsa_exception_fp_denorm_src 0
		.amdhsa_exception_fp_ieee_div_zero 0
		.amdhsa_exception_fp_ieee_overflow 0
		.amdhsa_exception_fp_ieee_underflow 0
		.amdhsa_exception_fp_ieee_inexact 0
		.amdhsa_exception_int_div_zero 0
	.end_amdhsa_kernel
	.section	.text._ZN9rocsparseL19gebsrmvn_2xn_kernelILj128ELj4ELj16E21rocsparse_complex_numIfEEEvi20rocsparse_direction_NS_24const_host_device_scalarIT2_EEPKiS8_PKS5_SA_S6_PS5_21rocsparse_index_base_b,"axG",@progbits,_ZN9rocsparseL19gebsrmvn_2xn_kernelILj128ELj4ELj16E21rocsparse_complex_numIfEEEvi20rocsparse_direction_NS_24const_host_device_scalarIT2_EEPKiS8_PKS5_SA_S6_PS5_21rocsparse_index_base_b,comdat
.Lfunc_end164:
	.size	_ZN9rocsparseL19gebsrmvn_2xn_kernelILj128ELj4ELj16E21rocsparse_complex_numIfEEEvi20rocsparse_direction_NS_24const_host_device_scalarIT2_EEPKiS8_PKS5_SA_S6_PS5_21rocsparse_index_base_b, .Lfunc_end164-_ZN9rocsparseL19gebsrmvn_2xn_kernelILj128ELj4ELj16E21rocsparse_complex_numIfEEEvi20rocsparse_direction_NS_24const_host_device_scalarIT2_EEPKiS8_PKS5_SA_S6_PS5_21rocsparse_index_base_b
                                        ; -- End function
	.section	.AMDGPU.csdata,"",@progbits
; Kernel info:
; codeLenInByte = 2036
; NumSgprs: 18
; NumVgprs: 40
; ScratchSize: 0
; MemoryBound: 0
; FloatMode: 240
; IeeeMode: 1
; LDSByteSize: 0 bytes/workgroup (compile time only)
; SGPRBlocks: 2
; VGPRBlocks: 4
; NumSGPRsForWavesPerEU: 18
; NumVGPRsForWavesPerEU: 40
; Occupancy: 16
; WaveLimiterHint : 1
; COMPUTE_PGM_RSRC2:SCRATCH_EN: 0
; COMPUTE_PGM_RSRC2:USER_SGPR: 15
; COMPUTE_PGM_RSRC2:TRAP_HANDLER: 0
; COMPUTE_PGM_RSRC2:TGID_X_EN: 1
; COMPUTE_PGM_RSRC2:TGID_Y_EN: 0
; COMPUTE_PGM_RSRC2:TGID_Z_EN: 0
; COMPUTE_PGM_RSRC2:TIDIG_COMP_CNT: 0
	.section	.text._ZN9rocsparseL19gebsrmvn_2xn_kernelILj128ELj4ELj32E21rocsparse_complex_numIfEEEvi20rocsparse_direction_NS_24const_host_device_scalarIT2_EEPKiS8_PKS5_SA_S6_PS5_21rocsparse_index_base_b,"axG",@progbits,_ZN9rocsparseL19gebsrmvn_2xn_kernelILj128ELj4ELj32E21rocsparse_complex_numIfEEEvi20rocsparse_direction_NS_24const_host_device_scalarIT2_EEPKiS8_PKS5_SA_S6_PS5_21rocsparse_index_base_b,comdat
	.globl	_ZN9rocsparseL19gebsrmvn_2xn_kernelILj128ELj4ELj32E21rocsparse_complex_numIfEEEvi20rocsparse_direction_NS_24const_host_device_scalarIT2_EEPKiS8_PKS5_SA_S6_PS5_21rocsparse_index_base_b ; -- Begin function _ZN9rocsparseL19gebsrmvn_2xn_kernelILj128ELj4ELj32E21rocsparse_complex_numIfEEEvi20rocsparse_direction_NS_24const_host_device_scalarIT2_EEPKiS8_PKS5_SA_S6_PS5_21rocsparse_index_base_b
	.p2align	8
	.type	_ZN9rocsparseL19gebsrmvn_2xn_kernelILj128ELj4ELj32E21rocsparse_complex_numIfEEEvi20rocsparse_direction_NS_24const_host_device_scalarIT2_EEPKiS8_PKS5_SA_S6_PS5_21rocsparse_index_base_b,@function
_ZN9rocsparseL19gebsrmvn_2xn_kernelILj128ELj4ELj32E21rocsparse_complex_numIfEEEvi20rocsparse_direction_NS_24const_host_device_scalarIT2_EEPKiS8_PKS5_SA_S6_PS5_21rocsparse_index_base_b: ; @_ZN9rocsparseL19gebsrmvn_2xn_kernelILj128ELj4ELj32E21rocsparse_complex_numIfEEEvi20rocsparse_direction_NS_24const_host_device_scalarIT2_EEPKiS8_PKS5_SA_S6_PS5_21rocsparse_index_base_b
; %bb.0:
	s_clause 0x2
	s_load_b64 s[12:13], s[0:1], 0x40
	s_load_b64 s[4:5], s[0:1], 0x8
	;; [unrolled: 1-line block ×3, first 2 shown]
	s_waitcnt lgkmcnt(0)
	s_bitcmp1_b32 s13, 0
	v_mov_b32_e32 v7, s4
	s_cselect_b32 s6, -1, 0
	s_delay_alu instid0(SALU_CYCLE_1)
	s_and_b32 vcc_lo, exec_lo, s6
	s_xor_b32 s6, s6, -1
	s_cbranch_vccz .LBB165_15
; %bb.1:
	v_cndmask_b32_e64 v1, 0, 1, s6
	v_mov_b32_e32 v8, s5
	s_and_not1_b32 vcc_lo, exec_lo, s6
	s_cbranch_vccz .LBB165_16
.LBB165_2:
	s_delay_alu instid0(VALU_DEP_2)
	v_cmp_ne_u32_e32 vcc_lo, 1, v1
	v_mov_b32_e32 v9, s2
	s_cbranch_vccz .LBB165_17
.LBB165_3:
	v_cmp_ne_u32_e32 vcc_lo, 1, v1
	v_mov_b32_e32 v10, s3
	s_cbranch_vccnz .LBB165_5
.LBB165_4:
	v_dual_mov_b32 v1, s2 :: v_dual_mov_b32 v2, s3
	flat_load_b32 v10, v[1:2] offset:4
.LBB165_5:
	s_waitcnt vmcnt(0) lgkmcnt(0)
	v_cmp_eq_f32_e32 vcc_lo, 0, v7
	v_cmp_eq_f32_e64 s2, 0, v8
	s_delay_alu instid0(VALU_DEP_1)
	s_and_b32 s4, vcc_lo, s2
	s_mov_b32 s2, -1
	s_and_saveexec_b32 s3, s4
; %bb.6:
	v_cmp_neq_f32_e32 vcc_lo, 1.0, v9
	v_cmp_neq_f32_e64 s2, 0, v10
	s_delay_alu instid0(VALU_DEP_1) | instskip(NEXT) | instid1(SALU_CYCLE_1)
	s_or_b32 s2, vcc_lo, s2
	s_or_not1_b32 s2, s2, exec_lo
; %bb.7:
	s_or_b32 exec_lo, exec_lo, s3
	s_and_saveexec_b32 s3, s2
	s_cbranch_execz .LBB165_29
; %bb.8:
	s_load_b64 s[2:3], s[0:1], 0x0
	v_lshrrev_b32_e32 v1, 5, v0
	s_delay_alu instid0(VALU_DEP_1) | instskip(SKIP_1) | instid1(VALU_DEP_1)
	v_lshl_or_b32 v1, s15, 2, v1
	s_waitcnt lgkmcnt(0)
	v_cmp_gt_i32_e32 vcc_lo, s2, v1
	s_and_b32 exec_lo, exec_lo, vcc_lo
	s_cbranch_execz .LBB165_29
; %bb.9:
	s_load_b256 s[4:11], s[0:1], 0x10
	v_ashrrev_i32_e32 v2, 31, v1
	v_and_b32_e32 v0, 31, v0
	s_cmp_lg_u32 s3, 0
	s_delay_alu instid0(VALU_DEP_2) | instskip(SKIP_1) | instid1(VALU_DEP_1)
	v_lshlrev_b64 v[2:3], 2, v[1:2]
	s_waitcnt lgkmcnt(0)
	v_add_co_u32 v2, vcc_lo, s4, v2
	s_delay_alu instid0(VALU_DEP_2) | instskip(SKIP_4) | instid1(VALU_DEP_2)
	v_add_co_ci_u32_e32 v3, vcc_lo, s5, v3, vcc_lo
	global_load_b64 v[2:3], v[2:3], off
	s_waitcnt vmcnt(0)
	v_subrev_nc_u32_e32 v2, s12, v2
	v_subrev_nc_u32_e32 v13, s12, v3
	v_add_nc_u32_e32 v2, v2, v0
	s_delay_alu instid0(VALU_DEP_1)
	v_cmp_lt_i32_e64 s2, v2, v13
	s_cbranch_scc0 .LBB165_18
; %bb.10:
	v_dual_mov_b32 v11, 0 :: v_dual_mov_b32 v14, 0
	v_dual_mov_b32 v15, 0 :: v_dual_mov_b32 v12, 0
	s_mov_b32 s3, 0
	s_and_saveexec_b32 s4, s2
	s_cbranch_execz .LBB165_14
; %bb.11:
	v_dual_mov_b32 v4, 0 :: v_dual_lshlrev_b32 v3, 3, v2
	v_mov_b32_e32 v5, v2
	s_mov_b32 s5, 0
	s_delay_alu instid0(VALU_DEP_2)
	v_mov_b32_e32 v14, v4
	v_mov_b32_e32 v11, v4
	;; [unrolled: 1-line block ×4, first 2 shown]
.LBB165_12:                             ; =>This Inner Loop Header: Depth=1
	v_ashrrev_i32_e32 v6, 31, v5
	s_delay_alu instid0(VALU_DEP_1) | instskip(SKIP_1) | instid1(VALU_DEP_2)
	v_lshlrev_b64 v[16:17], 2, v[5:6]
	v_add_nc_u32_e32 v5, 32, v5
	v_add_co_u32 v16, vcc_lo, s6, v16
	s_delay_alu instid0(VALU_DEP_3) | instskip(SKIP_3) | instid1(VALU_DEP_2)
	v_add_co_ci_u32_e32 v17, vcc_lo, s7, v17, vcc_lo
	global_load_b32 v6, v[16:17], off
	v_lshlrev_b64 v[16:17], 3, v[3:4]
	v_add_nc_u32_e32 v3, 0x100, v3
	v_add_co_u32 v36, vcc_lo, s8, v16
	s_delay_alu instid0(VALU_DEP_3) | instskip(SKIP_3) | instid1(VALU_DEP_1)
	v_add_co_ci_u32_e32 v37, vcc_lo, s9, v17, vcc_lo
	global_load_b128 v[16:19], v[36:37], off offset:16
	s_waitcnt vmcnt(1)
	v_subrev_nc_u32_e32 v6, s12, v6
	v_dual_mov_b32 v21, v4 :: v_dual_lshlrev_b32 v20, 2, v6
	s_delay_alu instid0(VALU_DEP_1) | instskip(NEXT) | instid1(VALU_DEP_1)
	v_lshlrev_b64 v[20:21], 3, v[20:21]
	v_add_co_u32 v28, vcc_lo, s10, v20
	s_delay_alu instid0(VALU_DEP_2)
	v_add_co_ci_u32_e32 v29, vcc_lo, s11, v21, vcc_lo
	global_load_b128 v[20:23], v[36:37], off
	s_clause 0x1
	global_load_b128 v[24:27], v[28:29], off
	global_load_b128 v[28:31], v[28:29], off offset:16
	s_clause 0x1
	global_load_b128 v[32:35], v[36:37], off offset:32
	global_load_b128 v[36:39], v[36:37], off offset:48
	v_cmp_ge_i32_e32 vcc_lo, v5, v13
	s_or_b32 s5, vcc_lo, s5
	s_waitcnt vmcnt(3)
	v_fmac_f32_e32 v12, v23, v24
	s_delay_alu instid0(VALU_DEP_1) | instskip(NEXT) | instid1(VALU_DEP_1)
	v_dual_fmac_f32 v11, v21, v24 :: v_dual_fmac_f32 v12, v22, v25
	v_fmac_f32_e32 v11, v20, v25
	s_delay_alu instid0(VALU_DEP_1) | instskip(NEXT) | instid1(VALU_DEP_1)
	v_dual_fmac_f32 v14, v20, v24 :: v_dual_fmac_f32 v11, v17, v26
	v_fma_f32 v6, -v21, v25, v14
	v_fmac_f32_e32 v15, v22, v24
	s_delay_alu instid0(VALU_DEP_3) | instskip(NEXT) | instid1(VALU_DEP_3)
	v_fmac_f32_e32 v11, v16, v27
	v_fmac_f32_e32 v6, v16, v26
	s_delay_alu instid0(VALU_DEP_3) | instskip(SKIP_1) | instid1(VALU_DEP_3)
	v_fma_f32 v14, -v23, v25, v15
	s_waitcnt vmcnt(1)
	v_dual_fmac_f32 v12, v19, v26 :: v_dual_fmac_f32 v11, v33, v28
	s_delay_alu instid0(VALU_DEP_3) | instskip(NEXT) | instid1(VALU_DEP_3)
	v_fma_f32 v6, -v17, v27, v6
	v_fmac_f32_e32 v14, v18, v26
	s_delay_alu instid0(VALU_DEP_3) | instskip(NEXT) | instid1(VALU_DEP_3)
	v_dual_fmac_f32 v12, v18, v27 :: v_dual_fmac_f32 v11, v32, v29
	v_fmac_f32_e32 v6, v32, v28
	s_delay_alu instid0(VALU_DEP_3) | instskip(SKIP_1) | instid1(VALU_DEP_3)
	v_fma_f32 v14, -v19, v27, v14
	s_waitcnt vmcnt(0)
	v_dual_fmac_f32 v12, v35, v28 :: v_dual_fmac_f32 v11, v37, v30
	s_delay_alu instid0(VALU_DEP_3) | instskip(NEXT) | instid1(VALU_DEP_3)
	v_fma_f32 v6, -v33, v29, v6
	v_fmac_f32_e32 v14, v34, v28
	s_delay_alu instid0(VALU_DEP_3) | instskip(NEXT) | instid1(VALU_DEP_3)
	v_dual_fmac_f32 v12, v34, v29 :: v_dual_fmac_f32 v11, v36, v31
	v_fmac_f32_e32 v6, v36, v30
	s_delay_alu instid0(VALU_DEP_3) | instskip(NEXT) | instid1(VALU_DEP_3)
	v_fma_f32 v15, -v35, v29, v14
	v_fmac_f32_e32 v12, v39, v30
	s_delay_alu instid0(VALU_DEP_3) | instskip(NEXT) | instid1(VALU_DEP_3)
	v_fma_f32 v14, -v37, v31, v6
	v_fmac_f32_e32 v15, v38, v30
	s_delay_alu instid0(VALU_DEP_3) | instskip(NEXT) | instid1(VALU_DEP_2)
	v_fmac_f32_e32 v12, v38, v31
	v_fma_f32 v15, -v39, v31, v15
	s_and_not1_b32 exec_lo, exec_lo, s5
	s_cbranch_execnz .LBB165_12
; %bb.13:
	s_or_b32 exec_lo, exec_lo, s5
.LBB165_14:
	s_delay_alu instid0(SALU_CYCLE_1) | instskip(NEXT) | instid1(SALU_CYCLE_1)
	s_or_b32 exec_lo, exec_lo, s4
	s_and_not1_b32 vcc_lo, exec_lo, s3
	s_cbranch_vccz .LBB165_19
	s_branch .LBB165_24
.LBB165_15:
	v_dual_mov_b32 v1, s4 :: v_dual_mov_b32 v2, s5
	flat_load_b32 v7, v[1:2]
	v_cndmask_b32_e64 v1, 0, 1, s6
	v_mov_b32_e32 v8, s5
	s_and_not1_b32 vcc_lo, exec_lo, s6
	s_cbranch_vccnz .LBB165_2
.LBB165_16:
	v_dual_mov_b32 v2, s4 :: v_dual_mov_b32 v3, s5
	flat_load_b32 v8, v[2:3] offset:4
	v_cmp_ne_u32_e32 vcc_lo, 1, v1
	v_mov_b32_e32 v9, s2
	s_cbranch_vccnz .LBB165_3
.LBB165_17:
	v_dual_mov_b32 v2, s2 :: v_dual_mov_b32 v3, s3
	flat_load_b32 v9, v[2:3]
	v_cmp_ne_u32_e32 vcc_lo, 1, v1
	v_mov_b32_e32 v10, s3
	s_cbranch_vccz .LBB165_4
	s_branch .LBB165_5
.LBB165_18:
                                        ; implicit-def: $vgpr11
                                        ; implicit-def: $vgpr14
                                        ; implicit-def: $vgpr15
                                        ; implicit-def: $vgpr12
.LBB165_19:
	v_dual_mov_b32 v11, 0 :: v_dual_mov_b32 v14, 0
	v_dual_mov_b32 v15, 0 :: v_dual_mov_b32 v12, 0
	s_delay_alu instid0(VALU_DEP_3)
	s_and_saveexec_b32 s3, s2
	s_cbranch_execz .LBB165_23
; %bb.20:
	v_dual_mov_b32 v5, 0 :: v_dual_lshlrev_b32 v4, 3, v2
	s_mov_b32 s2, 0
	s_delay_alu instid0(VALU_DEP_1)
	v_mov_b32_e32 v11, v5
	v_mov_b32_e32 v14, v5
	;; [unrolled: 1-line block ×4, first 2 shown]
.LBB165_21:                             ; =>This Inner Loop Header: Depth=1
	v_ashrrev_i32_e32 v3, 31, v2
	s_delay_alu instid0(VALU_DEP_1) | instskip(SKIP_1) | instid1(VALU_DEP_2)
	v_lshlrev_b64 v[16:17], 2, v[2:3]
	v_add_nc_u32_e32 v2, 32, v2
	v_add_co_u32 v16, vcc_lo, s6, v16
	s_delay_alu instid0(VALU_DEP_3) | instskip(SKIP_2) | instid1(VALU_DEP_1)
	v_add_co_ci_u32_e32 v17, vcc_lo, s7, v17, vcc_lo
	global_load_b32 v3, v[16:17], off
	v_lshlrev_b64 v[16:17], 3, v[4:5]
	v_add_co_u32 v30, vcc_lo, s8, v16
	s_delay_alu instid0(VALU_DEP_2)
	v_add_co_ci_u32_e32 v31, vcc_lo, s9, v17, vcc_lo
	s_clause 0x2
	global_load_b128 v[16:19], v[30:31], off offset:16
	global_load_b128 v[20:23], v[30:31], off offset:48
	;; [unrolled: 1-line block ×3, first 2 shown]
	s_waitcnt vmcnt(3)
	v_subrev_nc_u32_e32 v3, s12, v3
	s_delay_alu instid0(VALU_DEP_1) | instskip(NEXT) | instid1(VALU_DEP_1)
	v_dual_mov_b32 v29, v5 :: v_dual_lshlrev_b32 v28, 2, v3
	v_lshlrev_b64 v[28:29], 3, v[28:29]
	s_delay_alu instid0(VALU_DEP_1) | instskip(NEXT) | instid1(VALU_DEP_2)
	v_add_co_u32 v36, vcc_lo, s10, v28
	v_add_co_ci_u32_e32 v37, vcc_lo, s11, v29, vcc_lo
	global_load_b128 v[28:31], v[30:31], off
	s_clause 0x1
	global_load_b128 v[32:35], v[36:37], off
	global_load_b128 v[36:39], v[36:37], off offset:16
	v_cmp_ge_i32_e32 vcc_lo, v2, v13
	s_or_b32 s2, vcc_lo, s2
	s_waitcnt vmcnt(1)
	v_fmac_f32_e32 v14, v28, v32
	v_fmac_f32_e32 v15, v24, v32
	;; [unrolled: 1-line block ×4, first 2 shown]
	s_delay_alu instid0(VALU_DEP_4) | instskip(NEXT) | instid1(VALU_DEP_4)
	v_fma_f32 v3, -v29, v33, v14
	v_fma_f32 v6, -v25, v33, v15
	s_delay_alu instid0(VALU_DEP_4) | instskip(NEXT) | instid1(VALU_DEP_4)
	v_fmac_f32_e32 v12, v24, v33
	v_fmac_f32_e32 v11, v28, v33
	s_delay_alu instid0(VALU_DEP_4) | instskip(NEXT) | instid1(VALU_DEP_4)
	v_fmac_f32_e32 v3, v30, v34
	v_fmac_f32_e32 v6, v26, v34
	;; [unrolled: 3-line block ×3, first 2 shown]
	s_delay_alu instid0(VALU_DEP_4) | instskip(NEXT) | instid1(VALU_DEP_4)
	v_fma_f32 v3, -v31, v35, v3
	v_fma_f32 v6, -v27, v35, v6
	s_delay_alu instid0(VALU_DEP_4) | instskip(NEXT) | instid1(VALU_DEP_4)
	v_fmac_f32_e32 v12, v26, v35
	v_fmac_f32_e32 v11, v30, v35
	s_waitcnt vmcnt(0)
	v_fmac_f32_e32 v3, v16, v36
	s_delay_alu instid0(VALU_DEP_3) | instskip(NEXT) | instid1(VALU_DEP_3)
	v_fmac_f32_e32 v12, v21, v36
	v_fmac_f32_e32 v11, v17, v36
	s_delay_alu instid0(VALU_DEP_3) | instskip(SKIP_1) | instid1(VALU_DEP_4)
	v_fma_f32 v3, -v17, v37, v3
	v_fmac_f32_e32 v6, v20, v36
	v_fmac_f32_e32 v12, v20, v37
	s_delay_alu instid0(VALU_DEP_4) | instskip(NEXT) | instid1(VALU_DEP_4)
	v_dual_fmac_f32 v11, v16, v37 :: v_dual_add_nc_u32 v4, 0x100, v4
	v_fmac_f32_e32 v3, v18, v38
	s_delay_alu instid0(VALU_DEP_4) | instskip(NEXT) | instid1(VALU_DEP_3)
	v_fma_f32 v6, -v21, v37, v6
	v_fmac_f32_e32 v11, v19, v38
	v_fmac_f32_e32 v12, v23, v38
	s_delay_alu instid0(VALU_DEP_4) | instskip(NEXT) | instid1(VALU_DEP_4)
	v_fma_f32 v14, -v19, v39, v3
	v_fmac_f32_e32 v6, v22, v38
	s_delay_alu instid0(VALU_DEP_4) | instskip(NEXT) | instid1(VALU_DEP_4)
	v_fmac_f32_e32 v11, v18, v39
	v_fmac_f32_e32 v12, v22, v39
	s_delay_alu instid0(VALU_DEP_3)
	v_fma_f32 v15, -v23, v39, v6
	s_and_not1_b32 exec_lo, exec_lo, s2
	s_cbranch_execnz .LBB165_21
; %bb.22:
	s_or_b32 exec_lo, exec_lo, s2
.LBB165_23:
	s_delay_alu instid0(SALU_CYCLE_1)
	s_or_b32 exec_lo, exec_lo, s3
.LBB165_24:
	v_mbcnt_lo_u32_b32 v2, -1, 0
	s_delay_alu instid0(VALU_DEP_1) | instskip(SKIP_1) | instid1(VALU_DEP_2)
	v_xor_b32_e32 v3, 16, v2
	v_xor_b32_e32 v13, 8, v2
	v_cmp_gt_i32_e32 vcc_lo, 32, v3
	v_cndmask_b32_e32 v3, v2, v3, vcc_lo
	s_delay_alu instid0(VALU_DEP_3) | instskip(NEXT) | instid1(VALU_DEP_2)
	v_cmp_gt_i32_e32 vcc_lo, 32, v13
	v_lshlrev_b32_e32 v3, 2, v3
	ds_bpermute_b32 v4, v3, v14
	s_waitcnt lgkmcnt(0)
	v_add_f32_e32 v4, v14, v4
	ds_bpermute_b32 v6, v3, v15
	v_cndmask_b32_e32 v13, v2, v13, vcc_lo
	ds_bpermute_b32 v5, v3, v11
	ds_bpermute_b32 v3, v3, v12
	s_waitcnt lgkmcnt(2)
	v_dual_add_f32 v6, v15, v6 :: v_dual_lshlrev_b32 v13, 2, v13
	s_waitcnt lgkmcnt(1)
	v_add_f32_e32 v5, v11, v5
	v_xor_b32_e32 v15, 4, v2
	ds_bpermute_b32 v14, v13, v6
	v_cmp_gt_i32_e32 vcc_lo, 32, v15
	v_cndmask_b32_e32 v15, v2, v15, vcc_lo
	s_waitcnt lgkmcnt(0)
	s_delay_alu instid0(VALU_DEP_1)
	v_dual_add_f32 v6, v6, v14 :: v_dual_lshlrev_b32 v15, 2, v15
	ds_bpermute_b32 v11, v13, v4
	v_add_f32_e32 v3, v12, v3
	s_waitcnt lgkmcnt(0)
	v_add_f32_e32 v4, v4, v11
	ds_bpermute_b32 v11, v15, v4
	s_waitcnt lgkmcnt(0)
	v_add_f32_e32 v4, v4, v11
	ds_bpermute_b32 v12, v13, v5
	ds_bpermute_b32 v13, v13, v3
	s_waitcnt lgkmcnt(1)
	v_add_f32_e32 v5, v5, v12
	s_waitcnt lgkmcnt(0)
	v_add_f32_e32 v3, v3, v13
	ds_bpermute_b32 v13, v15, v6
	ds_bpermute_b32 v12, v15, v5
	;; [unrolled: 1-line block ×3, first 2 shown]
	v_xor_b32_e32 v15, 2, v2
	s_delay_alu instid0(VALU_DEP_1) | instskip(SKIP_2) | instid1(VALU_DEP_1)
	v_cmp_gt_i32_e32 vcc_lo, 32, v15
	v_cndmask_b32_e32 v15, v2, v15, vcc_lo
	s_waitcnt lgkmcnt(2)
	v_dual_add_f32 v6, v6, v13 :: v_dual_lshlrev_b32 v15, 2, v15
	s_waitcnt lgkmcnt(1)
	v_add_f32_e32 v5, v5, v12
	ds_bpermute_b32 v11, v15, v4
	ds_bpermute_b32 v13, v15, v6
	;; [unrolled: 1-line block ×3, first 2 shown]
	s_waitcnt lgkmcnt(2)
	v_dual_add_f32 v4, v4, v11 :: v_dual_add_f32 v3, v3, v14
	s_waitcnt lgkmcnt(0)
	v_add_f32_e32 v5, v5, v12
	ds_bpermute_b32 v14, v15, v3
	v_xor_b32_e32 v15, 1, v2
	s_delay_alu instid0(VALU_DEP_1) | instskip(SKIP_2) | instid1(VALU_DEP_2)
	v_cmp_gt_i32_e32 vcc_lo, 32, v15
	v_cndmask_b32_e32 v2, v2, v15, vcc_lo
	v_cmp_eq_u32_e32 vcc_lo, 31, v0
	v_dual_add_f32 v2, v6, v13 :: v_dual_lshlrev_b32 v15, 2, v2
	s_waitcnt lgkmcnt(0)
	v_add_f32_e32 v3, v3, v14
	ds_bpermute_b32 v12, v15, v4
	ds_bpermute_b32 v13, v15, v5
	;; [unrolled: 1-line block ×4, first 2 shown]
	s_and_b32 exec_lo, exec_lo, vcc_lo
	s_cbranch_execz .LBB165_29
; %bb.25:
	s_load_b64 s[2:3], s[0:1], 0x38
	v_cmp_eq_f32_e32 vcc_lo, 0, v9
	v_cmp_eq_f32_e64 s0, 0, v10
	s_waitcnt lgkmcnt(0)
	v_dual_add_f32 v0, v4, v12 :: v_dual_add_f32 v3, v3, v11
	v_add_f32_e32 v4, v5, v13
	v_add_f32_e32 v2, v2, v6
	s_and_b32 s0, vcc_lo, s0
	s_delay_alu instid0(SALU_CYCLE_1) | instskip(NEXT) | instid1(SALU_CYCLE_1)
	s_and_saveexec_b32 s1, s0
	s_xor_b32 s0, exec_lo, s1
	s_cbranch_execz .LBB165_27
; %bb.26:
	v_dual_mul_f32 v10, v4, v7 :: v_dual_lshlrev_b32 v5, 1, v1
	v_mul_f32_e64 v9, v4, -v8
	v_mul_f32_e64 v11, v3, -v8
	v_mul_f32_e32 v12, v3, v7
	s_delay_alu instid0(VALU_DEP_4)
	v_ashrrev_i32_e32 v6, 31, v5
	v_fmac_f32_e32 v10, v8, v0
	v_fmac_f32_e32 v9, v7, v0
	;; [unrolled: 1-line block ×4, first 2 shown]
	v_lshlrev_b64 v[4:5], 3, v[5:6]
                                        ; implicit-def: $vgpr7
                                        ; implicit-def: $vgpr8
                                        ; implicit-def: $vgpr2
                                        ; implicit-def: $vgpr3
	s_delay_alu instid0(VALU_DEP_1) | instskip(NEXT) | instid1(VALU_DEP_2)
	v_add_co_u32 v0, vcc_lo, s2, v4
	v_add_co_ci_u32_e32 v1, vcc_lo, s3, v5, vcc_lo
                                        ; implicit-def: $vgpr4
	global_store_b128 v[0:1], v[9:12], off
                                        ; implicit-def: $vgpr9
                                        ; implicit-def: $vgpr10
                                        ; implicit-def: $vgpr1
                                        ; implicit-def: $vgpr0
.LBB165_27:
	s_and_not1_saveexec_b32 s0, s0
	s_cbranch_execz .LBB165_29
; %bb.28:
	v_lshlrev_b32_e32 v5, 1, v1
	v_mul_f32_e64 v15, v4, -v8
	v_mul_f32_e32 v1, v4, v7
	v_mul_f32_e64 v4, v3, -v8
	v_mul_f32_e32 v3, v3, v7
	s_delay_alu instid0(VALU_DEP_4) | instskip(NEXT) | instid1(VALU_DEP_3)
	v_fmac_f32_e32 v15, v7, v0
	v_fmac_f32_e32 v4, v7, v2
	v_ashrrev_i32_e32 v6, 31, v5
	s_delay_alu instid0(VALU_DEP_4) | instskip(NEXT) | instid1(VALU_DEP_2)
	v_fmac_f32_e32 v3, v8, v2
	v_lshlrev_b64 v[5:6], 3, v[5:6]
	s_delay_alu instid0(VALU_DEP_1) | instskip(NEXT) | instid1(VALU_DEP_2)
	v_add_co_u32 v5, vcc_lo, s2, v5
	v_add_co_ci_u32_e32 v6, vcc_lo, s3, v6, vcc_lo
	global_load_b128 v[11:14], v[5:6], off
	s_waitcnt vmcnt(0)
	v_dual_fmac_f32 v4, v9, v13 :: v_dual_fmac_f32 v1, v8, v0
	v_fmac_f32_e32 v15, v9, v11
	v_fmac_f32_e32 v3, v10, v13
	s_delay_alu instid0(VALU_DEP_3) | instskip(NEXT) | instid1(VALU_DEP_4)
	v_fma_f32 v2, -v10, v14, v4
	v_fmac_f32_e32 v1, v10, v11
	s_delay_alu instid0(VALU_DEP_4) | instskip(NEXT) | instid1(VALU_DEP_4)
	v_fma_f32 v0, -v10, v12, v15
	v_fmac_f32_e32 v3, v9, v14
	s_delay_alu instid0(VALU_DEP_3)
	v_fmac_f32_e32 v1, v9, v12
	global_store_b128 v[5:6], v[0:3], off
.LBB165_29:
	s_nop 0
	s_sendmsg sendmsg(MSG_DEALLOC_VGPRS)
	s_endpgm
	.section	.rodata,"a",@progbits
	.p2align	6, 0x0
	.amdhsa_kernel _ZN9rocsparseL19gebsrmvn_2xn_kernelILj128ELj4ELj32E21rocsparse_complex_numIfEEEvi20rocsparse_direction_NS_24const_host_device_scalarIT2_EEPKiS8_PKS5_SA_S6_PS5_21rocsparse_index_base_b
		.amdhsa_group_segment_fixed_size 0
		.amdhsa_private_segment_fixed_size 0
		.amdhsa_kernarg_size 72
		.amdhsa_user_sgpr_count 15
		.amdhsa_user_sgpr_dispatch_ptr 0
		.amdhsa_user_sgpr_queue_ptr 0
		.amdhsa_user_sgpr_kernarg_segment_ptr 1
		.amdhsa_user_sgpr_dispatch_id 0
		.amdhsa_user_sgpr_private_segment_size 0
		.amdhsa_wavefront_size32 1
		.amdhsa_uses_dynamic_stack 0
		.amdhsa_enable_private_segment 0
		.amdhsa_system_sgpr_workgroup_id_x 1
		.amdhsa_system_sgpr_workgroup_id_y 0
		.amdhsa_system_sgpr_workgroup_id_z 0
		.amdhsa_system_sgpr_workgroup_info 0
		.amdhsa_system_vgpr_workitem_id 0
		.amdhsa_next_free_vgpr 40
		.amdhsa_next_free_sgpr 16
		.amdhsa_reserve_vcc 1
		.amdhsa_float_round_mode_32 0
		.amdhsa_float_round_mode_16_64 0
		.amdhsa_float_denorm_mode_32 3
		.amdhsa_float_denorm_mode_16_64 3
		.amdhsa_dx10_clamp 1
		.amdhsa_ieee_mode 1
		.amdhsa_fp16_overflow 0
		.amdhsa_workgroup_processor_mode 1
		.amdhsa_memory_ordered 1
		.amdhsa_forward_progress 0
		.amdhsa_shared_vgpr_count 0
		.amdhsa_exception_fp_ieee_invalid_op 0
		.amdhsa_exception_fp_denorm_src 0
		.amdhsa_exception_fp_ieee_div_zero 0
		.amdhsa_exception_fp_ieee_overflow 0
		.amdhsa_exception_fp_ieee_underflow 0
		.amdhsa_exception_fp_ieee_inexact 0
		.amdhsa_exception_int_div_zero 0
	.end_amdhsa_kernel
	.section	.text._ZN9rocsparseL19gebsrmvn_2xn_kernelILj128ELj4ELj32E21rocsparse_complex_numIfEEEvi20rocsparse_direction_NS_24const_host_device_scalarIT2_EEPKiS8_PKS5_SA_S6_PS5_21rocsparse_index_base_b,"axG",@progbits,_ZN9rocsparseL19gebsrmvn_2xn_kernelILj128ELj4ELj32E21rocsparse_complex_numIfEEEvi20rocsparse_direction_NS_24const_host_device_scalarIT2_EEPKiS8_PKS5_SA_S6_PS5_21rocsparse_index_base_b,comdat
.Lfunc_end165:
	.size	_ZN9rocsparseL19gebsrmvn_2xn_kernelILj128ELj4ELj32E21rocsparse_complex_numIfEEEvi20rocsparse_direction_NS_24const_host_device_scalarIT2_EEPKiS8_PKS5_SA_S6_PS5_21rocsparse_index_base_b, .Lfunc_end165-_ZN9rocsparseL19gebsrmvn_2xn_kernelILj128ELj4ELj32E21rocsparse_complex_numIfEEEvi20rocsparse_direction_NS_24const_host_device_scalarIT2_EEPKiS8_PKS5_SA_S6_PS5_21rocsparse_index_base_b
                                        ; -- End function
	.section	.AMDGPU.csdata,"",@progbits
; Kernel info:
; codeLenInByte = 2116
; NumSgprs: 18
; NumVgprs: 40
; ScratchSize: 0
; MemoryBound: 0
; FloatMode: 240
; IeeeMode: 1
; LDSByteSize: 0 bytes/workgroup (compile time only)
; SGPRBlocks: 2
; VGPRBlocks: 4
; NumSGPRsForWavesPerEU: 18
; NumVGPRsForWavesPerEU: 40
; Occupancy: 16
; WaveLimiterHint : 1
; COMPUTE_PGM_RSRC2:SCRATCH_EN: 0
; COMPUTE_PGM_RSRC2:USER_SGPR: 15
; COMPUTE_PGM_RSRC2:TRAP_HANDLER: 0
; COMPUTE_PGM_RSRC2:TGID_X_EN: 1
; COMPUTE_PGM_RSRC2:TGID_Y_EN: 0
; COMPUTE_PGM_RSRC2:TGID_Z_EN: 0
; COMPUTE_PGM_RSRC2:TIDIG_COMP_CNT: 0
	.section	.text._ZN9rocsparseL19gebsrmvn_2xn_kernelILj128ELj4ELj64E21rocsparse_complex_numIfEEEvi20rocsparse_direction_NS_24const_host_device_scalarIT2_EEPKiS8_PKS5_SA_S6_PS5_21rocsparse_index_base_b,"axG",@progbits,_ZN9rocsparseL19gebsrmvn_2xn_kernelILj128ELj4ELj64E21rocsparse_complex_numIfEEEvi20rocsparse_direction_NS_24const_host_device_scalarIT2_EEPKiS8_PKS5_SA_S6_PS5_21rocsparse_index_base_b,comdat
	.globl	_ZN9rocsparseL19gebsrmvn_2xn_kernelILj128ELj4ELj64E21rocsparse_complex_numIfEEEvi20rocsparse_direction_NS_24const_host_device_scalarIT2_EEPKiS8_PKS5_SA_S6_PS5_21rocsparse_index_base_b ; -- Begin function _ZN9rocsparseL19gebsrmvn_2xn_kernelILj128ELj4ELj64E21rocsparse_complex_numIfEEEvi20rocsparse_direction_NS_24const_host_device_scalarIT2_EEPKiS8_PKS5_SA_S6_PS5_21rocsparse_index_base_b
	.p2align	8
	.type	_ZN9rocsparseL19gebsrmvn_2xn_kernelILj128ELj4ELj64E21rocsparse_complex_numIfEEEvi20rocsparse_direction_NS_24const_host_device_scalarIT2_EEPKiS8_PKS5_SA_S6_PS5_21rocsparse_index_base_b,@function
_ZN9rocsparseL19gebsrmvn_2xn_kernelILj128ELj4ELj64E21rocsparse_complex_numIfEEEvi20rocsparse_direction_NS_24const_host_device_scalarIT2_EEPKiS8_PKS5_SA_S6_PS5_21rocsparse_index_base_b: ; @_ZN9rocsparseL19gebsrmvn_2xn_kernelILj128ELj4ELj64E21rocsparse_complex_numIfEEEvi20rocsparse_direction_NS_24const_host_device_scalarIT2_EEPKiS8_PKS5_SA_S6_PS5_21rocsparse_index_base_b
; %bb.0:
	s_clause 0x2
	s_load_b64 s[12:13], s[0:1], 0x40
	s_load_b64 s[4:5], s[0:1], 0x8
	;; [unrolled: 1-line block ×3, first 2 shown]
	s_waitcnt lgkmcnt(0)
	s_bitcmp1_b32 s13, 0
	v_mov_b32_e32 v7, s4
	s_cselect_b32 s6, -1, 0
	s_delay_alu instid0(SALU_CYCLE_1)
	s_and_b32 vcc_lo, exec_lo, s6
	s_xor_b32 s6, s6, -1
	s_cbranch_vccz .LBB166_15
; %bb.1:
	v_cndmask_b32_e64 v1, 0, 1, s6
	v_mov_b32_e32 v8, s5
	s_and_not1_b32 vcc_lo, exec_lo, s6
	s_cbranch_vccz .LBB166_16
.LBB166_2:
	s_delay_alu instid0(VALU_DEP_2)
	v_cmp_ne_u32_e32 vcc_lo, 1, v1
	v_mov_b32_e32 v9, s2
	s_cbranch_vccz .LBB166_17
.LBB166_3:
	v_cmp_ne_u32_e32 vcc_lo, 1, v1
	v_mov_b32_e32 v10, s3
	s_cbranch_vccnz .LBB166_5
.LBB166_4:
	v_dual_mov_b32 v1, s2 :: v_dual_mov_b32 v2, s3
	flat_load_b32 v10, v[1:2] offset:4
.LBB166_5:
	s_waitcnt vmcnt(0) lgkmcnt(0)
	v_cmp_eq_f32_e32 vcc_lo, 0, v7
	v_cmp_eq_f32_e64 s2, 0, v8
	s_delay_alu instid0(VALU_DEP_1)
	s_and_b32 s4, vcc_lo, s2
	s_mov_b32 s2, -1
	s_and_saveexec_b32 s3, s4
; %bb.6:
	v_cmp_neq_f32_e32 vcc_lo, 1.0, v9
	v_cmp_neq_f32_e64 s2, 0, v10
	s_delay_alu instid0(VALU_DEP_1) | instskip(NEXT) | instid1(SALU_CYCLE_1)
	s_or_b32 s2, vcc_lo, s2
	s_or_not1_b32 s2, s2, exec_lo
; %bb.7:
	s_or_b32 exec_lo, exec_lo, s3
	s_and_saveexec_b32 s3, s2
	s_cbranch_execz .LBB166_29
; %bb.8:
	s_load_b64 s[2:3], s[0:1], 0x0
	v_lshrrev_b32_e32 v1, 6, v0
	s_delay_alu instid0(VALU_DEP_1) | instskip(SKIP_1) | instid1(VALU_DEP_1)
	v_lshl_or_b32 v1, s15, 1, v1
	s_waitcnt lgkmcnt(0)
	v_cmp_gt_i32_e32 vcc_lo, s2, v1
	s_and_b32 exec_lo, exec_lo, vcc_lo
	s_cbranch_execz .LBB166_29
; %bb.9:
	s_load_b256 s[4:11], s[0:1], 0x10
	v_ashrrev_i32_e32 v2, 31, v1
	v_and_b32_e32 v0, 63, v0
	s_cmp_lg_u32 s3, 0
	s_delay_alu instid0(VALU_DEP_2) | instskip(SKIP_1) | instid1(VALU_DEP_1)
	v_lshlrev_b64 v[2:3], 2, v[1:2]
	s_waitcnt lgkmcnt(0)
	v_add_co_u32 v2, vcc_lo, s4, v2
	s_delay_alu instid0(VALU_DEP_2) | instskip(SKIP_4) | instid1(VALU_DEP_2)
	v_add_co_ci_u32_e32 v3, vcc_lo, s5, v3, vcc_lo
	global_load_b64 v[2:3], v[2:3], off
	s_waitcnt vmcnt(0)
	v_subrev_nc_u32_e32 v2, s12, v2
	v_subrev_nc_u32_e32 v13, s12, v3
	v_add_nc_u32_e32 v2, v2, v0
	s_delay_alu instid0(VALU_DEP_1)
	v_cmp_lt_i32_e64 s2, v2, v13
	s_cbranch_scc0 .LBB166_18
; %bb.10:
	v_dual_mov_b32 v11, 0 :: v_dual_mov_b32 v14, 0
	v_dual_mov_b32 v15, 0 :: v_dual_mov_b32 v12, 0
	s_mov_b32 s3, 0
	s_and_saveexec_b32 s4, s2
	s_cbranch_execz .LBB166_14
; %bb.11:
	v_dual_mov_b32 v4, 0 :: v_dual_lshlrev_b32 v3, 3, v2
	v_mov_b32_e32 v5, v2
	s_mov_b32 s5, 0
	s_delay_alu instid0(VALU_DEP_2)
	v_mov_b32_e32 v14, v4
	v_mov_b32_e32 v11, v4
	;; [unrolled: 1-line block ×4, first 2 shown]
.LBB166_12:                             ; =>This Inner Loop Header: Depth=1
	v_ashrrev_i32_e32 v6, 31, v5
	s_delay_alu instid0(VALU_DEP_1) | instskip(SKIP_1) | instid1(VALU_DEP_2)
	v_lshlrev_b64 v[16:17], 2, v[5:6]
	v_add_nc_u32_e32 v5, 64, v5
	v_add_co_u32 v16, vcc_lo, s6, v16
	s_delay_alu instid0(VALU_DEP_3) | instskip(SKIP_3) | instid1(VALU_DEP_2)
	v_add_co_ci_u32_e32 v17, vcc_lo, s7, v17, vcc_lo
	global_load_b32 v6, v[16:17], off
	v_lshlrev_b64 v[16:17], 3, v[3:4]
	v_add_nc_u32_e32 v3, 0x200, v3
	v_add_co_u32 v36, vcc_lo, s8, v16
	s_delay_alu instid0(VALU_DEP_3) | instskip(SKIP_3) | instid1(VALU_DEP_1)
	v_add_co_ci_u32_e32 v37, vcc_lo, s9, v17, vcc_lo
	global_load_b128 v[16:19], v[36:37], off offset:16
	s_waitcnt vmcnt(1)
	v_subrev_nc_u32_e32 v6, s12, v6
	v_dual_mov_b32 v21, v4 :: v_dual_lshlrev_b32 v20, 2, v6
	s_delay_alu instid0(VALU_DEP_1) | instskip(NEXT) | instid1(VALU_DEP_1)
	v_lshlrev_b64 v[20:21], 3, v[20:21]
	v_add_co_u32 v28, vcc_lo, s10, v20
	s_delay_alu instid0(VALU_DEP_2)
	v_add_co_ci_u32_e32 v29, vcc_lo, s11, v21, vcc_lo
	global_load_b128 v[20:23], v[36:37], off
	s_clause 0x1
	global_load_b128 v[24:27], v[28:29], off
	global_load_b128 v[28:31], v[28:29], off offset:16
	s_clause 0x1
	global_load_b128 v[32:35], v[36:37], off offset:32
	global_load_b128 v[36:39], v[36:37], off offset:48
	v_cmp_ge_i32_e32 vcc_lo, v5, v13
	s_or_b32 s5, vcc_lo, s5
	s_waitcnt vmcnt(3)
	v_fmac_f32_e32 v12, v23, v24
	s_delay_alu instid0(VALU_DEP_1) | instskip(NEXT) | instid1(VALU_DEP_1)
	v_dual_fmac_f32 v11, v21, v24 :: v_dual_fmac_f32 v12, v22, v25
	v_fmac_f32_e32 v11, v20, v25
	s_delay_alu instid0(VALU_DEP_1) | instskip(NEXT) | instid1(VALU_DEP_1)
	v_dual_fmac_f32 v14, v20, v24 :: v_dual_fmac_f32 v11, v17, v26
	v_fma_f32 v6, -v21, v25, v14
	v_fmac_f32_e32 v15, v22, v24
	s_delay_alu instid0(VALU_DEP_3) | instskip(NEXT) | instid1(VALU_DEP_3)
	v_fmac_f32_e32 v11, v16, v27
	v_fmac_f32_e32 v6, v16, v26
	s_delay_alu instid0(VALU_DEP_3) | instskip(SKIP_1) | instid1(VALU_DEP_3)
	v_fma_f32 v14, -v23, v25, v15
	s_waitcnt vmcnt(1)
	v_dual_fmac_f32 v12, v19, v26 :: v_dual_fmac_f32 v11, v33, v28
	s_delay_alu instid0(VALU_DEP_3) | instskip(NEXT) | instid1(VALU_DEP_3)
	v_fma_f32 v6, -v17, v27, v6
	v_fmac_f32_e32 v14, v18, v26
	s_delay_alu instid0(VALU_DEP_3) | instskip(NEXT) | instid1(VALU_DEP_3)
	v_dual_fmac_f32 v12, v18, v27 :: v_dual_fmac_f32 v11, v32, v29
	v_fmac_f32_e32 v6, v32, v28
	s_delay_alu instid0(VALU_DEP_3) | instskip(SKIP_1) | instid1(VALU_DEP_3)
	v_fma_f32 v14, -v19, v27, v14
	s_waitcnt vmcnt(0)
	v_dual_fmac_f32 v12, v35, v28 :: v_dual_fmac_f32 v11, v37, v30
	s_delay_alu instid0(VALU_DEP_3) | instskip(NEXT) | instid1(VALU_DEP_3)
	v_fma_f32 v6, -v33, v29, v6
	v_fmac_f32_e32 v14, v34, v28
	s_delay_alu instid0(VALU_DEP_3) | instskip(NEXT) | instid1(VALU_DEP_3)
	v_dual_fmac_f32 v12, v34, v29 :: v_dual_fmac_f32 v11, v36, v31
	v_fmac_f32_e32 v6, v36, v30
	s_delay_alu instid0(VALU_DEP_3) | instskip(NEXT) | instid1(VALU_DEP_3)
	v_fma_f32 v15, -v35, v29, v14
	v_fmac_f32_e32 v12, v39, v30
	s_delay_alu instid0(VALU_DEP_3) | instskip(NEXT) | instid1(VALU_DEP_3)
	v_fma_f32 v14, -v37, v31, v6
	v_fmac_f32_e32 v15, v38, v30
	s_delay_alu instid0(VALU_DEP_3) | instskip(NEXT) | instid1(VALU_DEP_2)
	v_fmac_f32_e32 v12, v38, v31
	v_fma_f32 v15, -v39, v31, v15
	s_and_not1_b32 exec_lo, exec_lo, s5
	s_cbranch_execnz .LBB166_12
; %bb.13:
	s_or_b32 exec_lo, exec_lo, s5
.LBB166_14:
	s_delay_alu instid0(SALU_CYCLE_1) | instskip(NEXT) | instid1(SALU_CYCLE_1)
	s_or_b32 exec_lo, exec_lo, s4
	s_and_not1_b32 vcc_lo, exec_lo, s3
	s_cbranch_vccz .LBB166_19
	s_branch .LBB166_24
.LBB166_15:
	v_dual_mov_b32 v1, s4 :: v_dual_mov_b32 v2, s5
	flat_load_b32 v7, v[1:2]
	v_cndmask_b32_e64 v1, 0, 1, s6
	v_mov_b32_e32 v8, s5
	s_and_not1_b32 vcc_lo, exec_lo, s6
	s_cbranch_vccnz .LBB166_2
.LBB166_16:
	v_dual_mov_b32 v2, s4 :: v_dual_mov_b32 v3, s5
	flat_load_b32 v8, v[2:3] offset:4
	v_cmp_ne_u32_e32 vcc_lo, 1, v1
	v_mov_b32_e32 v9, s2
	s_cbranch_vccnz .LBB166_3
.LBB166_17:
	v_dual_mov_b32 v2, s2 :: v_dual_mov_b32 v3, s3
	flat_load_b32 v9, v[2:3]
	v_cmp_ne_u32_e32 vcc_lo, 1, v1
	v_mov_b32_e32 v10, s3
	s_cbranch_vccz .LBB166_4
	s_branch .LBB166_5
.LBB166_18:
                                        ; implicit-def: $vgpr11
                                        ; implicit-def: $vgpr14
                                        ; implicit-def: $vgpr15
                                        ; implicit-def: $vgpr12
.LBB166_19:
	v_dual_mov_b32 v11, 0 :: v_dual_mov_b32 v14, 0
	v_dual_mov_b32 v15, 0 :: v_dual_mov_b32 v12, 0
	s_delay_alu instid0(VALU_DEP_3)
	s_and_saveexec_b32 s3, s2
	s_cbranch_execz .LBB166_23
; %bb.20:
	v_dual_mov_b32 v5, 0 :: v_dual_lshlrev_b32 v4, 3, v2
	s_mov_b32 s2, 0
	s_delay_alu instid0(VALU_DEP_1)
	v_mov_b32_e32 v11, v5
	v_mov_b32_e32 v14, v5
	;; [unrolled: 1-line block ×4, first 2 shown]
.LBB166_21:                             ; =>This Inner Loop Header: Depth=1
	v_ashrrev_i32_e32 v3, 31, v2
	s_delay_alu instid0(VALU_DEP_1) | instskip(SKIP_1) | instid1(VALU_DEP_2)
	v_lshlrev_b64 v[16:17], 2, v[2:3]
	v_add_nc_u32_e32 v2, 64, v2
	v_add_co_u32 v16, vcc_lo, s6, v16
	s_delay_alu instid0(VALU_DEP_3) | instskip(SKIP_2) | instid1(VALU_DEP_1)
	v_add_co_ci_u32_e32 v17, vcc_lo, s7, v17, vcc_lo
	global_load_b32 v3, v[16:17], off
	v_lshlrev_b64 v[16:17], 3, v[4:5]
	v_add_co_u32 v30, vcc_lo, s8, v16
	s_delay_alu instid0(VALU_DEP_2)
	v_add_co_ci_u32_e32 v31, vcc_lo, s9, v17, vcc_lo
	s_clause 0x2
	global_load_b128 v[16:19], v[30:31], off offset:16
	global_load_b128 v[20:23], v[30:31], off offset:48
	;; [unrolled: 1-line block ×3, first 2 shown]
	s_waitcnt vmcnt(3)
	v_subrev_nc_u32_e32 v3, s12, v3
	s_delay_alu instid0(VALU_DEP_1) | instskip(NEXT) | instid1(VALU_DEP_1)
	v_dual_mov_b32 v29, v5 :: v_dual_lshlrev_b32 v28, 2, v3
	v_lshlrev_b64 v[28:29], 3, v[28:29]
	s_delay_alu instid0(VALU_DEP_1) | instskip(NEXT) | instid1(VALU_DEP_2)
	v_add_co_u32 v36, vcc_lo, s10, v28
	v_add_co_ci_u32_e32 v37, vcc_lo, s11, v29, vcc_lo
	global_load_b128 v[28:31], v[30:31], off
	s_clause 0x1
	global_load_b128 v[32:35], v[36:37], off
	global_load_b128 v[36:39], v[36:37], off offset:16
	v_cmp_ge_i32_e32 vcc_lo, v2, v13
	s_or_b32 s2, vcc_lo, s2
	s_waitcnt vmcnt(1)
	v_fmac_f32_e32 v14, v28, v32
	v_fmac_f32_e32 v15, v24, v32
	;; [unrolled: 1-line block ×4, first 2 shown]
	s_delay_alu instid0(VALU_DEP_4) | instskip(NEXT) | instid1(VALU_DEP_4)
	v_fma_f32 v3, -v29, v33, v14
	v_fma_f32 v6, -v25, v33, v15
	s_delay_alu instid0(VALU_DEP_4) | instskip(NEXT) | instid1(VALU_DEP_4)
	v_fmac_f32_e32 v12, v24, v33
	v_fmac_f32_e32 v11, v28, v33
	s_delay_alu instid0(VALU_DEP_4) | instskip(NEXT) | instid1(VALU_DEP_4)
	v_fmac_f32_e32 v3, v30, v34
	v_fmac_f32_e32 v6, v26, v34
	;; [unrolled: 3-line block ×3, first 2 shown]
	s_delay_alu instid0(VALU_DEP_4) | instskip(NEXT) | instid1(VALU_DEP_4)
	v_fma_f32 v3, -v31, v35, v3
	v_fma_f32 v6, -v27, v35, v6
	s_delay_alu instid0(VALU_DEP_4) | instskip(NEXT) | instid1(VALU_DEP_4)
	v_fmac_f32_e32 v12, v26, v35
	v_fmac_f32_e32 v11, v30, v35
	s_waitcnt vmcnt(0)
	v_fmac_f32_e32 v3, v16, v36
	s_delay_alu instid0(VALU_DEP_3) | instskip(NEXT) | instid1(VALU_DEP_3)
	v_fmac_f32_e32 v12, v21, v36
	v_fmac_f32_e32 v11, v17, v36
	s_delay_alu instid0(VALU_DEP_3) | instskip(SKIP_1) | instid1(VALU_DEP_4)
	v_fma_f32 v3, -v17, v37, v3
	v_fmac_f32_e32 v6, v20, v36
	v_fmac_f32_e32 v12, v20, v37
	s_delay_alu instid0(VALU_DEP_4) | instskip(NEXT) | instid1(VALU_DEP_4)
	v_dual_fmac_f32 v11, v16, v37 :: v_dual_add_nc_u32 v4, 0x200, v4
	v_fmac_f32_e32 v3, v18, v38
	s_delay_alu instid0(VALU_DEP_4) | instskip(NEXT) | instid1(VALU_DEP_3)
	v_fma_f32 v6, -v21, v37, v6
	v_fmac_f32_e32 v11, v19, v38
	v_fmac_f32_e32 v12, v23, v38
	s_delay_alu instid0(VALU_DEP_4) | instskip(NEXT) | instid1(VALU_DEP_4)
	v_fma_f32 v14, -v19, v39, v3
	v_fmac_f32_e32 v6, v22, v38
	s_delay_alu instid0(VALU_DEP_4) | instskip(NEXT) | instid1(VALU_DEP_4)
	v_fmac_f32_e32 v11, v18, v39
	v_fmac_f32_e32 v12, v22, v39
	s_delay_alu instid0(VALU_DEP_3)
	v_fma_f32 v15, -v23, v39, v6
	s_and_not1_b32 exec_lo, exec_lo, s2
	s_cbranch_execnz .LBB166_21
; %bb.22:
	s_or_b32 exec_lo, exec_lo, s2
.LBB166_23:
	s_delay_alu instid0(SALU_CYCLE_1)
	s_or_b32 exec_lo, exec_lo, s3
.LBB166_24:
	v_mbcnt_lo_u32_b32 v2, -1, 0
	s_delay_alu instid0(VALU_DEP_1) | instskip(SKIP_1) | instid1(VALU_DEP_2)
	v_or_b32_e32 v3, 32, v2
	v_xor_b32_e32 v13, 16, v2
	v_cmp_gt_i32_e32 vcc_lo, 32, v3
	v_cndmask_b32_e32 v3, v2, v3, vcc_lo
	s_delay_alu instid0(VALU_DEP_3) | instskip(NEXT) | instid1(VALU_DEP_2)
	v_cmp_gt_i32_e32 vcc_lo, 32, v13
	v_lshlrev_b32_e32 v3, 2, v3
	ds_bpermute_b32 v4, v3, v14
	s_waitcnt lgkmcnt(0)
	v_add_f32_e32 v4, v14, v4
	ds_bpermute_b32 v6, v3, v15
	v_cndmask_b32_e32 v13, v2, v13, vcc_lo
	ds_bpermute_b32 v5, v3, v11
	ds_bpermute_b32 v3, v3, v12
	s_waitcnt lgkmcnt(2)
	v_dual_add_f32 v6, v15, v6 :: v_dual_lshlrev_b32 v13, 2, v13
	s_waitcnt lgkmcnt(1)
	v_add_f32_e32 v5, v11, v5
	v_xor_b32_e32 v15, 8, v2
	ds_bpermute_b32 v14, v13, v6
	v_cmp_gt_i32_e32 vcc_lo, 32, v15
	v_cndmask_b32_e32 v15, v2, v15, vcc_lo
	s_waitcnt lgkmcnt(0)
	s_delay_alu instid0(VALU_DEP_1)
	v_dual_add_f32 v6, v6, v14 :: v_dual_lshlrev_b32 v15, 2, v15
	ds_bpermute_b32 v11, v13, v4
	v_add_f32_e32 v3, v12, v3
	s_waitcnt lgkmcnt(0)
	v_add_f32_e32 v4, v4, v11
	ds_bpermute_b32 v11, v15, v4
	s_waitcnt lgkmcnt(0)
	v_add_f32_e32 v4, v4, v11
	ds_bpermute_b32 v12, v13, v5
	ds_bpermute_b32 v13, v13, v3
	s_waitcnt lgkmcnt(1)
	v_add_f32_e32 v5, v5, v12
	s_waitcnt lgkmcnt(0)
	v_add_f32_e32 v3, v3, v13
	ds_bpermute_b32 v13, v15, v6
	ds_bpermute_b32 v12, v15, v5
	ds_bpermute_b32 v14, v15, v3
	v_xor_b32_e32 v15, 4, v2
	s_delay_alu instid0(VALU_DEP_1) | instskip(SKIP_2) | instid1(VALU_DEP_1)
	v_cmp_gt_i32_e32 vcc_lo, 32, v15
	v_cndmask_b32_e32 v15, v2, v15, vcc_lo
	s_waitcnt lgkmcnt(2)
	v_dual_add_f32 v6, v6, v13 :: v_dual_lshlrev_b32 v15, 2, v15
	s_waitcnt lgkmcnt(0)
	v_add_f32_e32 v3, v3, v14
	ds_bpermute_b32 v11, v15, v4
	ds_bpermute_b32 v13, v15, v6
	;; [unrolled: 1-line block ×3, first 2 shown]
	s_waitcnt lgkmcnt(2)
	v_dual_add_f32 v4, v4, v11 :: v_dual_add_f32 v5, v5, v12
	s_waitcnt lgkmcnt(0)
	v_dual_add_f32 v6, v6, v13 :: v_dual_add_f32 v3, v3, v14
	ds_bpermute_b32 v12, v15, v5
	v_xor_b32_e32 v15, 2, v2
	s_delay_alu instid0(VALU_DEP_1) | instskip(SKIP_1) | instid1(VALU_DEP_1)
	v_cmp_gt_i32_e32 vcc_lo, 32, v15
	v_cndmask_b32_e32 v15, v2, v15, vcc_lo
	v_lshlrev_b32_e32 v15, 2, v15
	ds_bpermute_b32 v11, v15, v4
	ds_bpermute_b32 v13, v15, v6
	;; [unrolled: 1-line block ×3, first 2 shown]
	s_waitcnt lgkmcnt(2)
	v_dual_add_f32 v4, v4, v11 :: v_dual_add_f32 v5, v5, v12
	s_waitcnt lgkmcnt(0)
	v_add_f32_e32 v3, v3, v14
	ds_bpermute_b32 v12, v15, v5
	v_xor_b32_e32 v15, 1, v2
	s_delay_alu instid0(VALU_DEP_1) | instskip(SKIP_2) | instid1(VALU_DEP_2)
	v_cmp_gt_i32_e32 vcc_lo, 32, v15
	v_cndmask_b32_e32 v2, v2, v15, vcc_lo
	v_cmp_eq_u32_e32 vcc_lo, 63, v0
	v_dual_add_f32 v2, v6, v13 :: v_dual_lshlrev_b32 v15, 2, v2
	s_waitcnt lgkmcnt(0)
	v_add_f32_e32 v5, v5, v12
	ds_bpermute_b32 v12, v15, v4
	ds_bpermute_b32 v6, v15, v2
	;; [unrolled: 1-line block ×4, first 2 shown]
	s_and_b32 exec_lo, exec_lo, vcc_lo
	s_cbranch_execz .LBB166_29
; %bb.25:
	s_load_b64 s[2:3], s[0:1], 0x38
	v_cmp_eq_f32_e32 vcc_lo, 0, v9
	v_cmp_eq_f32_e64 s0, 0, v10
	s_waitcnt lgkmcnt(0)
	v_dual_add_f32 v0, v4, v12 :: v_dual_add_f32 v3, v3, v11
	v_add_f32_e32 v4, v5, v13
	v_add_f32_e32 v2, v2, v6
	s_and_b32 s0, vcc_lo, s0
	s_delay_alu instid0(SALU_CYCLE_1) | instskip(NEXT) | instid1(SALU_CYCLE_1)
	s_and_saveexec_b32 s1, s0
	s_xor_b32 s0, exec_lo, s1
	s_cbranch_execz .LBB166_27
; %bb.26:
	v_dual_mul_f32 v10, v4, v7 :: v_dual_lshlrev_b32 v5, 1, v1
	v_mul_f32_e64 v9, v4, -v8
	v_mul_f32_e64 v11, v3, -v8
	v_mul_f32_e32 v12, v3, v7
	s_delay_alu instid0(VALU_DEP_4)
	v_ashrrev_i32_e32 v6, 31, v5
	v_fmac_f32_e32 v10, v8, v0
	v_fmac_f32_e32 v9, v7, v0
	;; [unrolled: 1-line block ×4, first 2 shown]
	v_lshlrev_b64 v[4:5], 3, v[5:6]
                                        ; implicit-def: $vgpr7
                                        ; implicit-def: $vgpr8
                                        ; implicit-def: $vgpr2
                                        ; implicit-def: $vgpr3
	s_delay_alu instid0(VALU_DEP_1) | instskip(NEXT) | instid1(VALU_DEP_2)
	v_add_co_u32 v0, vcc_lo, s2, v4
	v_add_co_ci_u32_e32 v1, vcc_lo, s3, v5, vcc_lo
                                        ; implicit-def: $vgpr4
	global_store_b128 v[0:1], v[9:12], off
                                        ; implicit-def: $vgpr9
                                        ; implicit-def: $vgpr10
                                        ; implicit-def: $vgpr1
                                        ; implicit-def: $vgpr0
.LBB166_27:
	s_and_not1_saveexec_b32 s0, s0
	s_cbranch_execz .LBB166_29
; %bb.28:
	v_lshlrev_b32_e32 v5, 1, v1
	v_mul_f32_e64 v15, v4, -v8
	v_mul_f32_e32 v1, v4, v7
	v_mul_f32_e64 v4, v3, -v8
	v_mul_f32_e32 v3, v3, v7
	s_delay_alu instid0(VALU_DEP_4) | instskip(NEXT) | instid1(VALU_DEP_3)
	v_fmac_f32_e32 v15, v7, v0
	v_fmac_f32_e32 v4, v7, v2
	v_ashrrev_i32_e32 v6, 31, v5
	s_delay_alu instid0(VALU_DEP_4) | instskip(NEXT) | instid1(VALU_DEP_2)
	v_fmac_f32_e32 v3, v8, v2
	v_lshlrev_b64 v[5:6], 3, v[5:6]
	s_delay_alu instid0(VALU_DEP_1) | instskip(NEXT) | instid1(VALU_DEP_2)
	v_add_co_u32 v5, vcc_lo, s2, v5
	v_add_co_ci_u32_e32 v6, vcc_lo, s3, v6, vcc_lo
	global_load_b128 v[11:14], v[5:6], off
	s_waitcnt vmcnt(0)
	v_dual_fmac_f32 v4, v9, v13 :: v_dual_fmac_f32 v1, v8, v0
	v_fmac_f32_e32 v15, v9, v11
	v_fmac_f32_e32 v3, v10, v13
	s_delay_alu instid0(VALU_DEP_3) | instskip(NEXT) | instid1(VALU_DEP_4)
	v_fma_f32 v2, -v10, v14, v4
	v_fmac_f32_e32 v1, v10, v11
	s_delay_alu instid0(VALU_DEP_4) | instskip(NEXT) | instid1(VALU_DEP_4)
	v_fma_f32 v0, -v10, v12, v15
	v_fmac_f32_e32 v3, v9, v14
	s_delay_alu instid0(VALU_DEP_3)
	v_fmac_f32_e32 v1, v9, v12
	global_store_b128 v[5:6], v[0:3], off
.LBB166_29:
	s_nop 0
	s_sendmsg sendmsg(MSG_DEALLOC_VGPRS)
	s_endpgm
	.section	.rodata,"a",@progbits
	.p2align	6, 0x0
	.amdhsa_kernel _ZN9rocsparseL19gebsrmvn_2xn_kernelILj128ELj4ELj64E21rocsparse_complex_numIfEEEvi20rocsparse_direction_NS_24const_host_device_scalarIT2_EEPKiS8_PKS5_SA_S6_PS5_21rocsparse_index_base_b
		.amdhsa_group_segment_fixed_size 0
		.amdhsa_private_segment_fixed_size 0
		.amdhsa_kernarg_size 72
		.amdhsa_user_sgpr_count 15
		.amdhsa_user_sgpr_dispatch_ptr 0
		.amdhsa_user_sgpr_queue_ptr 0
		.amdhsa_user_sgpr_kernarg_segment_ptr 1
		.amdhsa_user_sgpr_dispatch_id 0
		.amdhsa_user_sgpr_private_segment_size 0
		.amdhsa_wavefront_size32 1
		.amdhsa_uses_dynamic_stack 0
		.amdhsa_enable_private_segment 0
		.amdhsa_system_sgpr_workgroup_id_x 1
		.amdhsa_system_sgpr_workgroup_id_y 0
		.amdhsa_system_sgpr_workgroup_id_z 0
		.amdhsa_system_sgpr_workgroup_info 0
		.amdhsa_system_vgpr_workitem_id 0
		.amdhsa_next_free_vgpr 40
		.amdhsa_next_free_sgpr 16
		.amdhsa_reserve_vcc 1
		.amdhsa_float_round_mode_32 0
		.amdhsa_float_round_mode_16_64 0
		.amdhsa_float_denorm_mode_32 3
		.amdhsa_float_denorm_mode_16_64 3
		.amdhsa_dx10_clamp 1
		.amdhsa_ieee_mode 1
		.amdhsa_fp16_overflow 0
		.amdhsa_workgroup_processor_mode 1
		.amdhsa_memory_ordered 1
		.amdhsa_forward_progress 0
		.amdhsa_shared_vgpr_count 0
		.amdhsa_exception_fp_ieee_invalid_op 0
		.amdhsa_exception_fp_denorm_src 0
		.amdhsa_exception_fp_ieee_div_zero 0
		.amdhsa_exception_fp_ieee_overflow 0
		.amdhsa_exception_fp_ieee_underflow 0
		.amdhsa_exception_fp_ieee_inexact 0
		.amdhsa_exception_int_div_zero 0
	.end_amdhsa_kernel
	.section	.text._ZN9rocsparseL19gebsrmvn_2xn_kernelILj128ELj4ELj64E21rocsparse_complex_numIfEEEvi20rocsparse_direction_NS_24const_host_device_scalarIT2_EEPKiS8_PKS5_SA_S6_PS5_21rocsparse_index_base_b,"axG",@progbits,_ZN9rocsparseL19gebsrmvn_2xn_kernelILj128ELj4ELj64E21rocsparse_complex_numIfEEEvi20rocsparse_direction_NS_24const_host_device_scalarIT2_EEPKiS8_PKS5_SA_S6_PS5_21rocsparse_index_base_b,comdat
.Lfunc_end166:
	.size	_ZN9rocsparseL19gebsrmvn_2xn_kernelILj128ELj4ELj64E21rocsparse_complex_numIfEEEvi20rocsparse_direction_NS_24const_host_device_scalarIT2_EEPKiS8_PKS5_SA_S6_PS5_21rocsparse_index_base_b, .Lfunc_end166-_ZN9rocsparseL19gebsrmvn_2xn_kernelILj128ELj4ELj64E21rocsparse_complex_numIfEEEvi20rocsparse_direction_NS_24const_host_device_scalarIT2_EEPKiS8_PKS5_SA_S6_PS5_21rocsparse_index_base_b
                                        ; -- End function
	.section	.AMDGPU.csdata,"",@progbits
; Kernel info:
; codeLenInByte = 2192
; NumSgprs: 18
; NumVgprs: 40
; ScratchSize: 0
; MemoryBound: 0
; FloatMode: 240
; IeeeMode: 1
; LDSByteSize: 0 bytes/workgroup (compile time only)
; SGPRBlocks: 2
; VGPRBlocks: 4
; NumSGPRsForWavesPerEU: 18
; NumVGPRsForWavesPerEU: 40
; Occupancy: 16
; WaveLimiterHint : 1
; COMPUTE_PGM_RSRC2:SCRATCH_EN: 0
; COMPUTE_PGM_RSRC2:USER_SGPR: 15
; COMPUTE_PGM_RSRC2:TRAP_HANDLER: 0
; COMPUTE_PGM_RSRC2:TGID_X_EN: 1
; COMPUTE_PGM_RSRC2:TGID_Y_EN: 0
; COMPUTE_PGM_RSRC2:TGID_Z_EN: 0
; COMPUTE_PGM_RSRC2:TIDIG_COMP_CNT: 0
	.section	.text._ZN9rocsparseL19gebsrmvn_2xn_kernelILj128ELj5ELj4E21rocsparse_complex_numIfEEEvi20rocsparse_direction_NS_24const_host_device_scalarIT2_EEPKiS8_PKS5_SA_S6_PS5_21rocsparse_index_base_b,"axG",@progbits,_ZN9rocsparseL19gebsrmvn_2xn_kernelILj128ELj5ELj4E21rocsparse_complex_numIfEEEvi20rocsparse_direction_NS_24const_host_device_scalarIT2_EEPKiS8_PKS5_SA_S6_PS5_21rocsparse_index_base_b,comdat
	.globl	_ZN9rocsparseL19gebsrmvn_2xn_kernelILj128ELj5ELj4E21rocsparse_complex_numIfEEEvi20rocsparse_direction_NS_24const_host_device_scalarIT2_EEPKiS8_PKS5_SA_S6_PS5_21rocsparse_index_base_b ; -- Begin function _ZN9rocsparseL19gebsrmvn_2xn_kernelILj128ELj5ELj4E21rocsparse_complex_numIfEEEvi20rocsparse_direction_NS_24const_host_device_scalarIT2_EEPKiS8_PKS5_SA_S6_PS5_21rocsparse_index_base_b
	.p2align	8
	.type	_ZN9rocsparseL19gebsrmvn_2xn_kernelILj128ELj5ELj4E21rocsparse_complex_numIfEEEvi20rocsparse_direction_NS_24const_host_device_scalarIT2_EEPKiS8_PKS5_SA_S6_PS5_21rocsparse_index_base_b,@function
_ZN9rocsparseL19gebsrmvn_2xn_kernelILj128ELj5ELj4E21rocsparse_complex_numIfEEEvi20rocsparse_direction_NS_24const_host_device_scalarIT2_EEPKiS8_PKS5_SA_S6_PS5_21rocsparse_index_base_b: ; @_ZN9rocsparseL19gebsrmvn_2xn_kernelILj128ELj5ELj4E21rocsparse_complex_numIfEEEvi20rocsparse_direction_NS_24const_host_device_scalarIT2_EEPKiS8_PKS5_SA_S6_PS5_21rocsparse_index_base_b
; %bb.0:
	s_clause 0x2
	s_load_b64 s[12:13], s[0:1], 0x40
	s_load_b64 s[4:5], s[0:1], 0x8
	;; [unrolled: 1-line block ×3, first 2 shown]
	s_waitcnt lgkmcnt(0)
	s_bitcmp1_b32 s13, 0
	v_mov_b32_e32 v9, s4
	s_cselect_b32 s6, -1, 0
	s_delay_alu instid0(SALU_CYCLE_1)
	s_and_b32 vcc_lo, exec_lo, s6
	s_xor_b32 s6, s6, -1
	s_cbranch_vccz .LBB167_15
; %bb.1:
	v_cndmask_b32_e64 v1, 0, 1, s6
	v_mov_b32_e32 v10, s5
	s_and_not1_b32 vcc_lo, exec_lo, s6
	s_cbranch_vccz .LBB167_16
.LBB167_2:
	s_delay_alu instid0(VALU_DEP_2)
	v_cmp_ne_u32_e32 vcc_lo, 1, v1
	v_mov_b32_e32 v11, s2
	s_cbranch_vccz .LBB167_17
.LBB167_3:
	v_cmp_ne_u32_e32 vcc_lo, 1, v1
	v_mov_b32_e32 v12, s3
	s_cbranch_vccnz .LBB167_5
.LBB167_4:
	v_dual_mov_b32 v1, s2 :: v_dual_mov_b32 v2, s3
	flat_load_b32 v12, v[1:2] offset:4
.LBB167_5:
	s_waitcnt vmcnt(0) lgkmcnt(0)
	v_cmp_eq_f32_e32 vcc_lo, 0, v9
	v_cmp_eq_f32_e64 s2, 0, v10
	s_delay_alu instid0(VALU_DEP_1)
	s_and_b32 s4, vcc_lo, s2
	s_mov_b32 s2, -1
	s_and_saveexec_b32 s3, s4
; %bb.6:
	v_cmp_neq_f32_e32 vcc_lo, 1.0, v11
	v_cmp_neq_f32_e64 s2, 0, v12
	s_delay_alu instid0(VALU_DEP_1) | instskip(NEXT) | instid1(SALU_CYCLE_1)
	s_or_b32 s2, vcc_lo, s2
	s_or_not1_b32 s2, s2, exec_lo
; %bb.7:
	s_or_b32 exec_lo, exec_lo, s3
	s_and_saveexec_b32 s3, s2
	s_cbranch_execz .LBB167_29
; %bb.8:
	s_load_b64 s[2:3], s[0:1], 0x0
	v_lshrrev_b32_e32 v1, 2, v0
	s_delay_alu instid0(VALU_DEP_1) | instskip(SKIP_1) | instid1(VALU_DEP_1)
	v_lshl_or_b32 v1, s15, 5, v1
	s_waitcnt lgkmcnt(0)
	v_cmp_gt_i32_e32 vcc_lo, s2, v1
	s_and_b32 exec_lo, exec_lo, vcc_lo
	s_cbranch_execz .LBB167_29
; %bb.9:
	s_load_b256 s[4:11], s[0:1], 0x10
	v_ashrrev_i32_e32 v2, 31, v1
	v_and_b32_e32 v0, 3, v0
	s_cmp_lg_u32 s3, 0
	s_delay_alu instid0(VALU_DEP_2) | instskip(SKIP_1) | instid1(VALU_DEP_1)
	v_lshlrev_b64 v[2:3], 2, v[1:2]
	s_waitcnt lgkmcnt(0)
	v_add_co_u32 v2, vcc_lo, s4, v2
	s_delay_alu instid0(VALU_DEP_2) | instskip(SKIP_4) | instid1(VALU_DEP_2)
	v_add_co_ci_u32_e32 v3, vcc_lo, s5, v3, vcc_lo
	global_load_b64 v[2:3], v[2:3], off
	s_waitcnt vmcnt(0)
	v_subrev_nc_u32_e32 v2, s12, v2
	v_subrev_nc_u32_e32 v15, s12, v3
	v_add_nc_u32_e32 v2, v2, v0
	s_delay_alu instid0(VALU_DEP_1)
	v_cmp_lt_i32_e64 s2, v2, v15
	s_cbranch_scc0 .LBB167_18
; %bb.10:
	v_dual_mov_b32 v13, 0 :: v_dual_mov_b32 v16, 0
	v_dual_mov_b32 v17, 0 :: v_dual_mov_b32 v14, 0
	s_mov_b32 s3, 0
	s_and_saveexec_b32 s4, s2
	s_cbranch_execz .LBB167_14
; %bb.11:
	v_mad_u64_u32 v[3:4], null, v2, 10, 8
	v_dual_mov_b32 v6, 0 :: v_dual_mov_b32 v7, v2
	v_dual_mov_b32 v13, 0 :: v_dual_mov_b32 v16, 0
	v_dual_mov_b32 v17, 0 :: v_dual_mov_b32 v14, 0
	s_mov_b32 s5, 0
.LBB167_12:                             ; =>This Inner Loop Header: Depth=1
	s_delay_alu instid0(VALU_DEP_3) | instskip(NEXT) | instid1(VALU_DEP_1)
	v_ashrrev_i32_e32 v8, 31, v7
	v_lshlrev_b64 v[4:5], 2, v[7:8]
	s_delay_alu instid0(VALU_DEP_1) | instskip(NEXT) | instid1(VALU_DEP_2)
	v_add_co_u32 v4, vcc_lo, s6, v4
	v_add_co_ci_u32_e32 v5, vcc_lo, s7, v5, vcc_lo
	global_load_b32 v8, v[4:5], off
	v_dual_mov_b32 v4, v6 :: v_dual_add_nc_u32 v5, -8, v3
	s_delay_alu instid0(VALU_DEP_1) | instskip(SKIP_1) | instid1(VALU_DEP_3)
	v_lshlrev_b64 v[18:19], 3, v[5:6]
	v_add_nc_u32_e32 v5, -6, v3
	v_lshlrev_b64 v[20:21], 3, v[3:4]
	s_delay_alu instid0(VALU_DEP_2) | instskip(NEXT) | instid1(VALU_DEP_4)
	v_lshlrev_b64 v[4:5], 3, v[5:6]
	v_add_co_u32 v18, vcc_lo, s8, v18
	v_add_co_ci_u32_e32 v19, vcc_lo, s9, v19, vcc_lo
	s_delay_alu instid0(VALU_DEP_4)
	v_add_co_u32 v34, vcc_lo, s8, v20
	v_add_co_ci_u32_e32 v35, vcc_lo, s9, v21, vcc_lo
	v_add_co_u32 v4, vcc_lo, s8, v4
	v_add_co_ci_u32_e32 v5, vcc_lo, s9, v5, vcc_lo
	s_clause 0x1
	global_load_b128 v[18:21], v[18:19], off
	global_load_b128 v[22:25], v[4:5], off
	v_mov_b32_e32 v31, v6
	s_waitcnt vmcnt(2)
	v_subrev_nc_u32_e32 v4, s12, v8
	s_delay_alu instid0(VALU_DEP_1) | instskip(NEXT) | instid1(VALU_DEP_1)
	v_lshl_add_u32 v30, v4, 2, v4
	v_lshlrev_b64 v[26:27], 3, v[30:31]
	s_delay_alu instid0(VALU_DEP_1) | instskip(NEXT) | instid1(VALU_DEP_2)
	v_add_co_u32 v26, vcc_lo, s10, v26
	v_add_co_ci_u32_e32 v27, vcc_lo, s11, v27, vcc_lo
	global_load_b64 v[38:39], v[26:27], off
	v_add_nc_u32_e32 v5, 1, v30
	s_delay_alu instid0(VALU_DEP_1) | instskip(NEXT) | instid1(VALU_DEP_1)
	v_lshlrev_b64 v[28:29], 3, v[5:6]
	v_add_co_u32 v28, vcc_lo, s10, v28
	s_delay_alu instid0(VALU_DEP_2)
	v_add_co_ci_u32_e32 v29, vcc_lo, s11, v29, vcc_lo
	global_load_b64 v[40:41], v[28:29], off
	s_waitcnt vmcnt(1)
	v_fmac_f32_e32 v16, v18, v38
	v_fmac_f32_e32 v17, v20, v38
	;; [unrolled: 1-line block ×3, first 2 shown]
	s_delay_alu instid0(VALU_DEP_3) | instskip(SKIP_1) | instid1(VALU_DEP_4)
	v_fma_f32 v8, -v19, v39, v16
	v_add_nc_u32_e32 v5, -4, v3
	v_fma_f32 v16, -v21, v39, v17
	s_delay_alu instid0(VALU_DEP_4)
	v_fmac_f32_e32 v14, v20, v39
	s_waitcnt vmcnt(0)
	v_fmac_f32_e32 v8, v22, v40
	v_lshlrev_b64 v[31:32], 3, v[5:6]
	v_dual_fmac_f32 v16, v24, v40 :: v_dual_add_nc_u32 v5, 2, v30
	v_fmac_f32_e32 v14, v25, v40
	s_delay_alu instid0(VALU_DEP_4) | instskip(NEXT) | instid1(VALU_DEP_3)
	v_fma_f32 v8, -v23, v41, v8
	v_lshlrev_b64 v[26:27], 3, v[5:6]
	v_add_co_u32 v28, vcc_lo, s8, v31
	v_add_co_ci_u32_e32 v29, vcc_lo, s9, v32, vcc_lo
	v_add_nc_u32_e32 v5, -2, v3
	s_delay_alu instid0(VALU_DEP_4)
	v_add_co_u32 v36, vcc_lo, s10, v26
	v_add_co_ci_u32_e32 v37, vcc_lo, s11, v27, vcc_lo
	global_load_b128 v[26:29], v[28:29], off
	v_lshlrev_b64 v[31:32], 3, v[5:6]
	v_dual_fmac_f32 v14, v24, v41 :: v_dual_add_nc_u32 v5, 3, v30
	global_load_b64 v[44:45], v[36:37], off
	v_fma_f32 v16, -v25, v41, v16
	v_fmac_f32_e32 v13, v19, v38
	v_lshlrev_b64 v[42:43], 3, v[5:6]
	v_add_nc_u32_e32 v5, 4, v30
	v_add_co_u32 v30, vcc_lo, s8, v31
	v_add_co_ci_u32_e32 v31, vcc_lo, s9, v32, vcc_lo
	s_delay_alu instid0(VALU_DEP_4)
	v_add_co_u32 v36, vcc_lo, s10, v42
	v_add_co_ci_u32_e32 v37, vcc_lo, s11, v43, vcc_lo
	global_load_b128 v[30:33], v[30:31], off
	global_load_b64 v[42:43], v[36:37], off
	s_waitcnt vmcnt(2)
	v_dual_fmac_f32 v8, v26, v44 :: v_dual_add_nc_u32 v3, 40, v3
	v_lshlrev_b64 v[4:5], 3, v[5:6]
	v_fmac_f32_e32 v16, v28, v44
	v_dual_fmac_f32 v14, v29, v44 :: v_dual_fmac_f32 v13, v18, v39
	s_delay_alu instid0(VALU_DEP_4) | instskip(NEXT) | instid1(VALU_DEP_4)
	v_fma_f32 v8, -v27, v45, v8
	v_add_co_u32 v4, vcc_lo, s10, v4
	s_delay_alu instid0(VALU_DEP_3)
	v_fmac_f32_e32 v14, v28, v45
	v_add_co_ci_u32_e32 v5, vcc_lo, s11, v5, vcc_lo
	global_load_b128 v[34:37], v[34:35], off
	global_load_b64 v[4:5], v[4:5], off
	s_waitcnt vmcnt(2)
	v_dual_fmac_f32 v13, v23, v40 :: v_dual_fmac_f32 v8, v30, v42
	v_fma_f32 v16, -v29, v45, v16
	s_delay_alu instid0(VALU_DEP_2) | instskip(NEXT) | instid1(VALU_DEP_3)
	v_dual_fmac_f32 v14, v33, v42 :: v_dual_fmac_f32 v13, v22, v41
	v_fma_f32 v8, -v31, v43, v8
	s_delay_alu instid0(VALU_DEP_3) | instskip(NEXT) | instid1(VALU_DEP_3)
	v_fmac_f32_e32 v16, v32, v42
	v_fmac_f32_e32 v14, v32, v43
	v_add_nc_u32_e32 v7, 4, v7
	v_fmac_f32_e32 v13, v27, v44
	s_delay_alu instid0(VALU_DEP_4) | instskip(NEXT) | instid1(VALU_DEP_2)
	v_fma_f32 v17, -v33, v43, v16
	v_fmac_f32_e32 v13, v26, v45
	s_waitcnt vmcnt(0)
	s_delay_alu instid0(VALU_DEP_1) | instskip(NEXT) | instid1(VALU_DEP_1)
	v_dual_fmac_f32 v13, v31, v42 :: v_dual_fmac_f32 v8, v34, v4
	v_dual_fmac_f32 v14, v37, v4 :: v_dual_fmac_f32 v13, v30, v43
	v_fmac_f32_e32 v17, v36, v4
	v_cmp_ge_i32_e32 vcc_lo, v7, v15
	s_delay_alu instid0(VALU_DEP_4) | instskip(NEXT) | instid1(VALU_DEP_4)
	v_fma_f32 v16, -v35, v5, v8
	v_dual_fmac_f32 v14, v36, v5 :: v_dual_fmac_f32 v13, v35, v4
	s_delay_alu instid0(VALU_DEP_4) | instskip(SKIP_1) | instid1(VALU_DEP_2)
	v_fma_f32 v17, -v37, v5, v17
	s_or_b32 s5, vcc_lo, s5
	v_fmac_f32_e32 v13, v34, v5
	s_and_not1_b32 exec_lo, exec_lo, s5
	s_cbranch_execnz .LBB167_12
; %bb.13:
	s_or_b32 exec_lo, exec_lo, s5
.LBB167_14:
	s_delay_alu instid0(SALU_CYCLE_1) | instskip(NEXT) | instid1(SALU_CYCLE_1)
	s_or_b32 exec_lo, exec_lo, s4
	s_and_not1_b32 vcc_lo, exec_lo, s3
	s_cbranch_vccz .LBB167_19
	s_branch .LBB167_24
.LBB167_15:
	v_dual_mov_b32 v1, s4 :: v_dual_mov_b32 v2, s5
	flat_load_b32 v9, v[1:2]
	v_cndmask_b32_e64 v1, 0, 1, s6
	v_mov_b32_e32 v10, s5
	s_and_not1_b32 vcc_lo, exec_lo, s6
	s_cbranch_vccnz .LBB167_2
.LBB167_16:
	v_dual_mov_b32 v2, s4 :: v_dual_mov_b32 v3, s5
	flat_load_b32 v10, v[2:3] offset:4
	v_cmp_ne_u32_e32 vcc_lo, 1, v1
	v_mov_b32_e32 v11, s2
	s_cbranch_vccnz .LBB167_3
.LBB167_17:
	v_dual_mov_b32 v2, s2 :: v_dual_mov_b32 v3, s3
	flat_load_b32 v11, v[2:3]
	v_cmp_ne_u32_e32 vcc_lo, 1, v1
	v_mov_b32_e32 v12, s3
	s_cbranch_vccz .LBB167_4
	s_branch .LBB167_5
.LBB167_18:
                                        ; implicit-def: $vgpr13
                                        ; implicit-def: $vgpr16
                                        ; implicit-def: $vgpr17
                                        ; implicit-def: $vgpr14
.LBB167_19:
	v_dual_mov_b32 v13, 0 :: v_dual_mov_b32 v16, 0
	v_dual_mov_b32 v17, 0 :: v_dual_mov_b32 v14, 0
	s_delay_alu instid0(VALU_DEP_3)
	s_and_saveexec_b32 s3, s2
	s_cbranch_execz .LBB167_23
; %bb.20:
	v_mad_u64_u32 v[4:5], null, v2, 10, 9
	v_dual_mov_b32 v7, 0 :: v_dual_mov_b32 v16, 0
	v_dual_mov_b32 v13, 0 :: v_dual_mov_b32 v14, 0
	v_mov_b32_e32 v17, 0
	s_mov_b32 s2, 0
.LBB167_21:                             ; =>This Inner Loop Header: Depth=1
	v_ashrrev_i32_e32 v3, 31, v2
	v_dual_mov_b32 v19, v7 :: v_dual_add_nc_u32 v18, -4, v4
	v_mov_b32_e32 v23, v7
	s_delay_alu instid0(VALU_DEP_3) | instskip(SKIP_1) | instid1(VALU_DEP_4)
	v_lshlrev_b64 v[5:6], 2, v[2:3]
	v_add_nc_u32_e32 v2, 4, v2
	v_lshlrev_b64 v[18:19], 3, v[18:19]
	s_delay_alu instid0(VALU_DEP_3) | instskip(NEXT) | instid1(VALU_DEP_4)
	v_add_co_u32 v5, vcc_lo, s6, v5
	v_add_co_ci_u32_e32 v6, vcc_lo, s7, v6, vcc_lo
	global_load_b32 v3, v[5:6], off
	v_add_nc_u32_e32 v6, -9, v4
	s_delay_alu instid0(VALU_DEP_1) | instskip(NEXT) | instid1(VALU_DEP_1)
	v_lshlrev_b64 v[20:21], 3, v[6:7]
	v_add_co_u32 v20, vcc_lo, s8, v20
	s_delay_alu instid0(VALU_DEP_2) | instskip(SKIP_4) | instid1(VALU_DEP_1)
	v_add_co_ci_u32_e32 v21, vcc_lo, s9, v21, vcc_lo
	v_add_co_u32 v24, vcc_lo, s8, v18
	v_add_co_ci_u32_e32 v25, vcc_lo, s9, v19, vcc_lo
	s_waitcnt vmcnt(0)
	v_subrev_nc_u32_e32 v3, s12, v3
	v_lshl_add_u32 v22, v3, 2, v3
	v_mov_b32_e32 v5, v7
	s_delay_alu instid0(VALU_DEP_2) | instskip(NEXT) | instid1(VALU_DEP_2)
	v_lshlrev_b64 v[28:29], 3, v[22:23]
	v_lshlrev_b64 v[5:6], 3, v[4:5]
	s_delay_alu instid0(VALU_DEP_1) | instskip(NEXT) | instid1(VALU_DEP_2)
	v_add_co_u32 v5, vcc_lo, s8, v5
	v_add_co_ci_u32_e32 v6, vcc_lo, s9, v6, vcc_lo
	s_delay_alu instid0(VALU_DEP_4)
	v_add_co_u32 v28, vcc_lo, s10, v28
	v_add_co_ci_u32_e32 v29, vcc_lo, s11, v29, vcc_lo
	s_clause 0x2
	global_load_b128 v[18:21], v[20:21], off
	global_load_b64 v[24:25], v[24:25], off
	global_load_b64 v[26:27], v[5:6], off
	v_add_nc_u32_e32 v6, 1, v22
	global_load_b64 v[28:29], v[28:29], off
	v_lshlrev_b64 v[30:31], 3, v[6:7]
	s_delay_alu instid0(VALU_DEP_1) | instskip(NEXT) | instid1(VALU_DEP_2)
	v_add_co_u32 v30, vcc_lo, s10, v30
	v_add_co_ci_u32_e32 v31, vcc_lo, s11, v31, vcc_lo
	global_load_b64 v[30:31], v[30:31], off
	s_waitcnt vmcnt(1)
	v_fmac_f32_e32 v14, v25, v28
	v_fmac_f32_e32 v16, v18, v28
	;; [unrolled: 1-line block ×4, first 2 shown]
	s_delay_alu instid0(VALU_DEP_4) | instskip(NEXT) | instid1(VALU_DEP_3)
	v_fmac_f32_e32 v14, v24, v29
	v_dual_fmac_f32 v13, v18, v29 :: v_dual_add_nc_u32 v6, -3, v4
	v_fma_f32 v3, -v19, v29, v16
	s_delay_alu instid0(VALU_DEP_4) | instskip(NEXT) | instid1(VALU_DEP_3)
	v_fma_f32 v8, -v25, v29, v17
	v_lshlrev_b64 v[32:33], 3, v[6:7]
	s_waitcnt vmcnt(0)
	s_delay_alu instid0(VALU_DEP_3) | instskip(NEXT) | instid1(VALU_DEP_1)
	v_dual_fmac_f32 v3, v20, v30 :: v_dual_add_nc_u32 v6, -7, v4
	v_lshlrev_b64 v[34:35], 3, v[6:7]
	v_add_nc_u32_e32 v6, 2, v22
	s_delay_alu instid0(VALU_DEP_4) | instskip(SKIP_1) | instid1(VALU_DEP_3)
	v_add_co_u32 v32, vcc_lo, s8, v32
	v_add_co_ci_u32_e32 v33, vcc_lo, s9, v33, vcc_lo
	v_lshlrev_b64 v[36:37], 3, v[6:7]
	v_add_co_u32 v34, vcc_lo, s8, v34
	v_add_co_ci_u32_e32 v35, vcc_lo, s9, v35, vcc_lo
	global_load_b64 v[32:33], v[32:33], off
	v_add_co_u32 v36, vcc_lo, s10, v36
	global_load_b64 v[34:35], v[34:35], off
	v_add_co_ci_u32_e32 v37, vcc_lo, s11, v37, vcc_lo
	v_dual_fmac_f32 v13, v21, v30 :: v_dual_add_nc_u32 v6, -2, v4
	v_fma_f32 v3, -v21, v31, v3
	global_load_b64 v[36:37], v[36:37], off
	v_lshlrev_b64 v[38:39], 3, v[6:7]
	v_dual_fmac_f32 v13, v20, v31 :: v_dual_add_nc_u32 v6, -6, v4
	s_delay_alu instid0(VALU_DEP_1) | instskip(SKIP_1) | instid1(VALU_DEP_4)
	v_lshlrev_b64 v[40:41], 3, v[6:7]
	v_add_nc_u32_e32 v6, 3, v22
	v_add_co_u32 v38, vcc_lo, s8, v38
	v_add_co_ci_u32_e32 v39, vcc_lo, s9, v39, vcc_lo
	s_delay_alu instid0(VALU_DEP_4)
	v_add_co_u32 v40, vcc_lo, s8, v40
	v_add_co_ci_u32_e32 v41, vcc_lo, s9, v41, vcc_lo
	s_clause 0x1
	global_load_b64 v[38:39], v[38:39], off
	global_load_b64 v[40:41], v[40:41], off
	s_waitcnt vmcnt(4)
	v_fmac_f32_e32 v8, v32, v30
	s_waitcnt vmcnt(2)
	v_dual_fmac_f32 v14, v33, v30 :: v_dual_fmac_f32 v13, v35, v36
	v_fmac_f32_e32 v3, v34, v36
	v_lshlrev_b64 v[42:43], 3, v[6:7]
	v_add_nc_u32_e32 v6, -1, v4
	v_fma_f32 v8, -v33, v31, v8
	v_fmac_f32_e32 v13, v34, v37
	v_fma_f32 v3, -v35, v37, v3
	v_add_co_u32 v42, vcc_lo, s10, v42
	v_add_co_ci_u32_e32 v43, vcc_lo, s11, v43, vcc_lo
	v_lshlrev_b64 v[44:45], 3, v[6:7]
	global_load_b64 v[42:43], v[42:43], off
	v_add_nc_u32_e32 v6, -5, v4
	s_waitcnt vmcnt(0)
	v_dual_fmac_f32 v3, v40, v42 :: v_dual_add_nc_u32 v4, 40, v4
	s_delay_alu instid0(VALU_DEP_2) | instskip(SKIP_4) | instid1(VALU_DEP_4)
	v_lshlrev_b64 v[46:47], 3, v[6:7]
	v_fmac_f32_e32 v13, v41, v42
	v_add_nc_u32_e32 v6, 4, v22
	v_add_co_u32 v22, vcc_lo, s8, v44
	v_add_co_ci_u32_e32 v23, vcc_lo, s9, v45, vcc_lo
	v_fmac_f32_e32 v13, v40, v43
	s_delay_alu instid0(VALU_DEP_4)
	v_lshlrev_b64 v[5:6], 3, v[6:7]
	v_add_co_u32 v44, vcc_lo, s8, v46
	v_add_co_ci_u32_e32 v45, vcc_lo, s9, v47, vcc_lo
	global_load_b64 v[22:23], v[22:23], off
	v_add_co_u32 v5, vcc_lo, s10, v5
	v_add_co_ci_u32_e32 v6, vcc_lo, s11, v6, vcc_lo
	global_load_b64 v[44:45], v[44:45], off
	global_load_b64 v[5:6], v[5:6], off
	v_fmac_f32_e32 v14, v32, v31
	v_fma_f32 v3, -v41, v43, v3
	v_cmp_ge_i32_e32 vcc_lo, v2, v15
	s_or_b32 s2, vcc_lo, s2
	s_waitcnt vmcnt(0)
	v_dual_fmac_f32 v13, v45, v5 :: v_dual_fmac_f32 v8, v38, v36
	v_dual_fmac_f32 v14, v39, v36 :: v_dual_fmac_f32 v3, v44, v5
	s_delay_alu instid0(VALU_DEP_2) | instskip(NEXT) | instid1(VALU_DEP_3)
	v_fmac_f32_e32 v13, v44, v6
	v_fma_f32 v8, -v39, v37, v8
	s_delay_alu instid0(VALU_DEP_3) | instskip(NEXT) | instid1(VALU_DEP_4)
	v_fmac_f32_e32 v14, v38, v37
	v_fma_f32 v16, -v45, v6, v3
	s_delay_alu instid0(VALU_DEP_3) | instskip(NEXT) | instid1(VALU_DEP_3)
	v_fmac_f32_e32 v8, v22, v42
	v_fmac_f32_e32 v14, v23, v42
	s_delay_alu instid0(VALU_DEP_2) | instskip(NEXT) | instid1(VALU_DEP_2)
	v_fma_f32 v8, -v23, v43, v8
	v_fmac_f32_e32 v14, v22, v43
	s_delay_alu instid0(VALU_DEP_2) | instskip(NEXT) | instid1(VALU_DEP_2)
	v_fmac_f32_e32 v8, v26, v5
	v_fmac_f32_e32 v14, v27, v5
	s_delay_alu instid0(VALU_DEP_2) | instskip(NEXT) | instid1(VALU_DEP_2)
	v_fma_f32 v17, -v27, v6, v8
	v_fmac_f32_e32 v14, v26, v6
	s_and_not1_b32 exec_lo, exec_lo, s2
	s_cbranch_execnz .LBB167_21
; %bb.22:
	s_or_b32 exec_lo, exec_lo, s2
.LBB167_23:
	s_delay_alu instid0(SALU_CYCLE_1)
	s_or_b32 exec_lo, exec_lo, s3
.LBB167_24:
	v_mbcnt_lo_u32_b32 v2, -1, 0
	s_delay_alu instid0(VALU_DEP_1) | instskip(SKIP_1) | instid1(VALU_DEP_2)
	v_xor_b32_e32 v3, 2, v2
	v_xor_b32_e32 v7, 1, v2
	v_cmp_gt_i32_e32 vcc_lo, 32, v3
	v_cndmask_b32_e32 v3, v2, v3, vcc_lo
	s_delay_alu instid0(VALU_DEP_3) | instskip(NEXT) | instid1(VALU_DEP_2)
	v_cmp_gt_i32_e32 vcc_lo, 32, v7
	v_lshlrev_b32_e32 v3, 2, v3
	v_cndmask_b32_e32 v2, v2, v7, vcc_lo
	v_cmp_eq_u32_e32 vcc_lo, 3, v0
	ds_bpermute_b32 v6, v3, v17
	v_lshlrev_b32_e32 v7, 2, v2
	s_waitcnt lgkmcnt(0)
	v_add_f32_e32 v2, v17, v6
	ds_bpermute_b32 v4, v3, v16
	ds_bpermute_b32 v5, v3, v13
	;; [unrolled: 1-line block ×4, first 2 shown]
	s_waitcnt lgkmcnt(2)
	v_dual_add_f32 v4, v16, v4 :: v_dual_add_f32 v5, v13, v5
	s_waitcnt lgkmcnt(1)
	v_add_f32_e32 v3, v14, v3
	ds_bpermute_b32 v8, v7, v4
	ds_bpermute_b32 v13, v7, v5
	;; [unrolled: 1-line block ×3, first 2 shown]
	s_and_b32 exec_lo, exec_lo, vcc_lo
	s_cbranch_execz .LBB167_29
; %bb.25:
	s_load_b64 s[2:3], s[0:1], 0x38
	v_cmp_eq_f32_e32 vcc_lo, 0, v11
	v_cmp_eq_f32_e64 s0, 0, v12
	s_waitcnt lgkmcnt(0)
	v_dual_add_f32 v0, v4, v8 :: v_dual_add_f32 v3, v3, v7
	v_add_f32_e32 v4, v5, v13
	v_add_f32_e32 v2, v2, v6
	s_and_b32 s0, vcc_lo, s0
	s_delay_alu instid0(SALU_CYCLE_1) | instskip(NEXT) | instid1(SALU_CYCLE_1)
	s_and_saveexec_b32 s1, s0
	s_xor_b32 s0, exec_lo, s1
	s_cbranch_execz .LBB167_27
; %bb.26:
	v_mul_f32_e64 v5, v4, -v10
	v_mul_f32_e32 v6, v4, v9
	v_mul_f32_e64 v7, v3, -v10
	v_mul_f32_e32 v8, v3, v9
                                        ; implicit-def: $vgpr4
                                        ; implicit-def: $vgpr3
	s_delay_alu instid0(VALU_DEP_4) | instskip(NEXT) | instid1(VALU_DEP_4)
	v_fmac_f32_e32 v5, v9, v0
	v_dual_fmac_f32 v6, v10, v0 :: v_dual_lshlrev_b32 v11, 1, v1
	s_delay_alu instid0(VALU_DEP_4) | instskip(NEXT) | instid1(VALU_DEP_4)
	v_fmac_f32_e32 v7, v9, v2
	v_fmac_f32_e32 v8, v10, v2
                                        ; implicit-def: $vgpr9
                                        ; implicit-def: $vgpr10
                                        ; implicit-def: $vgpr2
	s_delay_alu instid0(VALU_DEP_3) | instskip(NEXT) | instid1(VALU_DEP_1)
	v_ashrrev_i32_e32 v12, 31, v11
	v_lshlrev_b64 v[11:12], 3, v[11:12]
	s_delay_alu instid0(VALU_DEP_1) | instskip(NEXT) | instid1(VALU_DEP_2)
	v_add_co_u32 v0, vcc_lo, s2, v11
	v_add_co_ci_u32_e32 v1, vcc_lo, s3, v12, vcc_lo
                                        ; implicit-def: $vgpr11
                                        ; implicit-def: $vgpr12
	global_store_b128 v[0:1], v[5:8], off
                                        ; implicit-def: $vgpr1
                                        ; implicit-def: $vgpr0
.LBB167_27:
	s_and_not1_saveexec_b32 s0, s0
	s_cbranch_execz .LBB167_29
; %bb.28:
	v_lshlrev_b32_e32 v5, 1, v1
	v_mul_f32_e64 v15, v4, -v10
	v_mul_f32_e32 v1, v4, v9
	v_mul_f32_e64 v4, v3, -v10
	v_mul_f32_e32 v3, v3, v9
	s_delay_alu instid0(VALU_DEP_4) | instskip(NEXT) | instid1(VALU_DEP_3)
	v_fmac_f32_e32 v15, v9, v0
	v_fmac_f32_e32 v4, v9, v2
	v_ashrrev_i32_e32 v6, 31, v5
	s_delay_alu instid0(VALU_DEP_4) | instskip(NEXT) | instid1(VALU_DEP_2)
	v_fmac_f32_e32 v3, v10, v2
	v_lshlrev_b64 v[5:6], 3, v[5:6]
	s_delay_alu instid0(VALU_DEP_1) | instskip(NEXT) | instid1(VALU_DEP_2)
	v_add_co_u32 v13, vcc_lo, s2, v5
	v_add_co_ci_u32_e32 v14, vcc_lo, s3, v6, vcc_lo
	global_load_b128 v[5:8], v[13:14], off
	s_waitcnt vmcnt(0)
	v_dual_fmac_f32 v4, v11, v7 :: v_dual_fmac_f32 v1, v10, v0
	v_fmac_f32_e32 v15, v11, v5
	v_fmac_f32_e32 v3, v12, v7
	s_delay_alu instid0(VALU_DEP_3) | instskip(NEXT) | instid1(VALU_DEP_4)
	v_fma_f32 v2, -v12, v8, v4
	v_fmac_f32_e32 v1, v12, v5
	s_delay_alu instid0(VALU_DEP_4) | instskip(NEXT) | instid1(VALU_DEP_4)
	v_fma_f32 v0, -v12, v6, v15
	v_fmac_f32_e32 v3, v11, v8
	s_delay_alu instid0(VALU_DEP_3)
	v_fmac_f32_e32 v1, v11, v6
	global_store_b128 v[13:14], v[0:3], off
.LBB167_29:
	s_nop 0
	s_sendmsg sendmsg(MSG_DEALLOC_VGPRS)
	s_endpgm
	.section	.rodata,"a",@progbits
	.p2align	6, 0x0
	.amdhsa_kernel _ZN9rocsparseL19gebsrmvn_2xn_kernelILj128ELj5ELj4E21rocsparse_complex_numIfEEEvi20rocsparse_direction_NS_24const_host_device_scalarIT2_EEPKiS8_PKS5_SA_S6_PS5_21rocsparse_index_base_b
		.amdhsa_group_segment_fixed_size 0
		.amdhsa_private_segment_fixed_size 0
		.amdhsa_kernarg_size 72
		.amdhsa_user_sgpr_count 15
		.amdhsa_user_sgpr_dispatch_ptr 0
		.amdhsa_user_sgpr_queue_ptr 0
		.amdhsa_user_sgpr_kernarg_segment_ptr 1
		.amdhsa_user_sgpr_dispatch_id 0
		.amdhsa_user_sgpr_private_segment_size 0
		.amdhsa_wavefront_size32 1
		.amdhsa_uses_dynamic_stack 0
		.amdhsa_enable_private_segment 0
		.amdhsa_system_sgpr_workgroup_id_x 1
		.amdhsa_system_sgpr_workgroup_id_y 0
		.amdhsa_system_sgpr_workgroup_id_z 0
		.amdhsa_system_sgpr_workgroup_info 0
		.amdhsa_system_vgpr_workitem_id 0
		.amdhsa_next_free_vgpr 48
		.amdhsa_next_free_sgpr 16
		.amdhsa_reserve_vcc 1
		.amdhsa_float_round_mode_32 0
		.amdhsa_float_round_mode_16_64 0
		.amdhsa_float_denorm_mode_32 3
		.amdhsa_float_denorm_mode_16_64 3
		.amdhsa_dx10_clamp 1
		.amdhsa_ieee_mode 1
		.amdhsa_fp16_overflow 0
		.amdhsa_workgroup_processor_mode 1
		.amdhsa_memory_ordered 1
		.amdhsa_forward_progress 0
		.amdhsa_shared_vgpr_count 0
		.amdhsa_exception_fp_ieee_invalid_op 0
		.amdhsa_exception_fp_denorm_src 0
		.amdhsa_exception_fp_ieee_div_zero 0
		.amdhsa_exception_fp_ieee_overflow 0
		.amdhsa_exception_fp_ieee_underflow 0
		.amdhsa_exception_fp_ieee_inexact 0
		.amdhsa_exception_int_div_zero 0
	.end_amdhsa_kernel
	.section	.text._ZN9rocsparseL19gebsrmvn_2xn_kernelILj128ELj5ELj4E21rocsparse_complex_numIfEEEvi20rocsparse_direction_NS_24const_host_device_scalarIT2_EEPKiS8_PKS5_SA_S6_PS5_21rocsparse_index_base_b,"axG",@progbits,_ZN9rocsparseL19gebsrmvn_2xn_kernelILj128ELj5ELj4E21rocsparse_complex_numIfEEEvi20rocsparse_direction_NS_24const_host_device_scalarIT2_EEPKiS8_PKS5_SA_S6_PS5_21rocsparse_index_base_b,comdat
.Lfunc_end167:
	.size	_ZN9rocsparseL19gebsrmvn_2xn_kernelILj128ELj5ELj4E21rocsparse_complex_numIfEEEvi20rocsparse_direction_NS_24const_host_device_scalarIT2_EEPKiS8_PKS5_SA_S6_PS5_21rocsparse_index_base_b, .Lfunc_end167-_ZN9rocsparseL19gebsrmvn_2xn_kernelILj128ELj5ELj4E21rocsparse_complex_numIfEEEvi20rocsparse_direction_NS_24const_host_device_scalarIT2_EEPKiS8_PKS5_SA_S6_PS5_21rocsparse_index_base_b
                                        ; -- End function
	.section	.AMDGPU.csdata,"",@progbits
; Kernel info:
; codeLenInByte = 2604
; NumSgprs: 18
; NumVgprs: 48
; ScratchSize: 0
; MemoryBound: 0
; FloatMode: 240
; IeeeMode: 1
; LDSByteSize: 0 bytes/workgroup (compile time only)
; SGPRBlocks: 2
; VGPRBlocks: 5
; NumSGPRsForWavesPerEU: 18
; NumVGPRsForWavesPerEU: 48
; Occupancy: 16
; WaveLimiterHint : 1
; COMPUTE_PGM_RSRC2:SCRATCH_EN: 0
; COMPUTE_PGM_RSRC2:USER_SGPR: 15
; COMPUTE_PGM_RSRC2:TRAP_HANDLER: 0
; COMPUTE_PGM_RSRC2:TGID_X_EN: 1
; COMPUTE_PGM_RSRC2:TGID_Y_EN: 0
; COMPUTE_PGM_RSRC2:TGID_Z_EN: 0
; COMPUTE_PGM_RSRC2:TIDIG_COMP_CNT: 0
	.section	.text._ZN9rocsparseL19gebsrmvn_2xn_kernelILj128ELj5ELj8E21rocsparse_complex_numIfEEEvi20rocsparse_direction_NS_24const_host_device_scalarIT2_EEPKiS8_PKS5_SA_S6_PS5_21rocsparse_index_base_b,"axG",@progbits,_ZN9rocsparseL19gebsrmvn_2xn_kernelILj128ELj5ELj8E21rocsparse_complex_numIfEEEvi20rocsparse_direction_NS_24const_host_device_scalarIT2_EEPKiS8_PKS5_SA_S6_PS5_21rocsparse_index_base_b,comdat
	.globl	_ZN9rocsparseL19gebsrmvn_2xn_kernelILj128ELj5ELj8E21rocsparse_complex_numIfEEEvi20rocsparse_direction_NS_24const_host_device_scalarIT2_EEPKiS8_PKS5_SA_S6_PS5_21rocsparse_index_base_b ; -- Begin function _ZN9rocsparseL19gebsrmvn_2xn_kernelILj128ELj5ELj8E21rocsparse_complex_numIfEEEvi20rocsparse_direction_NS_24const_host_device_scalarIT2_EEPKiS8_PKS5_SA_S6_PS5_21rocsparse_index_base_b
	.p2align	8
	.type	_ZN9rocsparseL19gebsrmvn_2xn_kernelILj128ELj5ELj8E21rocsparse_complex_numIfEEEvi20rocsparse_direction_NS_24const_host_device_scalarIT2_EEPKiS8_PKS5_SA_S6_PS5_21rocsparse_index_base_b,@function
_ZN9rocsparseL19gebsrmvn_2xn_kernelILj128ELj5ELj8E21rocsparse_complex_numIfEEEvi20rocsparse_direction_NS_24const_host_device_scalarIT2_EEPKiS8_PKS5_SA_S6_PS5_21rocsparse_index_base_b: ; @_ZN9rocsparseL19gebsrmvn_2xn_kernelILj128ELj5ELj8E21rocsparse_complex_numIfEEEvi20rocsparse_direction_NS_24const_host_device_scalarIT2_EEPKiS8_PKS5_SA_S6_PS5_21rocsparse_index_base_b
; %bb.0:
	s_clause 0x2
	s_load_b64 s[12:13], s[0:1], 0x40
	s_load_b64 s[4:5], s[0:1], 0x8
	;; [unrolled: 1-line block ×3, first 2 shown]
	s_waitcnt lgkmcnt(0)
	s_bitcmp1_b32 s13, 0
	v_mov_b32_e32 v9, s4
	s_cselect_b32 s6, -1, 0
	s_delay_alu instid0(SALU_CYCLE_1)
	s_and_b32 vcc_lo, exec_lo, s6
	s_xor_b32 s6, s6, -1
	s_cbranch_vccz .LBB168_15
; %bb.1:
	v_cndmask_b32_e64 v1, 0, 1, s6
	v_mov_b32_e32 v10, s5
	s_and_not1_b32 vcc_lo, exec_lo, s6
	s_cbranch_vccz .LBB168_16
.LBB168_2:
	s_delay_alu instid0(VALU_DEP_2)
	v_cmp_ne_u32_e32 vcc_lo, 1, v1
	v_mov_b32_e32 v11, s2
	s_cbranch_vccz .LBB168_17
.LBB168_3:
	v_cmp_ne_u32_e32 vcc_lo, 1, v1
	v_mov_b32_e32 v12, s3
	s_cbranch_vccnz .LBB168_5
.LBB168_4:
	v_dual_mov_b32 v1, s2 :: v_dual_mov_b32 v2, s3
	flat_load_b32 v12, v[1:2] offset:4
.LBB168_5:
	s_waitcnt vmcnt(0) lgkmcnt(0)
	v_cmp_eq_f32_e32 vcc_lo, 0, v9
	v_cmp_eq_f32_e64 s2, 0, v10
	s_delay_alu instid0(VALU_DEP_1)
	s_and_b32 s4, vcc_lo, s2
	s_mov_b32 s2, -1
	s_and_saveexec_b32 s3, s4
; %bb.6:
	v_cmp_neq_f32_e32 vcc_lo, 1.0, v11
	v_cmp_neq_f32_e64 s2, 0, v12
	s_delay_alu instid0(VALU_DEP_1) | instskip(NEXT) | instid1(SALU_CYCLE_1)
	s_or_b32 s2, vcc_lo, s2
	s_or_not1_b32 s2, s2, exec_lo
; %bb.7:
	s_or_b32 exec_lo, exec_lo, s3
	s_and_saveexec_b32 s3, s2
	s_cbranch_execz .LBB168_29
; %bb.8:
	s_load_b64 s[2:3], s[0:1], 0x0
	v_lshrrev_b32_e32 v1, 3, v0
	s_delay_alu instid0(VALU_DEP_1) | instskip(SKIP_1) | instid1(VALU_DEP_1)
	v_lshl_or_b32 v1, s15, 4, v1
	s_waitcnt lgkmcnt(0)
	v_cmp_gt_i32_e32 vcc_lo, s2, v1
	s_and_b32 exec_lo, exec_lo, vcc_lo
	s_cbranch_execz .LBB168_29
; %bb.9:
	s_load_b256 s[4:11], s[0:1], 0x10
	v_ashrrev_i32_e32 v2, 31, v1
	v_and_b32_e32 v0, 7, v0
	s_cmp_lg_u32 s3, 0
	s_delay_alu instid0(VALU_DEP_2) | instskip(SKIP_1) | instid1(VALU_DEP_1)
	v_lshlrev_b64 v[2:3], 2, v[1:2]
	s_waitcnt lgkmcnt(0)
	v_add_co_u32 v2, vcc_lo, s4, v2
	s_delay_alu instid0(VALU_DEP_2) | instskip(SKIP_4) | instid1(VALU_DEP_2)
	v_add_co_ci_u32_e32 v3, vcc_lo, s5, v3, vcc_lo
	global_load_b64 v[2:3], v[2:3], off
	s_waitcnt vmcnt(0)
	v_subrev_nc_u32_e32 v2, s12, v2
	v_subrev_nc_u32_e32 v15, s12, v3
	v_add_nc_u32_e32 v2, v2, v0
	s_delay_alu instid0(VALU_DEP_1)
	v_cmp_lt_i32_e64 s2, v2, v15
	s_cbranch_scc0 .LBB168_18
; %bb.10:
	v_dual_mov_b32 v13, 0 :: v_dual_mov_b32 v16, 0
	v_dual_mov_b32 v17, 0 :: v_dual_mov_b32 v14, 0
	s_mov_b32 s3, 0
	s_and_saveexec_b32 s4, s2
	s_cbranch_execz .LBB168_14
; %bb.11:
	v_mad_u64_u32 v[3:4], null, v2, 10, 8
	v_dual_mov_b32 v6, 0 :: v_dual_mov_b32 v7, v2
	v_dual_mov_b32 v13, 0 :: v_dual_mov_b32 v16, 0
	;; [unrolled: 1-line block ×3, first 2 shown]
	s_mov_b32 s5, 0
.LBB168_12:                             ; =>This Inner Loop Header: Depth=1
	s_delay_alu instid0(VALU_DEP_3) | instskip(NEXT) | instid1(VALU_DEP_1)
	v_ashrrev_i32_e32 v8, 31, v7
	v_lshlrev_b64 v[4:5], 2, v[7:8]
	s_delay_alu instid0(VALU_DEP_1) | instskip(NEXT) | instid1(VALU_DEP_2)
	v_add_co_u32 v4, vcc_lo, s6, v4
	v_add_co_ci_u32_e32 v5, vcc_lo, s7, v5, vcc_lo
	global_load_b32 v8, v[4:5], off
	v_dual_mov_b32 v4, v6 :: v_dual_add_nc_u32 v5, -8, v3
	s_delay_alu instid0(VALU_DEP_1) | instskip(SKIP_1) | instid1(VALU_DEP_3)
	v_lshlrev_b64 v[18:19], 3, v[5:6]
	v_add_nc_u32_e32 v5, -6, v3
	v_lshlrev_b64 v[20:21], 3, v[3:4]
	s_delay_alu instid0(VALU_DEP_2) | instskip(NEXT) | instid1(VALU_DEP_4)
	v_lshlrev_b64 v[4:5], 3, v[5:6]
	v_add_co_u32 v18, vcc_lo, s8, v18
	v_add_co_ci_u32_e32 v19, vcc_lo, s9, v19, vcc_lo
	s_delay_alu instid0(VALU_DEP_4)
	v_add_co_u32 v34, vcc_lo, s8, v20
	v_add_co_ci_u32_e32 v35, vcc_lo, s9, v21, vcc_lo
	v_add_co_u32 v4, vcc_lo, s8, v4
	v_add_co_ci_u32_e32 v5, vcc_lo, s9, v5, vcc_lo
	s_clause 0x1
	global_load_b128 v[18:21], v[18:19], off
	global_load_b128 v[22:25], v[4:5], off
	v_mov_b32_e32 v31, v6
	s_waitcnt vmcnt(2)
	v_subrev_nc_u32_e32 v4, s12, v8
	s_delay_alu instid0(VALU_DEP_1) | instskip(NEXT) | instid1(VALU_DEP_1)
	v_lshl_add_u32 v30, v4, 2, v4
	v_lshlrev_b64 v[26:27], 3, v[30:31]
	s_delay_alu instid0(VALU_DEP_1) | instskip(NEXT) | instid1(VALU_DEP_2)
	v_add_co_u32 v26, vcc_lo, s10, v26
	v_add_co_ci_u32_e32 v27, vcc_lo, s11, v27, vcc_lo
	global_load_b64 v[38:39], v[26:27], off
	v_add_nc_u32_e32 v5, 1, v30
	s_delay_alu instid0(VALU_DEP_1) | instskip(NEXT) | instid1(VALU_DEP_1)
	v_lshlrev_b64 v[28:29], 3, v[5:6]
	v_add_co_u32 v28, vcc_lo, s10, v28
	s_delay_alu instid0(VALU_DEP_2)
	v_add_co_ci_u32_e32 v29, vcc_lo, s11, v29, vcc_lo
	global_load_b64 v[40:41], v[28:29], off
	s_waitcnt vmcnt(1)
	v_fmac_f32_e32 v16, v18, v38
	v_fmac_f32_e32 v17, v20, v38
	;; [unrolled: 1-line block ×3, first 2 shown]
	s_delay_alu instid0(VALU_DEP_3) | instskip(SKIP_1) | instid1(VALU_DEP_4)
	v_fma_f32 v8, -v19, v39, v16
	v_add_nc_u32_e32 v5, -4, v3
	v_fma_f32 v16, -v21, v39, v17
	s_delay_alu instid0(VALU_DEP_4)
	v_fmac_f32_e32 v14, v20, v39
	s_waitcnt vmcnt(0)
	v_fmac_f32_e32 v8, v22, v40
	v_lshlrev_b64 v[31:32], 3, v[5:6]
	v_dual_fmac_f32 v16, v24, v40 :: v_dual_add_nc_u32 v5, 2, v30
	v_fmac_f32_e32 v14, v25, v40
	s_delay_alu instid0(VALU_DEP_4) | instskip(NEXT) | instid1(VALU_DEP_3)
	v_fma_f32 v8, -v23, v41, v8
	v_lshlrev_b64 v[26:27], 3, v[5:6]
	v_add_co_u32 v28, vcc_lo, s8, v31
	v_add_co_ci_u32_e32 v29, vcc_lo, s9, v32, vcc_lo
	v_add_nc_u32_e32 v5, -2, v3
	s_delay_alu instid0(VALU_DEP_4)
	v_add_co_u32 v36, vcc_lo, s10, v26
	v_add_co_ci_u32_e32 v37, vcc_lo, s11, v27, vcc_lo
	global_load_b128 v[26:29], v[28:29], off
	v_lshlrev_b64 v[31:32], 3, v[5:6]
	v_dual_fmac_f32 v14, v24, v41 :: v_dual_add_nc_u32 v5, 3, v30
	global_load_b64 v[44:45], v[36:37], off
	v_fma_f32 v16, -v25, v41, v16
	v_fmac_f32_e32 v13, v19, v38
	v_lshlrev_b64 v[42:43], 3, v[5:6]
	v_add_nc_u32_e32 v5, 4, v30
	v_add_co_u32 v30, vcc_lo, s8, v31
	v_add_co_ci_u32_e32 v31, vcc_lo, s9, v32, vcc_lo
	s_delay_alu instid0(VALU_DEP_4)
	v_add_co_u32 v36, vcc_lo, s10, v42
	v_add_co_ci_u32_e32 v37, vcc_lo, s11, v43, vcc_lo
	global_load_b128 v[30:33], v[30:31], off
	global_load_b64 v[42:43], v[36:37], off
	s_waitcnt vmcnt(2)
	v_dual_fmac_f32 v8, v26, v44 :: v_dual_add_nc_u32 v3, 0x50, v3
	v_lshlrev_b64 v[4:5], 3, v[5:6]
	v_fmac_f32_e32 v16, v28, v44
	v_dual_fmac_f32 v14, v29, v44 :: v_dual_fmac_f32 v13, v18, v39
	s_delay_alu instid0(VALU_DEP_4) | instskip(NEXT) | instid1(VALU_DEP_4)
	v_fma_f32 v8, -v27, v45, v8
	v_add_co_u32 v4, vcc_lo, s10, v4
	s_delay_alu instid0(VALU_DEP_3)
	v_fmac_f32_e32 v14, v28, v45
	v_add_co_ci_u32_e32 v5, vcc_lo, s11, v5, vcc_lo
	global_load_b128 v[34:37], v[34:35], off
	global_load_b64 v[4:5], v[4:5], off
	s_waitcnt vmcnt(2)
	v_dual_fmac_f32 v13, v23, v40 :: v_dual_fmac_f32 v8, v30, v42
	v_fma_f32 v16, -v29, v45, v16
	s_delay_alu instid0(VALU_DEP_2) | instskip(NEXT) | instid1(VALU_DEP_3)
	v_dual_fmac_f32 v14, v33, v42 :: v_dual_fmac_f32 v13, v22, v41
	v_fma_f32 v8, -v31, v43, v8
	s_delay_alu instid0(VALU_DEP_3) | instskip(NEXT) | instid1(VALU_DEP_3)
	v_fmac_f32_e32 v16, v32, v42
	v_fmac_f32_e32 v14, v32, v43
	v_add_nc_u32_e32 v7, 8, v7
	v_fmac_f32_e32 v13, v27, v44
	s_delay_alu instid0(VALU_DEP_4) | instskip(NEXT) | instid1(VALU_DEP_2)
	v_fma_f32 v17, -v33, v43, v16
	v_fmac_f32_e32 v13, v26, v45
	s_waitcnt vmcnt(0)
	s_delay_alu instid0(VALU_DEP_1) | instskip(NEXT) | instid1(VALU_DEP_1)
	v_dual_fmac_f32 v13, v31, v42 :: v_dual_fmac_f32 v8, v34, v4
	v_dual_fmac_f32 v14, v37, v4 :: v_dual_fmac_f32 v13, v30, v43
	v_fmac_f32_e32 v17, v36, v4
	v_cmp_ge_i32_e32 vcc_lo, v7, v15
	s_delay_alu instid0(VALU_DEP_4) | instskip(NEXT) | instid1(VALU_DEP_4)
	v_fma_f32 v16, -v35, v5, v8
	v_dual_fmac_f32 v14, v36, v5 :: v_dual_fmac_f32 v13, v35, v4
	s_delay_alu instid0(VALU_DEP_4) | instskip(SKIP_1) | instid1(VALU_DEP_2)
	v_fma_f32 v17, -v37, v5, v17
	s_or_b32 s5, vcc_lo, s5
	v_fmac_f32_e32 v13, v34, v5
	s_and_not1_b32 exec_lo, exec_lo, s5
	s_cbranch_execnz .LBB168_12
; %bb.13:
	s_or_b32 exec_lo, exec_lo, s5
.LBB168_14:
	s_delay_alu instid0(SALU_CYCLE_1) | instskip(NEXT) | instid1(SALU_CYCLE_1)
	s_or_b32 exec_lo, exec_lo, s4
	s_and_not1_b32 vcc_lo, exec_lo, s3
	s_cbranch_vccz .LBB168_19
	s_branch .LBB168_24
.LBB168_15:
	v_dual_mov_b32 v1, s4 :: v_dual_mov_b32 v2, s5
	flat_load_b32 v9, v[1:2]
	v_cndmask_b32_e64 v1, 0, 1, s6
	v_mov_b32_e32 v10, s5
	s_and_not1_b32 vcc_lo, exec_lo, s6
	s_cbranch_vccnz .LBB168_2
.LBB168_16:
	v_dual_mov_b32 v2, s4 :: v_dual_mov_b32 v3, s5
	flat_load_b32 v10, v[2:3] offset:4
	v_cmp_ne_u32_e32 vcc_lo, 1, v1
	v_mov_b32_e32 v11, s2
	s_cbranch_vccnz .LBB168_3
.LBB168_17:
	v_dual_mov_b32 v2, s2 :: v_dual_mov_b32 v3, s3
	flat_load_b32 v11, v[2:3]
	v_cmp_ne_u32_e32 vcc_lo, 1, v1
	v_mov_b32_e32 v12, s3
	s_cbranch_vccz .LBB168_4
	s_branch .LBB168_5
.LBB168_18:
                                        ; implicit-def: $vgpr13
                                        ; implicit-def: $vgpr16
                                        ; implicit-def: $vgpr17
                                        ; implicit-def: $vgpr14
.LBB168_19:
	v_dual_mov_b32 v13, 0 :: v_dual_mov_b32 v16, 0
	v_dual_mov_b32 v17, 0 :: v_dual_mov_b32 v14, 0
	s_delay_alu instid0(VALU_DEP_3)
	s_and_saveexec_b32 s3, s2
	s_cbranch_execz .LBB168_23
; %bb.20:
	v_mad_u64_u32 v[4:5], null, v2, 10, 9
	v_dual_mov_b32 v7, 0 :: v_dual_mov_b32 v16, 0
	v_dual_mov_b32 v13, 0 :: v_dual_mov_b32 v14, 0
	v_mov_b32_e32 v17, 0
	s_mov_b32 s2, 0
.LBB168_21:                             ; =>This Inner Loop Header: Depth=1
	v_ashrrev_i32_e32 v3, 31, v2
	v_dual_mov_b32 v19, v7 :: v_dual_add_nc_u32 v18, -4, v4
	v_mov_b32_e32 v23, v7
	s_delay_alu instid0(VALU_DEP_3) | instskip(SKIP_1) | instid1(VALU_DEP_4)
	v_lshlrev_b64 v[5:6], 2, v[2:3]
	v_add_nc_u32_e32 v2, 8, v2
	v_lshlrev_b64 v[18:19], 3, v[18:19]
	s_delay_alu instid0(VALU_DEP_3) | instskip(NEXT) | instid1(VALU_DEP_4)
	v_add_co_u32 v5, vcc_lo, s6, v5
	v_add_co_ci_u32_e32 v6, vcc_lo, s7, v6, vcc_lo
	global_load_b32 v3, v[5:6], off
	v_add_nc_u32_e32 v6, -9, v4
	s_delay_alu instid0(VALU_DEP_1) | instskip(NEXT) | instid1(VALU_DEP_1)
	v_lshlrev_b64 v[20:21], 3, v[6:7]
	v_add_co_u32 v20, vcc_lo, s8, v20
	s_delay_alu instid0(VALU_DEP_2) | instskip(SKIP_4) | instid1(VALU_DEP_1)
	v_add_co_ci_u32_e32 v21, vcc_lo, s9, v21, vcc_lo
	v_add_co_u32 v24, vcc_lo, s8, v18
	v_add_co_ci_u32_e32 v25, vcc_lo, s9, v19, vcc_lo
	s_waitcnt vmcnt(0)
	v_subrev_nc_u32_e32 v3, s12, v3
	v_lshl_add_u32 v22, v3, 2, v3
	v_mov_b32_e32 v5, v7
	s_delay_alu instid0(VALU_DEP_2) | instskip(NEXT) | instid1(VALU_DEP_2)
	v_lshlrev_b64 v[28:29], 3, v[22:23]
	v_lshlrev_b64 v[5:6], 3, v[4:5]
	s_delay_alu instid0(VALU_DEP_1) | instskip(NEXT) | instid1(VALU_DEP_2)
	v_add_co_u32 v5, vcc_lo, s8, v5
	v_add_co_ci_u32_e32 v6, vcc_lo, s9, v6, vcc_lo
	s_delay_alu instid0(VALU_DEP_4)
	v_add_co_u32 v28, vcc_lo, s10, v28
	v_add_co_ci_u32_e32 v29, vcc_lo, s11, v29, vcc_lo
	s_clause 0x2
	global_load_b128 v[18:21], v[20:21], off
	global_load_b64 v[24:25], v[24:25], off
	global_load_b64 v[26:27], v[5:6], off
	v_add_nc_u32_e32 v6, 1, v22
	global_load_b64 v[28:29], v[28:29], off
	v_lshlrev_b64 v[30:31], 3, v[6:7]
	s_delay_alu instid0(VALU_DEP_1) | instskip(NEXT) | instid1(VALU_DEP_2)
	v_add_co_u32 v30, vcc_lo, s10, v30
	v_add_co_ci_u32_e32 v31, vcc_lo, s11, v31, vcc_lo
	global_load_b64 v[30:31], v[30:31], off
	s_waitcnt vmcnt(1)
	v_fmac_f32_e32 v14, v25, v28
	v_fmac_f32_e32 v16, v18, v28
	;; [unrolled: 1-line block ×4, first 2 shown]
	s_delay_alu instid0(VALU_DEP_4) | instskip(NEXT) | instid1(VALU_DEP_3)
	v_fmac_f32_e32 v14, v24, v29
	v_dual_fmac_f32 v13, v18, v29 :: v_dual_add_nc_u32 v6, -3, v4
	v_fma_f32 v3, -v19, v29, v16
	s_delay_alu instid0(VALU_DEP_4) | instskip(NEXT) | instid1(VALU_DEP_3)
	v_fma_f32 v8, -v25, v29, v17
	v_lshlrev_b64 v[32:33], 3, v[6:7]
	s_waitcnt vmcnt(0)
	s_delay_alu instid0(VALU_DEP_3) | instskip(NEXT) | instid1(VALU_DEP_1)
	v_dual_fmac_f32 v3, v20, v30 :: v_dual_add_nc_u32 v6, -7, v4
	v_lshlrev_b64 v[34:35], 3, v[6:7]
	v_add_nc_u32_e32 v6, 2, v22
	s_delay_alu instid0(VALU_DEP_4) | instskip(SKIP_1) | instid1(VALU_DEP_3)
	v_add_co_u32 v32, vcc_lo, s8, v32
	v_add_co_ci_u32_e32 v33, vcc_lo, s9, v33, vcc_lo
	v_lshlrev_b64 v[36:37], 3, v[6:7]
	v_add_co_u32 v34, vcc_lo, s8, v34
	v_add_co_ci_u32_e32 v35, vcc_lo, s9, v35, vcc_lo
	global_load_b64 v[32:33], v[32:33], off
	v_add_co_u32 v36, vcc_lo, s10, v36
	global_load_b64 v[34:35], v[34:35], off
	v_add_co_ci_u32_e32 v37, vcc_lo, s11, v37, vcc_lo
	v_dual_fmac_f32 v13, v21, v30 :: v_dual_add_nc_u32 v6, -2, v4
	v_fma_f32 v3, -v21, v31, v3
	global_load_b64 v[36:37], v[36:37], off
	v_lshlrev_b64 v[38:39], 3, v[6:7]
	v_dual_fmac_f32 v13, v20, v31 :: v_dual_add_nc_u32 v6, -6, v4
	s_delay_alu instid0(VALU_DEP_1) | instskip(SKIP_1) | instid1(VALU_DEP_4)
	v_lshlrev_b64 v[40:41], 3, v[6:7]
	v_add_nc_u32_e32 v6, 3, v22
	v_add_co_u32 v38, vcc_lo, s8, v38
	v_add_co_ci_u32_e32 v39, vcc_lo, s9, v39, vcc_lo
	s_delay_alu instid0(VALU_DEP_4)
	v_add_co_u32 v40, vcc_lo, s8, v40
	v_add_co_ci_u32_e32 v41, vcc_lo, s9, v41, vcc_lo
	s_clause 0x1
	global_load_b64 v[38:39], v[38:39], off
	global_load_b64 v[40:41], v[40:41], off
	s_waitcnt vmcnt(4)
	v_fmac_f32_e32 v8, v32, v30
	s_waitcnt vmcnt(2)
	v_dual_fmac_f32 v14, v33, v30 :: v_dual_fmac_f32 v13, v35, v36
	v_fmac_f32_e32 v3, v34, v36
	v_lshlrev_b64 v[42:43], 3, v[6:7]
	v_add_nc_u32_e32 v6, -1, v4
	v_fma_f32 v8, -v33, v31, v8
	v_fmac_f32_e32 v13, v34, v37
	v_fma_f32 v3, -v35, v37, v3
	v_add_co_u32 v42, vcc_lo, s10, v42
	v_add_co_ci_u32_e32 v43, vcc_lo, s11, v43, vcc_lo
	v_lshlrev_b64 v[44:45], 3, v[6:7]
	global_load_b64 v[42:43], v[42:43], off
	v_add_nc_u32_e32 v6, -5, v4
	s_waitcnt vmcnt(0)
	v_dual_fmac_f32 v3, v40, v42 :: v_dual_add_nc_u32 v4, 0x50, v4
	s_delay_alu instid0(VALU_DEP_2) | instskip(SKIP_4) | instid1(VALU_DEP_4)
	v_lshlrev_b64 v[46:47], 3, v[6:7]
	v_fmac_f32_e32 v13, v41, v42
	v_add_nc_u32_e32 v6, 4, v22
	v_add_co_u32 v22, vcc_lo, s8, v44
	v_add_co_ci_u32_e32 v23, vcc_lo, s9, v45, vcc_lo
	v_fmac_f32_e32 v13, v40, v43
	s_delay_alu instid0(VALU_DEP_4)
	v_lshlrev_b64 v[5:6], 3, v[6:7]
	v_add_co_u32 v44, vcc_lo, s8, v46
	v_add_co_ci_u32_e32 v45, vcc_lo, s9, v47, vcc_lo
	global_load_b64 v[22:23], v[22:23], off
	v_add_co_u32 v5, vcc_lo, s10, v5
	v_add_co_ci_u32_e32 v6, vcc_lo, s11, v6, vcc_lo
	global_load_b64 v[44:45], v[44:45], off
	global_load_b64 v[5:6], v[5:6], off
	v_fmac_f32_e32 v14, v32, v31
	v_fma_f32 v3, -v41, v43, v3
	v_cmp_ge_i32_e32 vcc_lo, v2, v15
	s_or_b32 s2, vcc_lo, s2
	s_waitcnt vmcnt(0)
	v_dual_fmac_f32 v13, v45, v5 :: v_dual_fmac_f32 v8, v38, v36
	v_dual_fmac_f32 v14, v39, v36 :: v_dual_fmac_f32 v3, v44, v5
	s_delay_alu instid0(VALU_DEP_2) | instskip(NEXT) | instid1(VALU_DEP_3)
	v_fmac_f32_e32 v13, v44, v6
	v_fma_f32 v8, -v39, v37, v8
	s_delay_alu instid0(VALU_DEP_3) | instskip(NEXT) | instid1(VALU_DEP_4)
	v_fmac_f32_e32 v14, v38, v37
	v_fma_f32 v16, -v45, v6, v3
	s_delay_alu instid0(VALU_DEP_3) | instskip(NEXT) | instid1(VALU_DEP_3)
	v_fmac_f32_e32 v8, v22, v42
	v_fmac_f32_e32 v14, v23, v42
	s_delay_alu instid0(VALU_DEP_2) | instskip(NEXT) | instid1(VALU_DEP_2)
	v_fma_f32 v8, -v23, v43, v8
	v_fmac_f32_e32 v14, v22, v43
	s_delay_alu instid0(VALU_DEP_2) | instskip(NEXT) | instid1(VALU_DEP_2)
	v_fmac_f32_e32 v8, v26, v5
	v_fmac_f32_e32 v14, v27, v5
	s_delay_alu instid0(VALU_DEP_2) | instskip(NEXT) | instid1(VALU_DEP_2)
	v_fma_f32 v17, -v27, v6, v8
	v_fmac_f32_e32 v14, v26, v6
	s_and_not1_b32 exec_lo, exec_lo, s2
	s_cbranch_execnz .LBB168_21
; %bb.22:
	s_or_b32 exec_lo, exec_lo, s2
.LBB168_23:
	s_delay_alu instid0(SALU_CYCLE_1)
	s_or_b32 exec_lo, exec_lo, s3
.LBB168_24:
	v_mbcnt_lo_u32_b32 v2, -1, 0
	s_delay_alu instid0(VALU_DEP_1) | instskip(SKIP_2) | instid1(VALU_DEP_3)
	v_xor_b32_e32 v3, 4, v2
	v_xor_b32_e32 v7, 2, v2
	v_xor_b32_e32 v15, 1, v2
	v_cmp_gt_i32_e32 vcc_lo, 32, v3
	v_cndmask_b32_e32 v3, v2, v3, vcc_lo
	s_delay_alu instid0(VALU_DEP_4) | instskip(NEXT) | instid1(VALU_DEP_2)
	v_cmp_gt_i32_e32 vcc_lo, 32, v7
	v_lshlrev_b32_e32 v3, 2, v3
	ds_bpermute_b32 v6, v3, v17
	s_waitcnt lgkmcnt(0)
	v_add_f32_e32 v6, v17, v6
	ds_bpermute_b32 v4, v3, v16
	ds_bpermute_b32 v5, v3, v13
	;; [unrolled: 1-line block ×3, first 2 shown]
	s_waitcnt lgkmcnt(2)
	v_dual_add_f32 v4, v16, v4 :: v_dual_cndmask_b32 v7, v2, v7
	s_waitcnt lgkmcnt(0)
	v_add_f32_e32 v3, v14, v3
	v_cmp_gt_i32_e32 vcc_lo, 32, v15
	v_add_f32_e32 v5, v13, v5
	v_lshlrev_b32_e32 v7, 2, v7
	v_cndmask_b32_e32 v2, v2, v15, vcc_lo
	v_cmp_eq_u32_e32 vcc_lo, 7, v0
	ds_bpermute_b32 v14, v7, v6
	v_lshlrev_b32_e32 v15, 2, v2
	s_waitcnt lgkmcnt(0)
	v_add_f32_e32 v2, v6, v14
	ds_bpermute_b32 v8, v7, v4
	ds_bpermute_b32 v13, v7, v5
	;; [unrolled: 1-line block ×4, first 2 shown]
	s_waitcnt lgkmcnt(2)
	v_dual_add_f32 v4, v4, v8 :: v_dual_add_f32 v5, v5, v13
	s_waitcnt lgkmcnt(1)
	v_add_f32_e32 v3, v3, v7
	ds_bpermute_b32 v8, v15, v4
	ds_bpermute_b32 v13, v15, v5
	;; [unrolled: 1-line block ×3, first 2 shown]
	s_and_b32 exec_lo, exec_lo, vcc_lo
	s_cbranch_execz .LBB168_29
; %bb.25:
	s_load_b64 s[2:3], s[0:1], 0x38
	v_cmp_eq_f32_e32 vcc_lo, 0, v11
	v_cmp_eq_f32_e64 s0, 0, v12
	s_waitcnt lgkmcnt(0)
	v_dual_add_f32 v0, v4, v8 :: v_dual_add_f32 v3, v3, v7
	v_add_f32_e32 v4, v5, v13
	v_add_f32_e32 v2, v2, v6
	s_and_b32 s0, vcc_lo, s0
	s_delay_alu instid0(SALU_CYCLE_1) | instskip(NEXT) | instid1(SALU_CYCLE_1)
	s_and_saveexec_b32 s1, s0
	s_xor_b32 s0, exec_lo, s1
	s_cbranch_execz .LBB168_27
; %bb.26:
	v_mul_f32_e64 v5, v4, -v10
	v_mul_f32_e32 v6, v4, v9
	v_mul_f32_e64 v7, v3, -v10
	v_mul_f32_e32 v8, v3, v9
                                        ; implicit-def: $vgpr4
                                        ; implicit-def: $vgpr3
	s_delay_alu instid0(VALU_DEP_4) | instskip(NEXT) | instid1(VALU_DEP_4)
	v_fmac_f32_e32 v5, v9, v0
	v_dual_fmac_f32 v6, v10, v0 :: v_dual_lshlrev_b32 v11, 1, v1
	s_delay_alu instid0(VALU_DEP_4) | instskip(NEXT) | instid1(VALU_DEP_4)
	v_fmac_f32_e32 v7, v9, v2
	v_fmac_f32_e32 v8, v10, v2
                                        ; implicit-def: $vgpr9
                                        ; implicit-def: $vgpr10
                                        ; implicit-def: $vgpr2
	s_delay_alu instid0(VALU_DEP_3) | instskip(NEXT) | instid1(VALU_DEP_1)
	v_ashrrev_i32_e32 v12, 31, v11
	v_lshlrev_b64 v[11:12], 3, v[11:12]
	s_delay_alu instid0(VALU_DEP_1) | instskip(NEXT) | instid1(VALU_DEP_2)
	v_add_co_u32 v0, vcc_lo, s2, v11
	v_add_co_ci_u32_e32 v1, vcc_lo, s3, v12, vcc_lo
                                        ; implicit-def: $vgpr11
                                        ; implicit-def: $vgpr12
	global_store_b128 v[0:1], v[5:8], off
                                        ; implicit-def: $vgpr1
                                        ; implicit-def: $vgpr0
.LBB168_27:
	s_and_not1_saveexec_b32 s0, s0
	s_cbranch_execz .LBB168_29
; %bb.28:
	v_lshlrev_b32_e32 v5, 1, v1
	v_mul_f32_e64 v15, v4, -v10
	v_mul_f32_e32 v1, v4, v9
	v_mul_f32_e64 v4, v3, -v10
	v_mul_f32_e32 v3, v3, v9
	s_delay_alu instid0(VALU_DEP_4) | instskip(NEXT) | instid1(VALU_DEP_3)
	v_fmac_f32_e32 v15, v9, v0
	v_fmac_f32_e32 v4, v9, v2
	v_ashrrev_i32_e32 v6, 31, v5
	s_delay_alu instid0(VALU_DEP_4) | instskip(NEXT) | instid1(VALU_DEP_2)
	v_fmac_f32_e32 v3, v10, v2
	v_lshlrev_b64 v[5:6], 3, v[5:6]
	s_delay_alu instid0(VALU_DEP_1) | instskip(NEXT) | instid1(VALU_DEP_2)
	v_add_co_u32 v13, vcc_lo, s2, v5
	v_add_co_ci_u32_e32 v14, vcc_lo, s3, v6, vcc_lo
	global_load_b128 v[5:8], v[13:14], off
	s_waitcnt vmcnt(0)
	v_dual_fmac_f32 v4, v11, v7 :: v_dual_fmac_f32 v1, v10, v0
	v_fmac_f32_e32 v15, v11, v5
	v_fmac_f32_e32 v3, v12, v7
	s_delay_alu instid0(VALU_DEP_3) | instskip(NEXT) | instid1(VALU_DEP_4)
	v_fma_f32 v2, -v12, v8, v4
	v_fmac_f32_e32 v1, v12, v5
	s_delay_alu instid0(VALU_DEP_4) | instskip(NEXT) | instid1(VALU_DEP_4)
	v_fma_f32 v0, -v12, v6, v15
	v_fmac_f32_e32 v3, v11, v8
	s_delay_alu instid0(VALU_DEP_3)
	v_fmac_f32_e32 v1, v11, v6
	global_store_b128 v[13:14], v[0:3], off
.LBB168_29:
	s_nop 0
	s_sendmsg sendmsg(MSG_DEALLOC_VGPRS)
	s_endpgm
	.section	.rodata,"a",@progbits
	.p2align	6, 0x0
	.amdhsa_kernel _ZN9rocsparseL19gebsrmvn_2xn_kernelILj128ELj5ELj8E21rocsparse_complex_numIfEEEvi20rocsparse_direction_NS_24const_host_device_scalarIT2_EEPKiS8_PKS5_SA_S6_PS5_21rocsparse_index_base_b
		.amdhsa_group_segment_fixed_size 0
		.amdhsa_private_segment_fixed_size 0
		.amdhsa_kernarg_size 72
		.amdhsa_user_sgpr_count 15
		.amdhsa_user_sgpr_dispatch_ptr 0
		.amdhsa_user_sgpr_queue_ptr 0
		.amdhsa_user_sgpr_kernarg_segment_ptr 1
		.amdhsa_user_sgpr_dispatch_id 0
		.amdhsa_user_sgpr_private_segment_size 0
		.amdhsa_wavefront_size32 1
		.amdhsa_uses_dynamic_stack 0
		.amdhsa_enable_private_segment 0
		.amdhsa_system_sgpr_workgroup_id_x 1
		.amdhsa_system_sgpr_workgroup_id_y 0
		.amdhsa_system_sgpr_workgroup_id_z 0
		.amdhsa_system_sgpr_workgroup_info 0
		.amdhsa_system_vgpr_workitem_id 0
		.amdhsa_next_free_vgpr 48
		.amdhsa_next_free_sgpr 16
		.amdhsa_reserve_vcc 1
		.amdhsa_float_round_mode_32 0
		.amdhsa_float_round_mode_16_64 0
		.amdhsa_float_denorm_mode_32 3
		.amdhsa_float_denorm_mode_16_64 3
		.amdhsa_dx10_clamp 1
		.amdhsa_ieee_mode 1
		.amdhsa_fp16_overflow 0
		.amdhsa_workgroup_processor_mode 1
		.amdhsa_memory_ordered 1
		.amdhsa_forward_progress 0
		.amdhsa_shared_vgpr_count 0
		.amdhsa_exception_fp_ieee_invalid_op 0
		.amdhsa_exception_fp_denorm_src 0
		.amdhsa_exception_fp_ieee_div_zero 0
		.amdhsa_exception_fp_ieee_overflow 0
		.amdhsa_exception_fp_ieee_underflow 0
		.amdhsa_exception_fp_ieee_inexact 0
		.amdhsa_exception_int_div_zero 0
	.end_amdhsa_kernel
	.section	.text._ZN9rocsparseL19gebsrmvn_2xn_kernelILj128ELj5ELj8E21rocsparse_complex_numIfEEEvi20rocsparse_direction_NS_24const_host_device_scalarIT2_EEPKiS8_PKS5_SA_S6_PS5_21rocsparse_index_base_b,"axG",@progbits,_ZN9rocsparseL19gebsrmvn_2xn_kernelILj128ELj5ELj8E21rocsparse_complex_numIfEEEvi20rocsparse_direction_NS_24const_host_device_scalarIT2_EEPKiS8_PKS5_SA_S6_PS5_21rocsparse_index_base_b,comdat
.Lfunc_end168:
	.size	_ZN9rocsparseL19gebsrmvn_2xn_kernelILj128ELj5ELj8E21rocsparse_complex_numIfEEEvi20rocsparse_direction_NS_24const_host_device_scalarIT2_EEPKiS8_PKS5_SA_S6_PS5_21rocsparse_index_base_b, .Lfunc_end168-_ZN9rocsparseL19gebsrmvn_2xn_kernelILj128ELj5ELj8E21rocsparse_complex_numIfEEEvi20rocsparse_direction_NS_24const_host_device_scalarIT2_EEPKiS8_PKS5_SA_S6_PS5_21rocsparse_index_base_b
                                        ; -- End function
	.section	.AMDGPU.csdata,"",@progbits
; Kernel info:
; codeLenInByte = 2688
; NumSgprs: 18
; NumVgprs: 48
; ScratchSize: 0
; MemoryBound: 0
; FloatMode: 240
; IeeeMode: 1
; LDSByteSize: 0 bytes/workgroup (compile time only)
; SGPRBlocks: 2
; VGPRBlocks: 5
; NumSGPRsForWavesPerEU: 18
; NumVGPRsForWavesPerEU: 48
; Occupancy: 16
; WaveLimiterHint : 1
; COMPUTE_PGM_RSRC2:SCRATCH_EN: 0
; COMPUTE_PGM_RSRC2:USER_SGPR: 15
; COMPUTE_PGM_RSRC2:TRAP_HANDLER: 0
; COMPUTE_PGM_RSRC2:TGID_X_EN: 1
; COMPUTE_PGM_RSRC2:TGID_Y_EN: 0
; COMPUTE_PGM_RSRC2:TGID_Z_EN: 0
; COMPUTE_PGM_RSRC2:TIDIG_COMP_CNT: 0
	.section	.text._ZN9rocsparseL19gebsrmvn_2xn_kernelILj128ELj5ELj16E21rocsparse_complex_numIfEEEvi20rocsparse_direction_NS_24const_host_device_scalarIT2_EEPKiS8_PKS5_SA_S6_PS5_21rocsparse_index_base_b,"axG",@progbits,_ZN9rocsparseL19gebsrmvn_2xn_kernelILj128ELj5ELj16E21rocsparse_complex_numIfEEEvi20rocsparse_direction_NS_24const_host_device_scalarIT2_EEPKiS8_PKS5_SA_S6_PS5_21rocsparse_index_base_b,comdat
	.globl	_ZN9rocsparseL19gebsrmvn_2xn_kernelILj128ELj5ELj16E21rocsparse_complex_numIfEEEvi20rocsparse_direction_NS_24const_host_device_scalarIT2_EEPKiS8_PKS5_SA_S6_PS5_21rocsparse_index_base_b ; -- Begin function _ZN9rocsparseL19gebsrmvn_2xn_kernelILj128ELj5ELj16E21rocsparse_complex_numIfEEEvi20rocsparse_direction_NS_24const_host_device_scalarIT2_EEPKiS8_PKS5_SA_S6_PS5_21rocsparse_index_base_b
	.p2align	8
	.type	_ZN9rocsparseL19gebsrmvn_2xn_kernelILj128ELj5ELj16E21rocsparse_complex_numIfEEEvi20rocsparse_direction_NS_24const_host_device_scalarIT2_EEPKiS8_PKS5_SA_S6_PS5_21rocsparse_index_base_b,@function
_ZN9rocsparseL19gebsrmvn_2xn_kernelILj128ELj5ELj16E21rocsparse_complex_numIfEEEvi20rocsparse_direction_NS_24const_host_device_scalarIT2_EEPKiS8_PKS5_SA_S6_PS5_21rocsparse_index_base_b: ; @_ZN9rocsparseL19gebsrmvn_2xn_kernelILj128ELj5ELj16E21rocsparse_complex_numIfEEEvi20rocsparse_direction_NS_24const_host_device_scalarIT2_EEPKiS8_PKS5_SA_S6_PS5_21rocsparse_index_base_b
; %bb.0:
	s_clause 0x2
	s_load_b64 s[12:13], s[0:1], 0x40
	s_load_b64 s[4:5], s[0:1], 0x8
	;; [unrolled: 1-line block ×3, first 2 shown]
	s_waitcnt lgkmcnt(0)
	s_bitcmp1_b32 s13, 0
	v_mov_b32_e32 v9, s4
	s_cselect_b32 s6, -1, 0
	s_delay_alu instid0(SALU_CYCLE_1)
	s_and_b32 vcc_lo, exec_lo, s6
	s_xor_b32 s6, s6, -1
	s_cbranch_vccz .LBB169_15
; %bb.1:
	v_cndmask_b32_e64 v1, 0, 1, s6
	v_mov_b32_e32 v10, s5
	s_and_not1_b32 vcc_lo, exec_lo, s6
	s_cbranch_vccz .LBB169_16
.LBB169_2:
	s_delay_alu instid0(VALU_DEP_2)
	v_cmp_ne_u32_e32 vcc_lo, 1, v1
	v_mov_b32_e32 v11, s2
	s_cbranch_vccz .LBB169_17
.LBB169_3:
	v_cmp_ne_u32_e32 vcc_lo, 1, v1
	v_mov_b32_e32 v12, s3
	s_cbranch_vccnz .LBB169_5
.LBB169_4:
	v_dual_mov_b32 v1, s2 :: v_dual_mov_b32 v2, s3
	flat_load_b32 v12, v[1:2] offset:4
.LBB169_5:
	s_waitcnt vmcnt(0) lgkmcnt(0)
	v_cmp_eq_f32_e32 vcc_lo, 0, v9
	v_cmp_eq_f32_e64 s2, 0, v10
	s_delay_alu instid0(VALU_DEP_1)
	s_and_b32 s4, vcc_lo, s2
	s_mov_b32 s2, -1
	s_and_saveexec_b32 s3, s4
; %bb.6:
	v_cmp_neq_f32_e32 vcc_lo, 1.0, v11
	v_cmp_neq_f32_e64 s2, 0, v12
	s_delay_alu instid0(VALU_DEP_1) | instskip(NEXT) | instid1(SALU_CYCLE_1)
	s_or_b32 s2, vcc_lo, s2
	s_or_not1_b32 s2, s2, exec_lo
; %bb.7:
	s_or_b32 exec_lo, exec_lo, s3
	s_and_saveexec_b32 s3, s2
	s_cbranch_execz .LBB169_29
; %bb.8:
	s_load_b64 s[2:3], s[0:1], 0x0
	v_lshrrev_b32_e32 v1, 4, v0
	s_delay_alu instid0(VALU_DEP_1) | instskip(SKIP_1) | instid1(VALU_DEP_1)
	v_lshl_or_b32 v1, s15, 3, v1
	s_waitcnt lgkmcnt(0)
	v_cmp_gt_i32_e32 vcc_lo, s2, v1
	s_and_b32 exec_lo, exec_lo, vcc_lo
	s_cbranch_execz .LBB169_29
; %bb.9:
	s_load_b256 s[4:11], s[0:1], 0x10
	v_ashrrev_i32_e32 v2, 31, v1
	v_and_b32_e32 v0, 15, v0
	s_cmp_lg_u32 s3, 0
	s_delay_alu instid0(VALU_DEP_2) | instskip(SKIP_1) | instid1(VALU_DEP_1)
	v_lshlrev_b64 v[2:3], 2, v[1:2]
	s_waitcnt lgkmcnt(0)
	v_add_co_u32 v2, vcc_lo, s4, v2
	s_delay_alu instid0(VALU_DEP_2) | instskip(SKIP_4) | instid1(VALU_DEP_2)
	v_add_co_ci_u32_e32 v3, vcc_lo, s5, v3, vcc_lo
	global_load_b64 v[2:3], v[2:3], off
	s_waitcnt vmcnt(0)
	v_subrev_nc_u32_e32 v2, s12, v2
	v_subrev_nc_u32_e32 v15, s12, v3
	v_add_nc_u32_e32 v2, v2, v0
	s_delay_alu instid0(VALU_DEP_1)
	v_cmp_lt_i32_e64 s2, v2, v15
	s_cbranch_scc0 .LBB169_18
; %bb.10:
	v_dual_mov_b32 v13, 0 :: v_dual_mov_b32 v16, 0
	v_dual_mov_b32 v17, 0 :: v_dual_mov_b32 v14, 0
	s_mov_b32 s3, 0
	s_and_saveexec_b32 s4, s2
	s_cbranch_execz .LBB169_14
; %bb.11:
	v_mad_u64_u32 v[3:4], null, v2, 10, 8
	v_dual_mov_b32 v6, 0 :: v_dual_mov_b32 v7, v2
	v_dual_mov_b32 v13, 0 :: v_dual_mov_b32 v16, 0
	;; [unrolled: 1-line block ×3, first 2 shown]
	s_mov_b32 s5, 0
.LBB169_12:                             ; =>This Inner Loop Header: Depth=1
	s_delay_alu instid0(VALU_DEP_3) | instskip(NEXT) | instid1(VALU_DEP_1)
	v_ashrrev_i32_e32 v8, 31, v7
	v_lshlrev_b64 v[4:5], 2, v[7:8]
	s_delay_alu instid0(VALU_DEP_1) | instskip(NEXT) | instid1(VALU_DEP_2)
	v_add_co_u32 v4, vcc_lo, s6, v4
	v_add_co_ci_u32_e32 v5, vcc_lo, s7, v5, vcc_lo
	global_load_b32 v8, v[4:5], off
	v_dual_mov_b32 v4, v6 :: v_dual_add_nc_u32 v5, -8, v3
	s_delay_alu instid0(VALU_DEP_1) | instskip(SKIP_1) | instid1(VALU_DEP_3)
	v_lshlrev_b64 v[18:19], 3, v[5:6]
	v_add_nc_u32_e32 v5, -6, v3
	v_lshlrev_b64 v[20:21], 3, v[3:4]
	s_delay_alu instid0(VALU_DEP_2) | instskip(NEXT) | instid1(VALU_DEP_4)
	v_lshlrev_b64 v[4:5], 3, v[5:6]
	v_add_co_u32 v18, vcc_lo, s8, v18
	v_add_co_ci_u32_e32 v19, vcc_lo, s9, v19, vcc_lo
	s_delay_alu instid0(VALU_DEP_4)
	v_add_co_u32 v34, vcc_lo, s8, v20
	v_add_co_ci_u32_e32 v35, vcc_lo, s9, v21, vcc_lo
	v_add_co_u32 v4, vcc_lo, s8, v4
	v_add_co_ci_u32_e32 v5, vcc_lo, s9, v5, vcc_lo
	s_clause 0x1
	global_load_b128 v[18:21], v[18:19], off
	global_load_b128 v[22:25], v[4:5], off
	v_mov_b32_e32 v31, v6
	s_waitcnt vmcnt(2)
	v_subrev_nc_u32_e32 v4, s12, v8
	s_delay_alu instid0(VALU_DEP_1) | instskip(NEXT) | instid1(VALU_DEP_1)
	v_lshl_add_u32 v30, v4, 2, v4
	v_lshlrev_b64 v[26:27], 3, v[30:31]
	s_delay_alu instid0(VALU_DEP_1) | instskip(NEXT) | instid1(VALU_DEP_2)
	v_add_co_u32 v26, vcc_lo, s10, v26
	v_add_co_ci_u32_e32 v27, vcc_lo, s11, v27, vcc_lo
	global_load_b64 v[38:39], v[26:27], off
	v_add_nc_u32_e32 v5, 1, v30
	s_delay_alu instid0(VALU_DEP_1) | instskip(NEXT) | instid1(VALU_DEP_1)
	v_lshlrev_b64 v[28:29], 3, v[5:6]
	v_add_co_u32 v28, vcc_lo, s10, v28
	s_delay_alu instid0(VALU_DEP_2)
	v_add_co_ci_u32_e32 v29, vcc_lo, s11, v29, vcc_lo
	global_load_b64 v[40:41], v[28:29], off
	s_waitcnt vmcnt(1)
	v_fmac_f32_e32 v16, v18, v38
	v_fmac_f32_e32 v17, v20, v38
	;; [unrolled: 1-line block ×3, first 2 shown]
	s_delay_alu instid0(VALU_DEP_3) | instskip(SKIP_1) | instid1(VALU_DEP_4)
	v_fma_f32 v8, -v19, v39, v16
	v_add_nc_u32_e32 v5, -4, v3
	v_fma_f32 v16, -v21, v39, v17
	s_delay_alu instid0(VALU_DEP_4)
	v_fmac_f32_e32 v14, v20, v39
	s_waitcnt vmcnt(0)
	v_fmac_f32_e32 v8, v22, v40
	v_lshlrev_b64 v[31:32], 3, v[5:6]
	v_dual_fmac_f32 v16, v24, v40 :: v_dual_add_nc_u32 v5, 2, v30
	v_fmac_f32_e32 v14, v25, v40
	s_delay_alu instid0(VALU_DEP_4) | instskip(NEXT) | instid1(VALU_DEP_3)
	v_fma_f32 v8, -v23, v41, v8
	v_lshlrev_b64 v[26:27], 3, v[5:6]
	v_add_co_u32 v28, vcc_lo, s8, v31
	v_add_co_ci_u32_e32 v29, vcc_lo, s9, v32, vcc_lo
	v_add_nc_u32_e32 v5, -2, v3
	s_delay_alu instid0(VALU_DEP_4)
	v_add_co_u32 v36, vcc_lo, s10, v26
	v_add_co_ci_u32_e32 v37, vcc_lo, s11, v27, vcc_lo
	global_load_b128 v[26:29], v[28:29], off
	v_lshlrev_b64 v[31:32], 3, v[5:6]
	v_dual_fmac_f32 v14, v24, v41 :: v_dual_add_nc_u32 v5, 3, v30
	global_load_b64 v[44:45], v[36:37], off
	v_fma_f32 v16, -v25, v41, v16
	v_fmac_f32_e32 v13, v19, v38
	v_lshlrev_b64 v[42:43], 3, v[5:6]
	v_add_nc_u32_e32 v5, 4, v30
	v_add_co_u32 v30, vcc_lo, s8, v31
	v_add_co_ci_u32_e32 v31, vcc_lo, s9, v32, vcc_lo
	s_delay_alu instid0(VALU_DEP_4)
	v_add_co_u32 v36, vcc_lo, s10, v42
	v_add_co_ci_u32_e32 v37, vcc_lo, s11, v43, vcc_lo
	global_load_b128 v[30:33], v[30:31], off
	global_load_b64 v[42:43], v[36:37], off
	s_waitcnt vmcnt(2)
	v_dual_fmac_f32 v8, v26, v44 :: v_dual_add_nc_u32 v3, 0xa0, v3
	v_lshlrev_b64 v[4:5], 3, v[5:6]
	v_fmac_f32_e32 v16, v28, v44
	v_dual_fmac_f32 v14, v29, v44 :: v_dual_fmac_f32 v13, v18, v39
	s_delay_alu instid0(VALU_DEP_4) | instskip(NEXT) | instid1(VALU_DEP_4)
	v_fma_f32 v8, -v27, v45, v8
	v_add_co_u32 v4, vcc_lo, s10, v4
	s_delay_alu instid0(VALU_DEP_3)
	v_fmac_f32_e32 v14, v28, v45
	v_add_co_ci_u32_e32 v5, vcc_lo, s11, v5, vcc_lo
	global_load_b128 v[34:37], v[34:35], off
	global_load_b64 v[4:5], v[4:5], off
	s_waitcnt vmcnt(2)
	v_dual_fmac_f32 v13, v23, v40 :: v_dual_fmac_f32 v8, v30, v42
	v_fma_f32 v16, -v29, v45, v16
	s_delay_alu instid0(VALU_DEP_2) | instskip(NEXT) | instid1(VALU_DEP_3)
	v_dual_fmac_f32 v14, v33, v42 :: v_dual_fmac_f32 v13, v22, v41
	v_fma_f32 v8, -v31, v43, v8
	s_delay_alu instid0(VALU_DEP_3) | instskip(NEXT) | instid1(VALU_DEP_3)
	v_fmac_f32_e32 v16, v32, v42
	v_fmac_f32_e32 v14, v32, v43
	v_add_nc_u32_e32 v7, 16, v7
	v_fmac_f32_e32 v13, v27, v44
	s_delay_alu instid0(VALU_DEP_4) | instskip(NEXT) | instid1(VALU_DEP_2)
	v_fma_f32 v17, -v33, v43, v16
	v_fmac_f32_e32 v13, v26, v45
	s_waitcnt vmcnt(0)
	s_delay_alu instid0(VALU_DEP_1) | instskip(NEXT) | instid1(VALU_DEP_1)
	v_dual_fmac_f32 v13, v31, v42 :: v_dual_fmac_f32 v8, v34, v4
	v_dual_fmac_f32 v14, v37, v4 :: v_dual_fmac_f32 v13, v30, v43
	v_fmac_f32_e32 v17, v36, v4
	v_cmp_ge_i32_e32 vcc_lo, v7, v15
	s_delay_alu instid0(VALU_DEP_4) | instskip(NEXT) | instid1(VALU_DEP_4)
	v_fma_f32 v16, -v35, v5, v8
	v_dual_fmac_f32 v14, v36, v5 :: v_dual_fmac_f32 v13, v35, v4
	s_delay_alu instid0(VALU_DEP_4) | instskip(SKIP_1) | instid1(VALU_DEP_2)
	v_fma_f32 v17, -v37, v5, v17
	s_or_b32 s5, vcc_lo, s5
	v_fmac_f32_e32 v13, v34, v5
	s_and_not1_b32 exec_lo, exec_lo, s5
	s_cbranch_execnz .LBB169_12
; %bb.13:
	s_or_b32 exec_lo, exec_lo, s5
.LBB169_14:
	s_delay_alu instid0(SALU_CYCLE_1) | instskip(NEXT) | instid1(SALU_CYCLE_1)
	s_or_b32 exec_lo, exec_lo, s4
	s_and_not1_b32 vcc_lo, exec_lo, s3
	s_cbranch_vccz .LBB169_19
	s_branch .LBB169_24
.LBB169_15:
	v_dual_mov_b32 v1, s4 :: v_dual_mov_b32 v2, s5
	flat_load_b32 v9, v[1:2]
	v_cndmask_b32_e64 v1, 0, 1, s6
	v_mov_b32_e32 v10, s5
	s_and_not1_b32 vcc_lo, exec_lo, s6
	s_cbranch_vccnz .LBB169_2
.LBB169_16:
	v_dual_mov_b32 v2, s4 :: v_dual_mov_b32 v3, s5
	flat_load_b32 v10, v[2:3] offset:4
	v_cmp_ne_u32_e32 vcc_lo, 1, v1
	v_mov_b32_e32 v11, s2
	s_cbranch_vccnz .LBB169_3
.LBB169_17:
	v_dual_mov_b32 v2, s2 :: v_dual_mov_b32 v3, s3
	flat_load_b32 v11, v[2:3]
	v_cmp_ne_u32_e32 vcc_lo, 1, v1
	v_mov_b32_e32 v12, s3
	s_cbranch_vccz .LBB169_4
	s_branch .LBB169_5
.LBB169_18:
                                        ; implicit-def: $vgpr13
                                        ; implicit-def: $vgpr16
                                        ; implicit-def: $vgpr17
                                        ; implicit-def: $vgpr14
.LBB169_19:
	v_dual_mov_b32 v13, 0 :: v_dual_mov_b32 v16, 0
	v_dual_mov_b32 v17, 0 :: v_dual_mov_b32 v14, 0
	s_delay_alu instid0(VALU_DEP_3)
	s_and_saveexec_b32 s3, s2
	s_cbranch_execz .LBB169_23
; %bb.20:
	v_mad_u64_u32 v[4:5], null, v2, 10, 9
	v_dual_mov_b32 v7, 0 :: v_dual_mov_b32 v16, 0
	v_dual_mov_b32 v13, 0 :: v_dual_mov_b32 v14, 0
	v_mov_b32_e32 v17, 0
	s_mov_b32 s2, 0
.LBB169_21:                             ; =>This Inner Loop Header: Depth=1
	v_ashrrev_i32_e32 v3, 31, v2
	v_dual_mov_b32 v19, v7 :: v_dual_add_nc_u32 v18, -4, v4
	v_mov_b32_e32 v23, v7
	s_delay_alu instid0(VALU_DEP_3) | instskip(SKIP_1) | instid1(VALU_DEP_4)
	v_lshlrev_b64 v[5:6], 2, v[2:3]
	v_add_nc_u32_e32 v2, 16, v2
	v_lshlrev_b64 v[18:19], 3, v[18:19]
	s_delay_alu instid0(VALU_DEP_3) | instskip(NEXT) | instid1(VALU_DEP_4)
	v_add_co_u32 v5, vcc_lo, s6, v5
	v_add_co_ci_u32_e32 v6, vcc_lo, s7, v6, vcc_lo
	global_load_b32 v3, v[5:6], off
	v_add_nc_u32_e32 v6, -9, v4
	s_delay_alu instid0(VALU_DEP_1) | instskip(NEXT) | instid1(VALU_DEP_1)
	v_lshlrev_b64 v[20:21], 3, v[6:7]
	v_add_co_u32 v20, vcc_lo, s8, v20
	s_delay_alu instid0(VALU_DEP_2) | instskip(SKIP_4) | instid1(VALU_DEP_1)
	v_add_co_ci_u32_e32 v21, vcc_lo, s9, v21, vcc_lo
	v_add_co_u32 v24, vcc_lo, s8, v18
	v_add_co_ci_u32_e32 v25, vcc_lo, s9, v19, vcc_lo
	s_waitcnt vmcnt(0)
	v_subrev_nc_u32_e32 v3, s12, v3
	v_lshl_add_u32 v22, v3, 2, v3
	v_mov_b32_e32 v5, v7
	s_delay_alu instid0(VALU_DEP_2) | instskip(NEXT) | instid1(VALU_DEP_2)
	v_lshlrev_b64 v[28:29], 3, v[22:23]
	v_lshlrev_b64 v[5:6], 3, v[4:5]
	s_delay_alu instid0(VALU_DEP_1) | instskip(NEXT) | instid1(VALU_DEP_2)
	v_add_co_u32 v5, vcc_lo, s8, v5
	v_add_co_ci_u32_e32 v6, vcc_lo, s9, v6, vcc_lo
	s_delay_alu instid0(VALU_DEP_4)
	v_add_co_u32 v28, vcc_lo, s10, v28
	v_add_co_ci_u32_e32 v29, vcc_lo, s11, v29, vcc_lo
	s_clause 0x2
	global_load_b128 v[18:21], v[20:21], off
	global_load_b64 v[24:25], v[24:25], off
	global_load_b64 v[26:27], v[5:6], off
	v_add_nc_u32_e32 v6, 1, v22
	global_load_b64 v[28:29], v[28:29], off
	v_lshlrev_b64 v[30:31], 3, v[6:7]
	s_delay_alu instid0(VALU_DEP_1) | instskip(NEXT) | instid1(VALU_DEP_2)
	v_add_co_u32 v30, vcc_lo, s10, v30
	v_add_co_ci_u32_e32 v31, vcc_lo, s11, v31, vcc_lo
	global_load_b64 v[30:31], v[30:31], off
	s_waitcnt vmcnt(1)
	v_fmac_f32_e32 v14, v25, v28
	v_fmac_f32_e32 v16, v18, v28
	;; [unrolled: 1-line block ×4, first 2 shown]
	s_delay_alu instid0(VALU_DEP_4) | instskip(NEXT) | instid1(VALU_DEP_3)
	v_fmac_f32_e32 v14, v24, v29
	v_dual_fmac_f32 v13, v18, v29 :: v_dual_add_nc_u32 v6, -3, v4
	v_fma_f32 v3, -v19, v29, v16
	s_delay_alu instid0(VALU_DEP_4) | instskip(NEXT) | instid1(VALU_DEP_3)
	v_fma_f32 v8, -v25, v29, v17
	v_lshlrev_b64 v[32:33], 3, v[6:7]
	s_waitcnt vmcnt(0)
	s_delay_alu instid0(VALU_DEP_3) | instskip(NEXT) | instid1(VALU_DEP_1)
	v_dual_fmac_f32 v3, v20, v30 :: v_dual_add_nc_u32 v6, -7, v4
	v_lshlrev_b64 v[34:35], 3, v[6:7]
	v_add_nc_u32_e32 v6, 2, v22
	s_delay_alu instid0(VALU_DEP_4) | instskip(SKIP_1) | instid1(VALU_DEP_3)
	v_add_co_u32 v32, vcc_lo, s8, v32
	v_add_co_ci_u32_e32 v33, vcc_lo, s9, v33, vcc_lo
	v_lshlrev_b64 v[36:37], 3, v[6:7]
	v_add_co_u32 v34, vcc_lo, s8, v34
	v_add_co_ci_u32_e32 v35, vcc_lo, s9, v35, vcc_lo
	global_load_b64 v[32:33], v[32:33], off
	v_add_co_u32 v36, vcc_lo, s10, v36
	global_load_b64 v[34:35], v[34:35], off
	v_add_co_ci_u32_e32 v37, vcc_lo, s11, v37, vcc_lo
	v_dual_fmac_f32 v13, v21, v30 :: v_dual_add_nc_u32 v6, -2, v4
	v_fma_f32 v3, -v21, v31, v3
	global_load_b64 v[36:37], v[36:37], off
	v_lshlrev_b64 v[38:39], 3, v[6:7]
	v_dual_fmac_f32 v13, v20, v31 :: v_dual_add_nc_u32 v6, -6, v4
	s_delay_alu instid0(VALU_DEP_1) | instskip(SKIP_1) | instid1(VALU_DEP_4)
	v_lshlrev_b64 v[40:41], 3, v[6:7]
	v_add_nc_u32_e32 v6, 3, v22
	v_add_co_u32 v38, vcc_lo, s8, v38
	v_add_co_ci_u32_e32 v39, vcc_lo, s9, v39, vcc_lo
	s_delay_alu instid0(VALU_DEP_4)
	v_add_co_u32 v40, vcc_lo, s8, v40
	v_add_co_ci_u32_e32 v41, vcc_lo, s9, v41, vcc_lo
	s_clause 0x1
	global_load_b64 v[38:39], v[38:39], off
	global_load_b64 v[40:41], v[40:41], off
	s_waitcnt vmcnt(4)
	v_fmac_f32_e32 v8, v32, v30
	s_waitcnt vmcnt(2)
	v_dual_fmac_f32 v14, v33, v30 :: v_dual_fmac_f32 v13, v35, v36
	v_fmac_f32_e32 v3, v34, v36
	v_lshlrev_b64 v[42:43], 3, v[6:7]
	v_add_nc_u32_e32 v6, -1, v4
	v_fma_f32 v8, -v33, v31, v8
	v_fmac_f32_e32 v13, v34, v37
	v_fma_f32 v3, -v35, v37, v3
	v_add_co_u32 v42, vcc_lo, s10, v42
	v_add_co_ci_u32_e32 v43, vcc_lo, s11, v43, vcc_lo
	v_lshlrev_b64 v[44:45], 3, v[6:7]
	global_load_b64 v[42:43], v[42:43], off
	v_add_nc_u32_e32 v6, -5, v4
	s_waitcnt vmcnt(0)
	v_dual_fmac_f32 v3, v40, v42 :: v_dual_add_nc_u32 v4, 0xa0, v4
	s_delay_alu instid0(VALU_DEP_2) | instskip(SKIP_4) | instid1(VALU_DEP_4)
	v_lshlrev_b64 v[46:47], 3, v[6:7]
	v_fmac_f32_e32 v13, v41, v42
	v_add_nc_u32_e32 v6, 4, v22
	v_add_co_u32 v22, vcc_lo, s8, v44
	v_add_co_ci_u32_e32 v23, vcc_lo, s9, v45, vcc_lo
	v_fmac_f32_e32 v13, v40, v43
	s_delay_alu instid0(VALU_DEP_4)
	v_lshlrev_b64 v[5:6], 3, v[6:7]
	v_add_co_u32 v44, vcc_lo, s8, v46
	v_add_co_ci_u32_e32 v45, vcc_lo, s9, v47, vcc_lo
	global_load_b64 v[22:23], v[22:23], off
	v_add_co_u32 v5, vcc_lo, s10, v5
	v_add_co_ci_u32_e32 v6, vcc_lo, s11, v6, vcc_lo
	global_load_b64 v[44:45], v[44:45], off
	global_load_b64 v[5:6], v[5:6], off
	v_fmac_f32_e32 v14, v32, v31
	v_fma_f32 v3, -v41, v43, v3
	v_cmp_ge_i32_e32 vcc_lo, v2, v15
	s_or_b32 s2, vcc_lo, s2
	s_waitcnt vmcnt(0)
	v_dual_fmac_f32 v13, v45, v5 :: v_dual_fmac_f32 v8, v38, v36
	v_dual_fmac_f32 v14, v39, v36 :: v_dual_fmac_f32 v3, v44, v5
	s_delay_alu instid0(VALU_DEP_2) | instskip(NEXT) | instid1(VALU_DEP_3)
	v_fmac_f32_e32 v13, v44, v6
	v_fma_f32 v8, -v39, v37, v8
	s_delay_alu instid0(VALU_DEP_3) | instskip(NEXT) | instid1(VALU_DEP_4)
	v_fmac_f32_e32 v14, v38, v37
	v_fma_f32 v16, -v45, v6, v3
	s_delay_alu instid0(VALU_DEP_3) | instskip(NEXT) | instid1(VALU_DEP_3)
	v_fmac_f32_e32 v8, v22, v42
	v_fmac_f32_e32 v14, v23, v42
	s_delay_alu instid0(VALU_DEP_2) | instskip(NEXT) | instid1(VALU_DEP_2)
	v_fma_f32 v8, -v23, v43, v8
	v_fmac_f32_e32 v14, v22, v43
	s_delay_alu instid0(VALU_DEP_2) | instskip(NEXT) | instid1(VALU_DEP_2)
	v_fmac_f32_e32 v8, v26, v5
	v_fmac_f32_e32 v14, v27, v5
	s_delay_alu instid0(VALU_DEP_2) | instskip(NEXT) | instid1(VALU_DEP_2)
	v_fma_f32 v17, -v27, v6, v8
	v_fmac_f32_e32 v14, v26, v6
	s_and_not1_b32 exec_lo, exec_lo, s2
	s_cbranch_execnz .LBB169_21
; %bb.22:
	s_or_b32 exec_lo, exec_lo, s2
.LBB169_23:
	s_delay_alu instid0(SALU_CYCLE_1)
	s_or_b32 exec_lo, exec_lo, s3
.LBB169_24:
	v_mbcnt_lo_u32_b32 v2, -1, 0
	s_delay_alu instid0(VALU_DEP_1) | instskip(SKIP_2) | instid1(VALU_DEP_3)
	v_xor_b32_e32 v3, 8, v2
	v_xor_b32_e32 v7, 4, v2
	v_xor_b32_e32 v15, 2, v2
	v_cmp_gt_i32_e32 vcc_lo, 32, v3
	v_cndmask_b32_e32 v3, v2, v3, vcc_lo
	s_delay_alu instid0(VALU_DEP_4) | instskip(NEXT) | instid1(VALU_DEP_2)
	v_cmp_gt_i32_e32 vcc_lo, 32, v7
	v_lshlrev_b32_e32 v3, 2, v3
	ds_bpermute_b32 v6, v3, v17
	s_waitcnt lgkmcnt(0)
	v_add_f32_e32 v6, v17, v6
	ds_bpermute_b32 v4, v3, v16
	ds_bpermute_b32 v5, v3, v13
	;; [unrolled: 1-line block ×3, first 2 shown]
	s_waitcnt lgkmcnt(2)
	v_dual_add_f32 v4, v16, v4 :: v_dual_cndmask_b32 v7, v2, v7
	s_waitcnt lgkmcnt(0)
	v_add_f32_e32 v3, v14, v3
	v_add_f32_e32 v5, v13, v5
	v_cmp_gt_i32_e32 vcc_lo, 32, v15
	v_lshlrev_b32_e32 v7, 2, v7
	v_cndmask_b32_e32 v15, v2, v15, vcc_lo
	ds_bpermute_b32 v14, v7, v6
	s_waitcnt lgkmcnt(0)
	v_add_f32_e32 v6, v6, v14
	ds_bpermute_b32 v8, v7, v4
	ds_bpermute_b32 v13, v7, v5
	;; [unrolled: 1-line block ×3, first 2 shown]
	s_waitcnt lgkmcnt(2)
	v_dual_add_f32 v4, v4, v8 :: v_dual_lshlrev_b32 v15, 2, v15
	s_waitcnt lgkmcnt(0)
	v_add_f32_e32 v3, v3, v7
	ds_bpermute_b32 v7, v15, v4
	v_add_f32_e32 v5, v5, v13
	ds_bpermute_b32 v13, v15, v6
	ds_bpermute_b32 v14, v15, v3
	s_waitcnt lgkmcnt(2)
	v_add_f32_e32 v4, v4, v7
	ds_bpermute_b32 v8, v15, v5
	v_xor_b32_e32 v15, 1, v2
	s_waitcnt lgkmcnt(1)
	v_add_f32_e32 v3, v3, v14
	s_delay_alu instid0(VALU_DEP_2) | instskip(SKIP_2) | instid1(VALU_DEP_2)
	v_cmp_gt_i32_e32 vcc_lo, 32, v15
	v_cndmask_b32_e32 v2, v2, v15, vcc_lo
	v_cmp_eq_u32_e32 vcc_lo, 15, v0
	v_dual_add_f32 v2, v6, v13 :: v_dual_lshlrev_b32 v15, 2, v2
	s_waitcnt lgkmcnt(0)
	v_add_f32_e32 v5, v5, v8
	ds_bpermute_b32 v8, v15, v4
	ds_bpermute_b32 v6, v15, v2
	;; [unrolled: 1-line block ×4, first 2 shown]
	s_and_b32 exec_lo, exec_lo, vcc_lo
	s_cbranch_execz .LBB169_29
; %bb.25:
	s_load_b64 s[2:3], s[0:1], 0x38
	v_cmp_eq_f32_e32 vcc_lo, 0, v11
	v_cmp_eq_f32_e64 s0, 0, v12
	s_waitcnt lgkmcnt(0)
	v_dual_add_f32 v0, v4, v8 :: v_dual_add_f32 v3, v3, v7
	v_add_f32_e32 v4, v5, v13
	v_add_f32_e32 v2, v2, v6
	s_and_b32 s0, vcc_lo, s0
	s_delay_alu instid0(SALU_CYCLE_1) | instskip(NEXT) | instid1(SALU_CYCLE_1)
	s_and_saveexec_b32 s1, s0
	s_xor_b32 s0, exec_lo, s1
	s_cbranch_execz .LBB169_27
; %bb.26:
	v_mul_f32_e64 v5, v4, -v10
	v_mul_f32_e32 v6, v4, v9
	v_mul_f32_e64 v7, v3, -v10
	v_mul_f32_e32 v8, v3, v9
                                        ; implicit-def: $vgpr4
                                        ; implicit-def: $vgpr3
	s_delay_alu instid0(VALU_DEP_4) | instskip(NEXT) | instid1(VALU_DEP_4)
	v_fmac_f32_e32 v5, v9, v0
	v_dual_fmac_f32 v6, v10, v0 :: v_dual_lshlrev_b32 v11, 1, v1
	s_delay_alu instid0(VALU_DEP_4) | instskip(NEXT) | instid1(VALU_DEP_4)
	v_fmac_f32_e32 v7, v9, v2
	v_fmac_f32_e32 v8, v10, v2
                                        ; implicit-def: $vgpr9
                                        ; implicit-def: $vgpr10
                                        ; implicit-def: $vgpr2
	s_delay_alu instid0(VALU_DEP_3) | instskip(NEXT) | instid1(VALU_DEP_1)
	v_ashrrev_i32_e32 v12, 31, v11
	v_lshlrev_b64 v[11:12], 3, v[11:12]
	s_delay_alu instid0(VALU_DEP_1) | instskip(NEXT) | instid1(VALU_DEP_2)
	v_add_co_u32 v0, vcc_lo, s2, v11
	v_add_co_ci_u32_e32 v1, vcc_lo, s3, v12, vcc_lo
                                        ; implicit-def: $vgpr11
                                        ; implicit-def: $vgpr12
	global_store_b128 v[0:1], v[5:8], off
                                        ; implicit-def: $vgpr1
                                        ; implicit-def: $vgpr0
.LBB169_27:
	s_and_not1_saveexec_b32 s0, s0
	s_cbranch_execz .LBB169_29
; %bb.28:
	v_lshlrev_b32_e32 v5, 1, v1
	v_mul_f32_e64 v15, v4, -v10
	v_mul_f32_e32 v1, v4, v9
	v_mul_f32_e64 v4, v3, -v10
	v_mul_f32_e32 v3, v3, v9
	s_delay_alu instid0(VALU_DEP_4) | instskip(NEXT) | instid1(VALU_DEP_3)
	v_fmac_f32_e32 v15, v9, v0
	v_fmac_f32_e32 v4, v9, v2
	v_ashrrev_i32_e32 v6, 31, v5
	s_delay_alu instid0(VALU_DEP_4) | instskip(NEXT) | instid1(VALU_DEP_2)
	v_fmac_f32_e32 v3, v10, v2
	v_lshlrev_b64 v[5:6], 3, v[5:6]
	s_delay_alu instid0(VALU_DEP_1) | instskip(NEXT) | instid1(VALU_DEP_2)
	v_add_co_u32 v13, vcc_lo, s2, v5
	v_add_co_ci_u32_e32 v14, vcc_lo, s3, v6, vcc_lo
	global_load_b128 v[5:8], v[13:14], off
	s_waitcnt vmcnt(0)
	v_dual_fmac_f32 v4, v11, v7 :: v_dual_fmac_f32 v1, v10, v0
	v_fmac_f32_e32 v15, v11, v5
	v_fmac_f32_e32 v3, v12, v7
	s_delay_alu instid0(VALU_DEP_3) | instskip(NEXT) | instid1(VALU_DEP_4)
	v_fma_f32 v2, -v12, v8, v4
	v_fmac_f32_e32 v1, v12, v5
	s_delay_alu instid0(VALU_DEP_4) | instskip(NEXT) | instid1(VALU_DEP_4)
	v_fma_f32 v0, -v12, v6, v15
	v_fmac_f32_e32 v3, v11, v8
	s_delay_alu instid0(VALU_DEP_3)
	v_fmac_f32_e32 v1, v11, v6
	global_store_b128 v[13:14], v[0:3], off
.LBB169_29:
	s_nop 0
	s_sendmsg sendmsg(MSG_DEALLOC_VGPRS)
	s_endpgm
	.section	.rodata,"a",@progbits
	.p2align	6, 0x0
	.amdhsa_kernel _ZN9rocsparseL19gebsrmvn_2xn_kernelILj128ELj5ELj16E21rocsparse_complex_numIfEEEvi20rocsparse_direction_NS_24const_host_device_scalarIT2_EEPKiS8_PKS5_SA_S6_PS5_21rocsparse_index_base_b
		.amdhsa_group_segment_fixed_size 0
		.amdhsa_private_segment_fixed_size 0
		.amdhsa_kernarg_size 72
		.amdhsa_user_sgpr_count 15
		.amdhsa_user_sgpr_dispatch_ptr 0
		.amdhsa_user_sgpr_queue_ptr 0
		.amdhsa_user_sgpr_kernarg_segment_ptr 1
		.amdhsa_user_sgpr_dispatch_id 0
		.amdhsa_user_sgpr_private_segment_size 0
		.amdhsa_wavefront_size32 1
		.amdhsa_uses_dynamic_stack 0
		.amdhsa_enable_private_segment 0
		.amdhsa_system_sgpr_workgroup_id_x 1
		.amdhsa_system_sgpr_workgroup_id_y 0
		.amdhsa_system_sgpr_workgroup_id_z 0
		.amdhsa_system_sgpr_workgroup_info 0
		.amdhsa_system_vgpr_workitem_id 0
		.amdhsa_next_free_vgpr 48
		.amdhsa_next_free_sgpr 16
		.amdhsa_reserve_vcc 1
		.amdhsa_float_round_mode_32 0
		.amdhsa_float_round_mode_16_64 0
		.amdhsa_float_denorm_mode_32 3
		.amdhsa_float_denorm_mode_16_64 3
		.amdhsa_dx10_clamp 1
		.amdhsa_ieee_mode 1
		.amdhsa_fp16_overflow 0
		.amdhsa_workgroup_processor_mode 1
		.amdhsa_memory_ordered 1
		.amdhsa_forward_progress 0
		.amdhsa_shared_vgpr_count 0
		.amdhsa_exception_fp_ieee_invalid_op 0
		.amdhsa_exception_fp_denorm_src 0
		.amdhsa_exception_fp_ieee_div_zero 0
		.amdhsa_exception_fp_ieee_overflow 0
		.amdhsa_exception_fp_ieee_underflow 0
		.amdhsa_exception_fp_ieee_inexact 0
		.amdhsa_exception_int_div_zero 0
	.end_amdhsa_kernel
	.section	.text._ZN9rocsparseL19gebsrmvn_2xn_kernelILj128ELj5ELj16E21rocsparse_complex_numIfEEEvi20rocsparse_direction_NS_24const_host_device_scalarIT2_EEPKiS8_PKS5_SA_S6_PS5_21rocsparse_index_base_b,"axG",@progbits,_ZN9rocsparseL19gebsrmvn_2xn_kernelILj128ELj5ELj16E21rocsparse_complex_numIfEEEvi20rocsparse_direction_NS_24const_host_device_scalarIT2_EEPKiS8_PKS5_SA_S6_PS5_21rocsparse_index_base_b,comdat
.Lfunc_end169:
	.size	_ZN9rocsparseL19gebsrmvn_2xn_kernelILj128ELj5ELj16E21rocsparse_complex_numIfEEEvi20rocsparse_direction_NS_24const_host_device_scalarIT2_EEPKiS8_PKS5_SA_S6_PS5_21rocsparse_index_base_b, .Lfunc_end169-_ZN9rocsparseL19gebsrmvn_2xn_kernelILj128ELj5ELj16E21rocsparse_complex_numIfEEEvi20rocsparse_direction_NS_24const_host_device_scalarIT2_EEPKiS8_PKS5_SA_S6_PS5_21rocsparse_index_base_b
                                        ; -- End function
	.section	.AMDGPU.csdata,"",@progbits
; Kernel info:
; codeLenInByte = 2768
; NumSgprs: 18
; NumVgprs: 48
; ScratchSize: 0
; MemoryBound: 0
; FloatMode: 240
; IeeeMode: 1
; LDSByteSize: 0 bytes/workgroup (compile time only)
; SGPRBlocks: 2
; VGPRBlocks: 5
; NumSGPRsForWavesPerEU: 18
; NumVGPRsForWavesPerEU: 48
; Occupancy: 16
; WaveLimiterHint : 1
; COMPUTE_PGM_RSRC2:SCRATCH_EN: 0
; COMPUTE_PGM_RSRC2:USER_SGPR: 15
; COMPUTE_PGM_RSRC2:TRAP_HANDLER: 0
; COMPUTE_PGM_RSRC2:TGID_X_EN: 1
; COMPUTE_PGM_RSRC2:TGID_Y_EN: 0
; COMPUTE_PGM_RSRC2:TGID_Z_EN: 0
; COMPUTE_PGM_RSRC2:TIDIG_COMP_CNT: 0
	.section	.text._ZN9rocsparseL19gebsrmvn_2xn_kernelILj128ELj5ELj32E21rocsparse_complex_numIfEEEvi20rocsparse_direction_NS_24const_host_device_scalarIT2_EEPKiS8_PKS5_SA_S6_PS5_21rocsparse_index_base_b,"axG",@progbits,_ZN9rocsparseL19gebsrmvn_2xn_kernelILj128ELj5ELj32E21rocsparse_complex_numIfEEEvi20rocsparse_direction_NS_24const_host_device_scalarIT2_EEPKiS8_PKS5_SA_S6_PS5_21rocsparse_index_base_b,comdat
	.globl	_ZN9rocsparseL19gebsrmvn_2xn_kernelILj128ELj5ELj32E21rocsparse_complex_numIfEEEvi20rocsparse_direction_NS_24const_host_device_scalarIT2_EEPKiS8_PKS5_SA_S6_PS5_21rocsparse_index_base_b ; -- Begin function _ZN9rocsparseL19gebsrmvn_2xn_kernelILj128ELj5ELj32E21rocsparse_complex_numIfEEEvi20rocsparse_direction_NS_24const_host_device_scalarIT2_EEPKiS8_PKS5_SA_S6_PS5_21rocsparse_index_base_b
	.p2align	8
	.type	_ZN9rocsparseL19gebsrmvn_2xn_kernelILj128ELj5ELj32E21rocsparse_complex_numIfEEEvi20rocsparse_direction_NS_24const_host_device_scalarIT2_EEPKiS8_PKS5_SA_S6_PS5_21rocsparse_index_base_b,@function
_ZN9rocsparseL19gebsrmvn_2xn_kernelILj128ELj5ELj32E21rocsparse_complex_numIfEEEvi20rocsparse_direction_NS_24const_host_device_scalarIT2_EEPKiS8_PKS5_SA_S6_PS5_21rocsparse_index_base_b: ; @_ZN9rocsparseL19gebsrmvn_2xn_kernelILj128ELj5ELj32E21rocsparse_complex_numIfEEEvi20rocsparse_direction_NS_24const_host_device_scalarIT2_EEPKiS8_PKS5_SA_S6_PS5_21rocsparse_index_base_b
; %bb.0:
	s_clause 0x2
	s_load_b64 s[12:13], s[0:1], 0x40
	s_load_b64 s[4:5], s[0:1], 0x8
	s_load_b64 s[2:3], s[0:1], 0x30
	s_waitcnt lgkmcnt(0)
	s_bitcmp1_b32 s13, 0
	v_mov_b32_e32 v9, s4
	s_cselect_b32 s6, -1, 0
	s_delay_alu instid0(SALU_CYCLE_1)
	s_and_b32 vcc_lo, exec_lo, s6
	s_xor_b32 s6, s6, -1
	s_cbranch_vccz .LBB170_15
; %bb.1:
	v_cndmask_b32_e64 v1, 0, 1, s6
	v_mov_b32_e32 v10, s5
	s_and_not1_b32 vcc_lo, exec_lo, s6
	s_cbranch_vccz .LBB170_16
.LBB170_2:
	s_delay_alu instid0(VALU_DEP_2)
	v_cmp_ne_u32_e32 vcc_lo, 1, v1
	v_mov_b32_e32 v11, s2
	s_cbranch_vccz .LBB170_17
.LBB170_3:
	v_cmp_ne_u32_e32 vcc_lo, 1, v1
	v_mov_b32_e32 v12, s3
	s_cbranch_vccnz .LBB170_5
.LBB170_4:
	v_dual_mov_b32 v1, s2 :: v_dual_mov_b32 v2, s3
	flat_load_b32 v12, v[1:2] offset:4
.LBB170_5:
	s_waitcnt vmcnt(0) lgkmcnt(0)
	v_cmp_eq_f32_e32 vcc_lo, 0, v9
	v_cmp_eq_f32_e64 s2, 0, v10
	s_delay_alu instid0(VALU_DEP_1)
	s_and_b32 s4, vcc_lo, s2
	s_mov_b32 s2, -1
	s_and_saveexec_b32 s3, s4
; %bb.6:
	v_cmp_neq_f32_e32 vcc_lo, 1.0, v11
	v_cmp_neq_f32_e64 s2, 0, v12
	s_delay_alu instid0(VALU_DEP_1) | instskip(NEXT) | instid1(SALU_CYCLE_1)
	s_or_b32 s2, vcc_lo, s2
	s_or_not1_b32 s2, s2, exec_lo
; %bb.7:
	s_or_b32 exec_lo, exec_lo, s3
	s_and_saveexec_b32 s3, s2
	s_cbranch_execz .LBB170_29
; %bb.8:
	s_load_b64 s[2:3], s[0:1], 0x0
	v_lshrrev_b32_e32 v1, 5, v0
	s_delay_alu instid0(VALU_DEP_1) | instskip(SKIP_1) | instid1(VALU_DEP_1)
	v_lshl_or_b32 v1, s15, 2, v1
	s_waitcnt lgkmcnt(0)
	v_cmp_gt_i32_e32 vcc_lo, s2, v1
	s_and_b32 exec_lo, exec_lo, vcc_lo
	s_cbranch_execz .LBB170_29
; %bb.9:
	s_load_b256 s[4:11], s[0:1], 0x10
	v_ashrrev_i32_e32 v2, 31, v1
	v_and_b32_e32 v0, 31, v0
	s_cmp_lg_u32 s3, 0
	s_delay_alu instid0(VALU_DEP_2) | instskip(SKIP_1) | instid1(VALU_DEP_1)
	v_lshlrev_b64 v[2:3], 2, v[1:2]
	s_waitcnt lgkmcnt(0)
	v_add_co_u32 v2, vcc_lo, s4, v2
	s_delay_alu instid0(VALU_DEP_2) | instskip(SKIP_4) | instid1(VALU_DEP_2)
	v_add_co_ci_u32_e32 v3, vcc_lo, s5, v3, vcc_lo
	global_load_b64 v[2:3], v[2:3], off
	s_waitcnt vmcnt(0)
	v_subrev_nc_u32_e32 v2, s12, v2
	v_subrev_nc_u32_e32 v15, s12, v3
	v_add_nc_u32_e32 v2, v2, v0
	s_delay_alu instid0(VALU_DEP_1)
	v_cmp_lt_i32_e64 s2, v2, v15
	s_cbranch_scc0 .LBB170_18
; %bb.10:
	v_dual_mov_b32 v13, 0 :: v_dual_mov_b32 v16, 0
	v_dual_mov_b32 v17, 0 :: v_dual_mov_b32 v14, 0
	s_mov_b32 s3, 0
	s_and_saveexec_b32 s4, s2
	s_cbranch_execz .LBB170_14
; %bb.11:
	v_mad_u64_u32 v[3:4], null, v2, 10, 8
	v_dual_mov_b32 v6, 0 :: v_dual_mov_b32 v7, v2
	v_dual_mov_b32 v13, 0 :: v_dual_mov_b32 v16, 0
	;; [unrolled: 1-line block ×3, first 2 shown]
	s_mov_b32 s5, 0
.LBB170_12:                             ; =>This Inner Loop Header: Depth=1
	s_delay_alu instid0(VALU_DEP_3) | instskip(NEXT) | instid1(VALU_DEP_1)
	v_ashrrev_i32_e32 v8, 31, v7
	v_lshlrev_b64 v[4:5], 2, v[7:8]
	s_delay_alu instid0(VALU_DEP_1) | instskip(NEXT) | instid1(VALU_DEP_2)
	v_add_co_u32 v4, vcc_lo, s6, v4
	v_add_co_ci_u32_e32 v5, vcc_lo, s7, v5, vcc_lo
	global_load_b32 v8, v[4:5], off
	v_dual_mov_b32 v4, v6 :: v_dual_add_nc_u32 v5, -8, v3
	s_delay_alu instid0(VALU_DEP_1) | instskip(SKIP_1) | instid1(VALU_DEP_3)
	v_lshlrev_b64 v[18:19], 3, v[5:6]
	v_add_nc_u32_e32 v5, -6, v3
	v_lshlrev_b64 v[20:21], 3, v[3:4]
	s_delay_alu instid0(VALU_DEP_2) | instskip(NEXT) | instid1(VALU_DEP_4)
	v_lshlrev_b64 v[4:5], 3, v[5:6]
	v_add_co_u32 v18, vcc_lo, s8, v18
	v_add_co_ci_u32_e32 v19, vcc_lo, s9, v19, vcc_lo
	s_delay_alu instid0(VALU_DEP_4)
	v_add_co_u32 v34, vcc_lo, s8, v20
	v_add_co_ci_u32_e32 v35, vcc_lo, s9, v21, vcc_lo
	v_add_co_u32 v4, vcc_lo, s8, v4
	v_add_co_ci_u32_e32 v5, vcc_lo, s9, v5, vcc_lo
	s_clause 0x1
	global_load_b128 v[18:21], v[18:19], off
	global_load_b128 v[22:25], v[4:5], off
	v_mov_b32_e32 v31, v6
	s_waitcnt vmcnt(2)
	v_subrev_nc_u32_e32 v4, s12, v8
	s_delay_alu instid0(VALU_DEP_1) | instskip(NEXT) | instid1(VALU_DEP_1)
	v_lshl_add_u32 v30, v4, 2, v4
	v_lshlrev_b64 v[26:27], 3, v[30:31]
	s_delay_alu instid0(VALU_DEP_1) | instskip(NEXT) | instid1(VALU_DEP_2)
	v_add_co_u32 v26, vcc_lo, s10, v26
	v_add_co_ci_u32_e32 v27, vcc_lo, s11, v27, vcc_lo
	global_load_b64 v[38:39], v[26:27], off
	v_add_nc_u32_e32 v5, 1, v30
	s_delay_alu instid0(VALU_DEP_1) | instskip(NEXT) | instid1(VALU_DEP_1)
	v_lshlrev_b64 v[28:29], 3, v[5:6]
	v_add_co_u32 v28, vcc_lo, s10, v28
	s_delay_alu instid0(VALU_DEP_2)
	v_add_co_ci_u32_e32 v29, vcc_lo, s11, v29, vcc_lo
	global_load_b64 v[40:41], v[28:29], off
	s_waitcnt vmcnt(1)
	v_fmac_f32_e32 v16, v18, v38
	v_fmac_f32_e32 v17, v20, v38
	;; [unrolled: 1-line block ×3, first 2 shown]
	s_delay_alu instid0(VALU_DEP_3) | instskip(SKIP_1) | instid1(VALU_DEP_4)
	v_fma_f32 v8, -v19, v39, v16
	v_add_nc_u32_e32 v5, -4, v3
	v_fma_f32 v16, -v21, v39, v17
	s_delay_alu instid0(VALU_DEP_4)
	v_fmac_f32_e32 v14, v20, v39
	s_waitcnt vmcnt(0)
	v_fmac_f32_e32 v8, v22, v40
	v_lshlrev_b64 v[31:32], 3, v[5:6]
	v_dual_fmac_f32 v16, v24, v40 :: v_dual_add_nc_u32 v5, 2, v30
	v_fmac_f32_e32 v14, v25, v40
	s_delay_alu instid0(VALU_DEP_4) | instskip(NEXT) | instid1(VALU_DEP_3)
	v_fma_f32 v8, -v23, v41, v8
	v_lshlrev_b64 v[26:27], 3, v[5:6]
	v_add_co_u32 v28, vcc_lo, s8, v31
	v_add_co_ci_u32_e32 v29, vcc_lo, s9, v32, vcc_lo
	v_add_nc_u32_e32 v5, -2, v3
	s_delay_alu instid0(VALU_DEP_4)
	v_add_co_u32 v36, vcc_lo, s10, v26
	v_add_co_ci_u32_e32 v37, vcc_lo, s11, v27, vcc_lo
	global_load_b128 v[26:29], v[28:29], off
	v_lshlrev_b64 v[31:32], 3, v[5:6]
	v_dual_fmac_f32 v14, v24, v41 :: v_dual_add_nc_u32 v5, 3, v30
	global_load_b64 v[44:45], v[36:37], off
	v_fma_f32 v16, -v25, v41, v16
	v_fmac_f32_e32 v13, v19, v38
	v_lshlrev_b64 v[42:43], 3, v[5:6]
	v_add_nc_u32_e32 v5, 4, v30
	v_add_co_u32 v30, vcc_lo, s8, v31
	v_add_co_ci_u32_e32 v31, vcc_lo, s9, v32, vcc_lo
	s_delay_alu instid0(VALU_DEP_4)
	v_add_co_u32 v36, vcc_lo, s10, v42
	v_add_co_ci_u32_e32 v37, vcc_lo, s11, v43, vcc_lo
	global_load_b128 v[30:33], v[30:31], off
	global_load_b64 v[42:43], v[36:37], off
	s_waitcnt vmcnt(2)
	v_dual_fmac_f32 v8, v26, v44 :: v_dual_add_nc_u32 v3, 0x140, v3
	v_lshlrev_b64 v[4:5], 3, v[5:6]
	v_fmac_f32_e32 v16, v28, v44
	v_dual_fmac_f32 v14, v29, v44 :: v_dual_fmac_f32 v13, v18, v39
	s_delay_alu instid0(VALU_DEP_4) | instskip(NEXT) | instid1(VALU_DEP_4)
	v_fma_f32 v8, -v27, v45, v8
	v_add_co_u32 v4, vcc_lo, s10, v4
	s_delay_alu instid0(VALU_DEP_3)
	v_fmac_f32_e32 v14, v28, v45
	v_add_co_ci_u32_e32 v5, vcc_lo, s11, v5, vcc_lo
	global_load_b128 v[34:37], v[34:35], off
	global_load_b64 v[4:5], v[4:5], off
	s_waitcnt vmcnt(2)
	v_dual_fmac_f32 v13, v23, v40 :: v_dual_fmac_f32 v8, v30, v42
	v_fma_f32 v16, -v29, v45, v16
	s_delay_alu instid0(VALU_DEP_2) | instskip(NEXT) | instid1(VALU_DEP_3)
	v_dual_fmac_f32 v14, v33, v42 :: v_dual_fmac_f32 v13, v22, v41
	v_fma_f32 v8, -v31, v43, v8
	s_delay_alu instid0(VALU_DEP_3) | instskip(NEXT) | instid1(VALU_DEP_3)
	v_fmac_f32_e32 v16, v32, v42
	v_fmac_f32_e32 v14, v32, v43
	v_add_nc_u32_e32 v7, 32, v7
	v_fmac_f32_e32 v13, v27, v44
	s_delay_alu instid0(VALU_DEP_4) | instskip(NEXT) | instid1(VALU_DEP_2)
	v_fma_f32 v17, -v33, v43, v16
	v_fmac_f32_e32 v13, v26, v45
	s_waitcnt vmcnt(0)
	s_delay_alu instid0(VALU_DEP_1) | instskip(NEXT) | instid1(VALU_DEP_1)
	v_dual_fmac_f32 v13, v31, v42 :: v_dual_fmac_f32 v8, v34, v4
	v_dual_fmac_f32 v14, v37, v4 :: v_dual_fmac_f32 v13, v30, v43
	v_fmac_f32_e32 v17, v36, v4
	v_cmp_ge_i32_e32 vcc_lo, v7, v15
	s_delay_alu instid0(VALU_DEP_4) | instskip(NEXT) | instid1(VALU_DEP_4)
	v_fma_f32 v16, -v35, v5, v8
	v_dual_fmac_f32 v14, v36, v5 :: v_dual_fmac_f32 v13, v35, v4
	s_delay_alu instid0(VALU_DEP_4) | instskip(SKIP_1) | instid1(VALU_DEP_2)
	v_fma_f32 v17, -v37, v5, v17
	s_or_b32 s5, vcc_lo, s5
	v_fmac_f32_e32 v13, v34, v5
	s_and_not1_b32 exec_lo, exec_lo, s5
	s_cbranch_execnz .LBB170_12
; %bb.13:
	s_or_b32 exec_lo, exec_lo, s5
.LBB170_14:
	s_delay_alu instid0(SALU_CYCLE_1) | instskip(NEXT) | instid1(SALU_CYCLE_1)
	s_or_b32 exec_lo, exec_lo, s4
	s_and_not1_b32 vcc_lo, exec_lo, s3
	s_cbranch_vccz .LBB170_19
	s_branch .LBB170_24
.LBB170_15:
	v_dual_mov_b32 v1, s4 :: v_dual_mov_b32 v2, s5
	flat_load_b32 v9, v[1:2]
	v_cndmask_b32_e64 v1, 0, 1, s6
	v_mov_b32_e32 v10, s5
	s_and_not1_b32 vcc_lo, exec_lo, s6
	s_cbranch_vccnz .LBB170_2
.LBB170_16:
	v_dual_mov_b32 v2, s4 :: v_dual_mov_b32 v3, s5
	flat_load_b32 v10, v[2:3] offset:4
	v_cmp_ne_u32_e32 vcc_lo, 1, v1
	v_mov_b32_e32 v11, s2
	s_cbranch_vccnz .LBB170_3
.LBB170_17:
	v_dual_mov_b32 v2, s2 :: v_dual_mov_b32 v3, s3
	flat_load_b32 v11, v[2:3]
	v_cmp_ne_u32_e32 vcc_lo, 1, v1
	v_mov_b32_e32 v12, s3
	s_cbranch_vccz .LBB170_4
	s_branch .LBB170_5
.LBB170_18:
                                        ; implicit-def: $vgpr13
                                        ; implicit-def: $vgpr16
                                        ; implicit-def: $vgpr17
                                        ; implicit-def: $vgpr14
.LBB170_19:
	v_dual_mov_b32 v13, 0 :: v_dual_mov_b32 v16, 0
	v_dual_mov_b32 v17, 0 :: v_dual_mov_b32 v14, 0
	s_delay_alu instid0(VALU_DEP_3)
	s_and_saveexec_b32 s3, s2
	s_cbranch_execz .LBB170_23
; %bb.20:
	v_mad_u64_u32 v[4:5], null, v2, 10, 9
	v_dual_mov_b32 v7, 0 :: v_dual_mov_b32 v16, 0
	v_dual_mov_b32 v13, 0 :: v_dual_mov_b32 v14, 0
	v_mov_b32_e32 v17, 0
	s_mov_b32 s2, 0
.LBB170_21:                             ; =>This Inner Loop Header: Depth=1
	v_ashrrev_i32_e32 v3, 31, v2
	v_dual_mov_b32 v19, v7 :: v_dual_add_nc_u32 v18, -4, v4
	v_mov_b32_e32 v23, v7
	s_delay_alu instid0(VALU_DEP_3) | instskip(SKIP_1) | instid1(VALU_DEP_4)
	v_lshlrev_b64 v[5:6], 2, v[2:3]
	v_add_nc_u32_e32 v2, 32, v2
	v_lshlrev_b64 v[18:19], 3, v[18:19]
	s_delay_alu instid0(VALU_DEP_3) | instskip(NEXT) | instid1(VALU_DEP_4)
	v_add_co_u32 v5, vcc_lo, s6, v5
	v_add_co_ci_u32_e32 v6, vcc_lo, s7, v6, vcc_lo
	global_load_b32 v3, v[5:6], off
	v_add_nc_u32_e32 v6, -9, v4
	s_delay_alu instid0(VALU_DEP_1) | instskip(NEXT) | instid1(VALU_DEP_1)
	v_lshlrev_b64 v[20:21], 3, v[6:7]
	v_add_co_u32 v20, vcc_lo, s8, v20
	s_delay_alu instid0(VALU_DEP_2) | instskip(SKIP_4) | instid1(VALU_DEP_1)
	v_add_co_ci_u32_e32 v21, vcc_lo, s9, v21, vcc_lo
	v_add_co_u32 v24, vcc_lo, s8, v18
	v_add_co_ci_u32_e32 v25, vcc_lo, s9, v19, vcc_lo
	s_waitcnt vmcnt(0)
	v_subrev_nc_u32_e32 v3, s12, v3
	v_lshl_add_u32 v22, v3, 2, v3
	v_mov_b32_e32 v5, v7
	s_delay_alu instid0(VALU_DEP_2) | instskip(NEXT) | instid1(VALU_DEP_2)
	v_lshlrev_b64 v[28:29], 3, v[22:23]
	v_lshlrev_b64 v[5:6], 3, v[4:5]
	s_delay_alu instid0(VALU_DEP_1) | instskip(NEXT) | instid1(VALU_DEP_2)
	v_add_co_u32 v5, vcc_lo, s8, v5
	v_add_co_ci_u32_e32 v6, vcc_lo, s9, v6, vcc_lo
	s_delay_alu instid0(VALU_DEP_4)
	v_add_co_u32 v28, vcc_lo, s10, v28
	v_add_co_ci_u32_e32 v29, vcc_lo, s11, v29, vcc_lo
	s_clause 0x2
	global_load_b128 v[18:21], v[20:21], off
	global_load_b64 v[24:25], v[24:25], off
	global_load_b64 v[26:27], v[5:6], off
	v_add_nc_u32_e32 v6, 1, v22
	global_load_b64 v[28:29], v[28:29], off
	v_lshlrev_b64 v[30:31], 3, v[6:7]
	s_delay_alu instid0(VALU_DEP_1) | instskip(NEXT) | instid1(VALU_DEP_2)
	v_add_co_u32 v30, vcc_lo, s10, v30
	v_add_co_ci_u32_e32 v31, vcc_lo, s11, v31, vcc_lo
	global_load_b64 v[30:31], v[30:31], off
	s_waitcnt vmcnt(1)
	v_fmac_f32_e32 v14, v25, v28
	v_fmac_f32_e32 v16, v18, v28
	;; [unrolled: 1-line block ×4, first 2 shown]
	s_delay_alu instid0(VALU_DEP_4) | instskip(NEXT) | instid1(VALU_DEP_3)
	v_fmac_f32_e32 v14, v24, v29
	v_dual_fmac_f32 v13, v18, v29 :: v_dual_add_nc_u32 v6, -3, v4
	v_fma_f32 v3, -v19, v29, v16
	s_delay_alu instid0(VALU_DEP_4) | instskip(NEXT) | instid1(VALU_DEP_3)
	v_fma_f32 v8, -v25, v29, v17
	v_lshlrev_b64 v[32:33], 3, v[6:7]
	s_waitcnt vmcnt(0)
	s_delay_alu instid0(VALU_DEP_3) | instskip(NEXT) | instid1(VALU_DEP_1)
	v_dual_fmac_f32 v3, v20, v30 :: v_dual_add_nc_u32 v6, -7, v4
	v_lshlrev_b64 v[34:35], 3, v[6:7]
	v_add_nc_u32_e32 v6, 2, v22
	s_delay_alu instid0(VALU_DEP_4) | instskip(SKIP_1) | instid1(VALU_DEP_3)
	v_add_co_u32 v32, vcc_lo, s8, v32
	v_add_co_ci_u32_e32 v33, vcc_lo, s9, v33, vcc_lo
	v_lshlrev_b64 v[36:37], 3, v[6:7]
	v_add_co_u32 v34, vcc_lo, s8, v34
	v_add_co_ci_u32_e32 v35, vcc_lo, s9, v35, vcc_lo
	global_load_b64 v[32:33], v[32:33], off
	v_add_co_u32 v36, vcc_lo, s10, v36
	global_load_b64 v[34:35], v[34:35], off
	v_add_co_ci_u32_e32 v37, vcc_lo, s11, v37, vcc_lo
	v_dual_fmac_f32 v13, v21, v30 :: v_dual_add_nc_u32 v6, -2, v4
	v_fma_f32 v3, -v21, v31, v3
	global_load_b64 v[36:37], v[36:37], off
	v_lshlrev_b64 v[38:39], 3, v[6:7]
	v_dual_fmac_f32 v13, v20, v31 :: v_dual_add_nc_u32 v6, -6, v4
	s_delay_alu instid0(VALU_DEP_1) | instskip(SKIP_1) | instid1(VALU_DEP_4)
	v_lshlrev_b64 v[40:41], 3, v[6:7]
	v_add_nc_u32_e32 v6, 3, v22
	v_add_co_u32 v38, vcc_lo, s8, v38
	v_add_co_ci_u32_e32 v39, vcc_lo, s9, v39, vcc_lo
	s_delay_alu instid0(VALU_DEP_4)
	v_add_co_u32 v40, vcc_lo, s8, v40
	v_add_co_ci_u32_e32 v41, vcc_lo, s9, v41, vcc_lo
	s_clause 0x1
	global_load_b64 v[38:39], v[38:39], off
	global_load_b64 v[40:41], v[40:41], off
	s_waitcnt vmcnt(4)
	v_fmac_f32_e32 v8, v32, v30
	s_waitcnt vmcnt(2)
	v_dual_fmac_f32 v14, v33, v30 :: v_dual_fmac_f32 v13, v35, v36
	v_fmac_f32_e32 v3, v34, v36
	v_lshlrev_b64 v[42:43], 3, v[6:7]
	v_add_nc_u32_e32 v6, -1, v4
	v_fma_f32 v8, -v33, v31, v8
	v_fmac_f32_e32 v13, v34, v37
	v_fma_f32 v3, -v35, v37, v3
	v_add_co_u32 v42, vcc_lo, s10, v42
	v_add_co_ci_u32_e32 v43, vcc_lo, s11, v43, vcc_lo
	v_lshlrev_b64 v[44:45], 3, v[6:7]
	global_load_b64 v[42:43], v[42:43], off
	v_add_nc_u32_e32 v6, -5, v4
	s_waitcnt vmcnt(0)
	v_dual_fmac_f32 v3, v40, v42 :: v_dual_add_nc_u32 v4, 0x140, v4
	s_delay_alu instid0(VALU_DEP_2) | instskip(SKIP_4) | instid1(VALU_DEP_4)
	v_lshlrev_b64 v[46:47], 3, v[6:7]
	v_fmac_f32_e32 v13, v41, v42
	v_add_nc_u32_e32 v6, 4, v22
	v_add_co_u32 v22, vcc_lo, s8, v44
	v_add_co_ci_u32_e32 v23, vcc_lo, s9, v45, vcc_lo
	v_fmac_f32_e32 v13, v40, v43
	s_delay_alu instid0(VALU_DEP_4)
	v_lshlrev_b64 v[5:6], 3, v[6:7]
	v_add_co_u32 v44, vcc_lo, s8, v46
	v_add_co_ci_u32_e32 v45, vcc_lo, s9, v47, vcc_lo
	global_load_b64 v[22:23], v[22:23], off
	v_add_co_u32 v5, vcc_lo, s10, v5
	v_add_co_ci_u32_e32 v6, vcc_lo, s11, v6, vcc_lo
	global_load_b64 v[44:45], v[44:45], off
	global_load_b64 v[5:6], v[5:6], off
	v_fmac_f32_e32 v14, v32, v31
	v_fma_f32 v3, -v41, v43, v3
	v_cmp_ge_i32_e32 vcc_lo, v2, v15
	s_or_b32 s2, vcc_lo, s2
	s_waitcnt vmcnt(0)
	v_dual_fmac_f32 v13, v45, v5 :: v_dual_fmac_f32 v8, v38, v36
	v_dual_fmac_f32 v14, v39, v36 :: v_dual_fmac_f32 v3, v44, v5
	s_delay_alu instid0(VALU_DEP_2) | instskip(NEXT) | instid1(VALU_DEP_3)
	v_fmac_f32_e32 v13, v44, v6
	v_fma_f32 v8, -v39, v37, v8
	s_delay_alu instid0(VALU_DEP_3) | instskip(NEXT) | instid1(VALU_DEP_4)
	v_fmac_f32_e32 v14, v38, v37
	v_fma_f32 v16, -v45, v6, v3
	s_delay_alu instid0(VALU_DEP_3) | instskip(NEXT) | instid1(VALU_DEP_3)
	v_fmac_f32_e32 v8, v22, v42
	v_fmac_f32_e32 v14, v23, v42
	s_delay_alu instid0(VALU_DEP_2) | instskip(NEXT) | instid1(VALU_DEP_2)
	v_fma_f32 v8, -v23, v43, v8
	v_fmac_f32_e32 v14, v22, v43
	s_delay_alu instid0(VALU_DEP_2) | instskip(NEXT) | instid1(VALU_DEP_2)
	v_fmac_f32_e32 v8, v26, v5
	v_fmac_f32_e32 v14, v27, v5
	s_delay_alu instid0(VALU_DEP_2) | instskip(NEXT) | instid1(VALU_DEP_2)
	v_fma_f32 v17, -v27, v6, v8
	v_fmac_f32_e32 v14, v26, v6
	s_and_not1_b32 exec_lo, exec_lo, s2
	s_cbranch_execnz .LBB170_21
; %bb.22:
	s_or_b32 exec_lo, exec_lo, s2
.LBB170_23:
	s_delay_alu instid0(SALU_CYCLE_1)
	s_or_b32 exec_lo, exec_lo, s3
.LBB170_24:
	v_mbcnt_lo_u32_b32 v2, -1, 0
	s_delay_alu instid0(VALU_DEP_1) | instskip(SKIP_2) | instid1(VALU_DEP_3)
	v_xor_b32_e32 v3, 16, v2
	v_xor_b32_e32 v7, 8, v2
	;; [unrolled: 1-line block ×3, first 2 shown]
	v_cmp_gt_i32_e32 vcc_lo, 32, v3
	v_cndmask_b32_e32 v3, v2, v3, vcc_lo
	s_delay_alu instid0(VALU_DEP_4) | instskip(NEXT) | instid1(VALU_DEP_2)
	v_cmp_gt_i32_e32 vcc_lo, 32, v7
	v_lshlrev_b32_e32 v3, 2, v3
	ds_bpermute_b32 v6, v3, v17
	s_waitcnt lgkmcnt(0)
	v_add_f32_e32 v6, v17, v6
	ds_bpermute_b32 v4, v3, v16
	ds_bpermute_b32 v5, v3, v13
	;; [unrolled: 1-line block ×3, first 2 shown]
	s_waitcnt lgkmcnt(2)
	v_dual_add_f32 v4, v16, v4 :: v_dual_cndmask_b32 v7, v2, v7
	s_waitcnt lgkmcnt(0)
	v_add_f32_e32 v3, v14, v3
	v_cmp_gt_i32_e32 vcc_lo, 32, v15
	s_delay_alu instid0(VALU_DEP_3)
	v_lshlrev_b32_e32 v7, 2, v7
	v_cndmask_b32_e32 v15, v2, v15, vcc_lo
	ds_bpermute_b32 v14, v7, v6
	s_waitcnt lgkmcnt(0)
	v_add_f32_e32 v6, v6, v14
	ds_bpermute_b32 v8, v7, v4
	s_waitcnt lgkmcnt(0)
	v_dual_add_f32 v4, v4, v8 :: v_dual_lshlrev_b32 v15, 2, v15
	v_add_f32_e32 v5, v13, v5
	ds_bpermute_b32 v13, v7, v5
	ds_bpermute_b32 v7, v7, v3
	s_waitcnt lgkmcnt(0)
	v_add_f32_e32 v3, v3, v7
	ds_bpermute_b32 v7, v15, v4
	s_waitcnt lgkmcnt(0)
	v_dual_add_f32 v4, v4, v7 :: v_dual_add_f32 v5, v5, v13
	ds_bpermute_b32 v13, v15, v6
	s_waitcnt lgkmcnt(0)
	v_add_f32_e32 v6, v6, v13
	ds_bpermute_b32 v8, v15, v5
	ds_bpermute_b32 v14, v15, v3
	v_xor_b32_e32 v15, 2, v2
	s_delay_alu instid0(VALU_DEP_1) | instskip(SKIP_1) | instid1(VALU_DEP_1)
	v_cmp_gt_i32_e32 vcc_lo, 32, v15
	v_cndmask_b32_e32 v15, v2, v15, vcc_lo
	v_lshlrev_b32_e32 v15, 2, v15
	s_waitcnt lgkmcnt(0)
	v_add_f32_e32 v3, v3, v14
	ds_bpermute_b32 v7, v15, v4
	v_add_f32_e32 v5, v5, v8
	ds_bpermute_b32 v13, v15, v6
	ds_bpermute_b32 v14, v15, v3
	s_waitcnt lgkmcnt(2)
	v_add_f32_e32 v4, v4, v7
	ds_bpermute_b32 v8, v15, v5
	v_xor_b32_e32 v15, 1, v2
	s_waitcnt lgkmcnt(1)
	v_add_f32_e32 v3, v3, v14
	s_delay_alu instid0(VALU_DEP_2) | instskip(SKIP_2) | instid1(VALU_DEP_2)
	v_cmp_gt_i32_e32 vcc_lo, 32, v15
	v_cndmask_b32_e32 v2, v2, v15, vcc_lo
	v_cmp_eq_u32_e32 vcc_lo, 31, v0
	v_dual_add_f32 v2, v6, v13 :: v_dual_lshlrev_b32 v15, 2, v2
	s_waitcnt lgkmcnt(0)
	v_add_f32_e32 v5, v5, v8
	ds_bpermute_b32 v8, v15, v4
	ds_bpermute_b32 v6, v15, v2
	;; [unrolled: 1-line block ×4, first 2 shown]
	s_and_b32 exec_lo, exec_lo, vcc_lo
	s_cbranch_execz .LBB170_29
; %bb.25:
	s_load_b64 s[2:3], s[0:1], 0x38
	v_cmp_eq_f32_e32 vcc_lo, 0, v11
	v_cmp_eq_f32_e64 s0, 0, v12
	s_waitcnt lgkmcnt(0)
	v_dual_add_f32 v0, v4, v8 :: v_dual_add_f32 v3, v3, v7
	v_add_f32_e32 v4, v5, v13
	v_add_f32_e32 v2, v2, v6
	s_and_b32 s0, vcc_lo, s0
	s_delay_alu instid0(SALU_CYCLE_1) | instskip(NEXT) | instid1(SALU_CYCLE_1)
	s_and_saveexec_b32 s1, s0
	s_xor_b32 s0, exec_lo, s1
	s_cbranch_execz .LBB170_27
; %bb.26:
	v_mul_f32_e64 v5, v4, -v10
	v_mul_f32_e32 v6, v4, v9
	v_mul_f32_e64 v7, v3, -v10
	v_mul_f32_e32 v8, v3, v9
                                        ; implicit-def: $vgpr4
                                        ; implicit-def: $vgpr3
	s_delay_alu instid0(VALU_DEP_4) | instskip(NEXT) | instid1(VALU_DEP_4)
	v_fmac_f32_e32 v5, v9, v0
	v_dual_fmac_f32 v6, v10, v0 :: v_dual_lshlrev_b32 v11, 1, v1
	s_delay_alu instid0(VALU_DEP_4) | instskip(NEXT) | instid1(VALU_DEP_4)
	v_fmac_f32_e32 v7, v9, v2
	v_fmac_f32_e32 v8, v10, v2
                                        ; implicit-def: $vgpr9
                                        ; implicit-def: $vgpr10
                                        ; implicit-def: $vgpr2
	s_delay_alu instid0(VALU_DEP_3) | instskip(NEXT) | instid1(VALU_DEP_1)
	v_ashrrev_i32_e32 v12, 31, v11
	v_lshlrev_b64 v[11:12], 3, v[11:12]
	s_delay_alu instid0(VALU_DEP_1) | instskip(NEXT) | instid1(VALU_DEP_2)
	v_add_co_u32 v0, vcc_lo, s2, v11
	v_add_co_ci_u32_e32 v1, vcc_lo, s3, v12, vcc_lo
                                        ; implicit-def: $vgpr11
                                        ; implicit-def: $vgpr12
	global_store_b128 v[0:1], v[5:8], off
                                        ; implicit-def: $vgpr1
                                        ; implicit-def: $vgpr0
.LBB170_27:
	s_and_not1_saveexec_b32 s0, s0
	s_cbranch_execz .LBB170_29
; %bb.28:
	v_lshlrev_b32_e32 v5, 1, v1
	v_mul_f32_e64 v15, v4, -v10
	v_mul_f32_e32 v1, v4, v9
	v_mul_f32_e64 v4, v3, -v10
	v_mul_f32_e32 v3, v3, v9
	s_delay_alu instid0(VALU_DEP_4) | instskip(NEXT) | instid1(VALU_DEP_3)
	v_fmac_f32_e32 v15, v9, v0
	v_fmac_f32_e32 v4, v9, v2
	v_ashrrev_i32_e32 v6, 31, v5
	s_delay_alu instid0(VALU_DEP_4) | instskip(NEXT) | instid1(VALU_DEP_2)
	v_fmac_f32_e32 v3, v10, v2
	v_lshlrev_b64 v[5:6], 3, v[5:6]
	s_delay_alu instid0(VALU_DEP_1) | instskip(NEXT) | instid1(VALU_DEP_2)
	v_add_co_u32 v13, vcc_lo, s2, v5
	v_add_co_ci_u32_e32 v14, vcc_lo, s3, v6, vcc_lo
	global_load_b128 v[5:8], v[13:14], off
	s_waitcnt vmcnt(0)
	v_dual_fmac_f32 v4, v11, v7 :: v_dual_fmac_f32 v1, v10, v0
	v_fmac_f32_e32 v15, v11, v5
	v_fmac_f32_e32 v3, v12, v7
	s_delay_alu instid0(VALU_DEP_3) | instskip(NEXT) | instid1(VALU_DEP_4)
	v_fma_f32 v2, -v12, v8, v4
	v_fmac_f32_e32 v1, v12, v5
	s_delay_alu instid0(VALU_DEP_4) | instskip(NEXT) | instid1(VALU_DEP_4)
	v_fma_f32 v0, -v12, v6, v15
	v_fmac_f32_e32 v3, v11, v8
	s_delay_alu instid0(VALU_DEP_3)
	v_fmac_f32_e32 v1, v11, v6
	global_store_b128 v[13:14], v[0:3], off
.LBB170_29:
	s_nop 0
	s_sendmsg sendmsg(MSG_DEALLOC_VGPRS)
	s_endpgm
	.section	.rodata,"a",@progbits
	.p2align	6, 0x0
	.amdhsa_kernel _ZN9rocsparseL19gebsrmvn_2xn_kernelILj128ELj5ELj32E21rocsparse_complex_numIfEEEvi20rocsparse_direction_NS_24const_host_device_scalarIT2_EEPKiS8_PKS5_SA_S6_PS5_21rocsparse_index_base_b
		.amdhsa_group_segment_fixed_size 0
		.amdhsa_private_segment_fixed_size 0
		.amdhsa_kernarg_size 72
		.amdhsa_user_sgpr_count 15
		.amdhsa_user_sgpr_dispatch_ptr 0
		.amdhsa_user_sgpr_queue_ptr 0
		.amdhsa_user_sgpr_kernarg_segment_ptr 1
		.amdhsa_user_sgpr_dispatch_id 0
		.amdhsa_user_sgpr_private_segment_size 0
		.amdhsa_wavefront_size32 1
		.amdhsa_uses_dynamic_stack 0
		.amdhsa_enable_private_segment 0
		.amdhsa_system_sgpr_workgroup_id_x 1
		.amdhsa_system_sgpr_workgroup_id_y 0
		.amdhsa_system_sgpr_workgroup_id_z 0
		.amdhsa_system_sgpr_workgroup_info 0
		.amdhsa_system_vgpr_workitem_id 0
		.amdhsa_next_free_vgpr 48
		.amdhsa_next_free_sgpr 16
		.amdhsa_reserve_vcc 1
		.amdhsa_float_round_mode_32 0
		.amdhsa_float_round_mode_16_64 0
		.amdhsa_float_denorm_mode_32 3
		.amdhsa_float_denorm_mode_16_64 3
		.amdhsa_dx10_clamp 1
		.amdhsa_ieee_mode 1
		.amdhsa_fp16_overflow 0
		.amdhsa_workgroup_processor_mode 1
		.amdhsa_memory_ordered 1
		.amdhsa_forward_progress 0
		.amdhsa_shared_vgpr_count 0
		.amdhsa_exception_fp_ieee_invalid_op 0
		.amdhsa_exception_fp_denorm_src 0
		.amdhsa_exception_fp_ieee_div_zero 0
		.amdhsa_exception_fp_ieee_overflow 0
		.amdhsa_exception_fp_ieee_underflow 0
		.amdhsa_exception_fp_ieee_inexact 0
		.amdhsa_exception_int_div_zero 0
	.end_amdhsa_kernel
	.section	.text._ZN9rocsparseL19gebsrmvn_2xn_kernelILj128ELj5ELj32E21rocsparse_complex_numIfEEEvi20rocsparse_direction_NS_24const_host_device_scalarIT2_EEPKiS8_PKS5_SA_S6_PS5_21rocsparse_index_base_b,"axG",@progbits,_ZN9rocsparseL19gebsrmvn_2xn_kernelILj128ELj5ELj32E21rocsparse_complex_numIfEEEvi20rocsparse_direction_NS_24const_host_device_scalarIT2_EEPKiS8_PKS5_SA_S6_PS5_21rocsparse_index_base_b,comdat
.Lfunc_end170:
	.size	_ZN9rocsparseL19gebsrmvn_2xn_kernelILj128ELj5ELj32E21rocsparse_complex_numIfEEEvi20rocsparse_direction_NS_24const_host_device_scalarIT2_EEPKiS8_PKS5_SA_S6_PS5_21rocsparse_index_base_b, .Lfunc_end170-_ZN9rocsparseL19gebsrmvn_2xn_kernelILj128ELj5ELj32E21rocsparse_complex_numIfEEEvi20rocsparse_direction_NS_24const_host_device_scalarIT2_EEPKiS8_PKS5_SA_S6_PS5_21rocsparse_index_base_b
                                        ; -- End function
	.section	.AMDGPU.csdata,"",@progbits
; Kernel info:
; codeLenInByte = 2852
; NumSgprs: 18
; NumVgprs: 48
; ScratchSize: 0
; MemoryBound: 0
; FloatMode: 240
; IeeeMode: 1
; LDSByteSize: 0 bytes/workgroup (compile time only)
; SGPRBlocks: 2
; VGPRBlocks: 5
; NumSGPRsForWavesPerEU: 18
; NumVGPRsForWavesPerEU: 48
; Occupancy: 16
; WaveLimiterHint : 1
; COMPUTE_PGM_RSRC2:SCRATCH_EN: 0
; COMPUTE_PGM_RSRC2:USER_SGPR: 15
; COMPUTE_PGM_RSRC2:TRAP_HANDLER: 0
; COMPUTE_PGM_RSRC2:TGID_X_EN: 1
; COMPUTE_PGM_RSRC2:TGID_Y_EN: 0
; COMPUTE_PGM_RSRC2:TGID_Z_EN: 0
; COMPUTE_PGM_RSRC2:TIDIG_COMP_CNT: 0
	.section	.text._ZN9rocsparseL19gebsrmvn_2xn_kernelILj128ELj5ELj64E21rocsparse_complex_numIfEEEvi20rocsparse_direction_NS_24const_host_device_scalarIT2_EEPKiS8_PKS5_SA_S6_PS5_21rocsparse_index_base_b,"axG",@progbits,_ZN9rocsparseL19gebsrmvn_2xn_kernelILj128ELj5ELj64E21rocsparse_complex_numIfEEEvi20rocsparse_direction_NS_24const_host_device_scalarIT2_EEPKiS8_PKS5_SA_S6_PS5_21rocsparse_index_base_b,comdat
	.globl	_ZN9rocsparseL19gebsrmvn_2xn_kernelILj128ELj5ELj64E21rocsparse_complex_numIfEEEvi20rocsparse_direction_NS_24const_host_device_scalarIT2_EEPKiS8_PKS5_SA_S6_PS5_21rocsparse_index_base_b ; -- Begin function _ZN9rocsparseL19gebsrmvn_2xn_kernelILj128ELj5ELj64E21rocsparse_complex_numIfEEEvi20rocsparse_direction_NS_24const_host_device_scalarIT2_EEPKiS8_PKS5_SA_S6_PS5_21rocsparse_index_base_b
	.p2align	8
	.type	_ZN9rocsparseL19gebsrmvn_2xn_kernelILj128ELj5ELj64E21rocsparse_complex_numIfEEEvi20rocsparse_direction_NS_24const_host_device_scalarIT2_EEPKiS8_PKS5_SA_S6_PS5_21rocsparse_index_base_b,@function
_ZN9rocsparseL19gebsrmvn_2xn_kernelILj128ELj5ELj64E21rocsparse_complex_numIfEEEvi20rocsparse_direction_NS_24const_host_device_scalarIT2_EEPKiS8_PKS5_SA_S6_PS5_21rocsparse_index_base_b: ; @_ZN9rocsparseL19gebsrmvn_2xn_kernelILj128ELj5ELj64E21rocsparse_complex_numIfEEEvi20rocsparse_direction_NS_24const_host_device_scalarIT2_EEPKiS8_PKS5_SA_S6_PS5_21rocsparse_index_base_b
; %bb.0:
	s_clause 0x2
	s_load_b64 s[12:13], s[0:1], 0x40
	s_load_b64 s[4:5], s[0:1], 0x8
	s_load_b64 s[2:3], s[0:1], 0x30
	s_waitcnt lgkmcnt(0)
	s_bitcmp1_b32 s13, 0
	v_mov_b32_e32 v9, s4
	s_cselect_b32 s6, -1, 0
	s_delay_alu instid0(SALU_CYCLE_1)
	s_and_b32 vcc_lo, exec_lo, s6
	s_xor_b32 s6, s6, -1
	s_cbranch_vccz .LBB171_15
; %bb.1:
	v_cndmask_b32_e64 v1, 0, 1, s6
	v_mov_b32_e32 v10, s5
	s_and_not1_b32 vcc_lo, exec_lo, s6
	s_cbranch_vccz .LBB171_16
.LBB171_2:
	s_delay_alu instid0(VALU_DEP_2)
	v_cmp_ne_u32_e32 vcc_lo, 1, v1
	v_mov_b32_e32 v11, s2
	s_cbranch_vccz .LBB171_17
.LBB171_3:
	v_cmp_ne_u32_e32 vcc_lo, 1, v1
	v_mov_b32_e32 v12, s3
	s_cbranch_vccnz .LBB171_5
.LBB171_4:
	v_dual_mov_b32 v1, s2 :: v_dual_mov_b32 v2, s3
	flat_load_b32 v12, v[1:2] offset:4
.LBB171_5:
	s_waitcnt vmcnt(0) lgkmcnt(0)
	v_cmp_eq_f32_e32 vcc_lo, 0, v9
	v_cmp_eq_f32_e64 s2, 0, v10
	s_delay_alu instid0(VALU_DEP_1)
	s_and_b32 s4, vcc_lo, s2
	s_mov_b32 s2, -1
	s_and_saveexec_b32 s3, s4
; %bb.6:
	v_cmp_neq_f32_e32 vcc_lo, 1.0, v11
	v_cmp_neq_f32_e64 s2, 0, v12
	s_delay_alu instid0(VALU_DEP_1) | instskip(NEXT) | instid1(SALU_CYCLE_1)
	s_or_b32 s2, vcc_lo, s2
	s_or_not1_b32 s2, s2, exec_lo
; %bb.7:
	s_or_b32 exec_lo, exec_lo, s3
	s_and_saveexec_b32 s3, s2
	s_cbranch_execz .LBB171_29
; %bb.8:
	s_load_b64 s[2:3], s[0:1], 0x0
	v_lshrrev_b32_e32 v1, 6, v0
	s_delay_alu instid0(VALU_DEP_1) | instskip(SKIP_1) | instid1(VALU_DEP_1)
	v_lshl_or_b32 v1, s15, 1, v1
	s_waitcnt lgkmcnt(0)
	v_cmp_gt_i32_e32 vcc_lo, s2, v1
	s_and_b32 exec_lo, exec_lo, vcc_lo
	s_cbranch_execz .LBB171_29
; %bb.9:
	s_load_b256 s[4:11], s[0:1], 0x10
	v_ashrrev_i32_e32 v2, 31, v1
	v_and_b32_e32 v0, 63, v0
	s_cmp_lg_u32 s3, 0
	s_delay_alu instid0(VALU_DEP_2) | instskip(SKIP_1) | instid1(VALU_DEP_1)
	v_lshlrev_b64 v[2:3], 2, v[1:2]
	s_waitcnt lgkmcnt(0)
	v_add_co_u32 v2, vcc_lo, s4, v2
	s_delay_alu instid0(VALU_DEP_2) | instskip(SKIP_4) | instid1(VALU_DEP_2)
	v_add_co_ci_u32_e32 v3, vcc_lo, s5, v3, vcc_lo
	global_load_b64 v[2:3], v[2:3], off
	s_waitcnt vmcnt(0)
	v_subrev_nc_u32_e32 v2, s12, v2
	v_subrev_nc_u32_e32 v15, s12, v3
	v_add_nc_u32_e32 v2, v2, v0
	s_delay_alu instid0(VALU_DEP_1)
	v_cmp_lt_i32_e64 s2, v2, v15
	s_cbranch_scc0 .LBB171_18
; %bb.10:
	v_dual_mov_b32 v13, 0 :: v_dual_mov_b32 v16, 0
	v_dual_mov_b32 v17, 0 :: v_dual_mov_b32 v14, 0
	s_mov_b32 s3, 0
	s_and_saveexec_b32 s4, s2
	s_cbranch_execz .LBB171_14
; %bb.11:
	v_mad_u64_u32 v[3:4], null, v2, 10, 8
	v_dual_mov_b32 v6, 0 :: v_dual_mov_b32 v7, v2
	v_dual_mov_b32 v13, 0 :: v_dual_mov_b32 v16, 0
	;; [unrolled: 1-line block ×3, first 2 shown]
	s_mov_b32 s5, 0
.LBB171_12:                             ; =>This Inner Loop Header: Depth=1
	s_delay_alu instid0(VALU_DEP_3) | instskip(NEXT) | instid1(VALU_DEP_1)
	v_ashrrev_i32_e32 v8, 31, v7
	v_lshlrev_b64 v[4:5], 2, v[7:8]
	s_delay_alu instid0(VALU_DEP_1) | instskip(NEXT) | instid1(VALU_DEP_2)
	v_add_co_u32 v4, vcc_lo, s6, v4
	v_add_co_ci_u32_e32 v5, vcc_lo, s7, v5, vcc_lo
	global_load_b32 v8, v[4:5], off
	v_dual_mov_b32 v4, v6 :: v_dual_add_nc_u32 v5, -8, v3
	s_delay_alu instid0(VALU_DEP_1) | instskip(SKIP_1) | instid1(VALU_DEP_3)
	v_lshlrev_b64 v[18:19], 3, v[5:6]
	v_add_nc_u32_e32 v5, -6, v3
	v_lshlrev_b64 v[20:21], 3, v[3:4]
	s_delay_alu instid0(VALU_DEP_2) | instskip(NEXT) | instid1(VALU_DEP_4)
	v_lshlrev_b64 v[4:5], 3, v[5:6]
	v_add_co_u32 v18, vcc_lo, s8, v18
	v_add_co_ci_u32_e32 v19, vcc_lo, s9, v19, vcc_lo
	s_delay_alu instid0(VALU_DEP_4)
	v_add_co_u32 v34, vcc_lo, s8, v20
	v_add_co_ci_u32_e32 v35, vcc_lo, s9, v21, vcc_lo
	v_add_co_u32 v4, vcc_lo, s8, v4
	v_add_co_ci_u32_e32 v5, vcc_lo, s9, v5, vcc_lo
	s_clause 0x1
	global_load_b128 v[18:21], v[18:19], off
	global_load_b128 v[22:25], v[4:5], off
	v_mov_b32_e32 v31, v6
	s_waitcnt vmcnt(2)
	v_subrev_nc_u32_e32 v4, s12, v8
	s_delay_alu instid0(VALU_DEP_1) | instskip(NEXT) | instid1(VALU_DEP_1)
	v_lshl_add_u32 v30, v4, 2, v4
	v_lshlrev_b64 v[26:27], 3, v[30:31]
	s_delay_alu instid0(VALU_DEP_1) | instskip(NEXT) | instid1(VALU_DEP_2)
	v_add_co_u32 v26, vcc_lo, s10, v26
	v_add_co_ci_u32_e32 v27, vcc_lo, s11, v27, vcc_lo
	global_load_b64 v[38:39], v[26:27], off
	v_add_nc_u32_e32 v5, 1, v30
	s_delay_alu instid0(VALU_DEP_1) | instskip(NEXT) | instid1(VALU_DEP_1)
	v_lshlrev_b64 v[28:29], 3, v[5:6]
	v_add_co_u32 v28, vcc_lo, s10, v28
	s_delay_alu instid0(VALU_DEP_2)
	v_add_co_ci_u32_e32 v29, vcc_lo, s11, v29, vcc_lo
	global_load_b64 v[40:41], v[28:29], off
	s_waitcnt vmcnt(1)
	v_fmac_f32_e32 v16, v18, v38
	v_fmac_f32_e32 v17, v20, v38
	;; [unrolled: 1-line block ×3, first 2 shown]
	s_delay_alu instid0(VALU_DEP_3) | instskip(SKIP_1) | instid1(VALU_DEP_4)
	v_fma_f32 v8, -v19, v39, v16
	v_add_nc_u32_e32 v5, -4, v3
	v_fma_f32 v16, -v21, v39, v17
	s_delay_alu instid0(VALU_DEP_4)
	v_fmac_f32_e32 v14, v20, v39
	s_waitcnt vmcnt(0)
	v_fmac_f32_e32 v8, v22, v40
	v_lshlrev_b64 v[31:32], 3, v[5:6]
	v_dual_fmac_f32 v16, v24, v40 :: v_dual_add_nc_u32 v5, 2, v30
	v_fmac_f32_e32 v14, v25, v40
	s_delay_alu instid0(VALU_DEP_4) | instskip(NEXT) | instid1(VALU_DEP_3)
	v_fma_f32 v8, -v23, v41, v8
	v_lshlrev_b64 v[26:27], 3, v[5:6]
	v_add_co_u32 v28, vcc_lo, s8, v31
	v_add_co_ci_u32_e32 v29, vcc_lo, s9, v32, vcc_lo
	v_add_nc_u32_e32 v5, -2, v3
	s_delay_alu instid0(VALU_DEP_4)
	v_add_co_u32 v36, vcc_lo, s10, v26
	v_add_co_ci_u32_e32 v37, vcc_lo, s11, v27, vcc_lo
	global_load_b128 v[26:29], v[28:29], off
	v_lshlrev_b64 v[31:32], 3, v[5:6]
	v_dual_fmac_f32 v14, v24, v41 :: v_dual_add_nc_u32 v5, 3, v30
	global_load_b64 v[44:45], v[36:37], off
	v_fma_f32 v16, -v25, v41, v16
	v_fmac_f32_e32 v13, v19, v38
	v_lshlrev_b64 v[42:43], 3, v[5:6]
	v_add_nc_u32_e32 v5, 4, v30
	v_add_co_u32 v30, vcc_lo, s8, v31
	v_add_co_ci_u32_e32 v31, vcc_lo, s9, v32, vcc_lo
	s_delay_alu instid0(VALU_DEP_4)
	v_add_co_u32 v36, vcc_lo, s10, v42
	v_add_co_ci_u32_e32 v37, vcc_lo, s11, v43, vcc_lo
	global_load_b128 v[30:33], v[30:31], off
	global_load_b64 v[42:43], v[36:37], off
	s_waitcnt vmcnt(2)
	v_dual_fmac_f32 v8, v26, v44 :: v_dual_add_nc_u32 v3, 0x280, v3
	v_lshlrev_b64 v[4:5], 3, v[5:6]
	v_fmac_f32_e32 v16, v28, v44
	v_dual_fmac_f32 v14, v29, v44 :: v_dual_fmac_f32 v13, v18, v39
	s_delay_alu instid0(VALU_DEP_4) | instskip(NEXT) | instid1(VALU_DEP_4)
	v_fma_f32 v8, -v27, v45, v8
	v_add_co_u32 v4, vcc_lo, s10, v4
	s_delay_alu instid0(VALU_DEP_3)
	v_fmac_f32_e32 v14, v28, v45
	v_add_co_ci_u32_e32 v5, vcc_lo, s11, v5, vcc_lo
	global_load_b128 v[34:37], v[34:35], off
	global_load_b64 v[4:5], v[4:5], off
	s_waitcnt vmcnt(2)
	v_dual_fmac_f32 v13, v23, v40 :: v_dual_fmac_f32 v8, v30, v42
	v_fma_f32 v16, -v29, v45, v16
	s_delay_alu instid0(VALU_DEP_2) | instskip(NEXT) | instid1(VALU_DEP_3)
	v_dual_fmac_f32 v14, v33, v42 :: v_dual_fmac_f32 v13, v22, v41
	v_fma_f32 v8, -v31, v43, v8
	s_delay_alu instid0(VALU_DEP_3) | instskip(NEXT) | instid1(VALU_DEP_3)
	v_fmac_f32_e32 v16, v32, v42
	v_fmac_f32_e32 v14, v32, v43
	v_add_nc_u32_e32 v7, 64, v7
	v_fmac_f32_e32 v13, v27, v44
	s_delay_alu instid0(VALU_DEP_4) | instskip(NEXT) | instid1(VALU_DEP_2)
	v_fma_f32 v17, -v33, v43, v16
	v_fmac_f32_e32 v13, v26, v45
	s_waitcnt vmcnt(0)
	s_delay_alu instid0(VALU_DEP_1) | instskip(NEXT) | instid1(VALU_DEP_1)
	v_dual_fmac_f32 v13, v31, v42 :: v_dual_fmac_f32 v8, v34, v4
	v_dual_fmac_f32 v14, v37, v4 :: v_dual_fmac_f32 v13, v30, v43
	v_fmac_f32_e32 v17, v36, v4
	v_cmp_ge_i32_e32 vcc_lo, v7, v15
	s_delay_alu instid0(VALU_DEP_4) | instskip(NEXT) | instid1(VALU_DEP_4)
	v_fma_f32 v16, -v35, v5, v8
	v_dual_fmac_f32 v14, v36, v5 :: v_dual_fmac_f32 v13, v35, v4
	s_delay_alu instid0(VALU_DEP_4) | instskip(SKIP_1) | instid1(VALU_DEP_2)
	v_fma_f32 v17, -v37, v5, v17
	s_or_b32 s5, vcc_lo, s5
	v_fmac_f32_e32 v13, v34, v5
	s_and_not1_b32 exec_lo, exec_lo, s5
	s_cbranch_execnz .LBB171_12
; %bb.13:
	s_or_b32 exec_lo, exec_lo, s5
.LBB171_14:
	s_delay_alu instid0(SALU_CYCLE_1) | instskip(NEXT) | instid1(SALU_CYCLE_1)
	s_or_b32 exec_lo, exec_lo, s4
	s_and_not1_b32 vcc_lo, exec_lo, s3
	s_cbranch_vccz .LBB171_19
	s_branch .LBB171_24
.LBB171_15:
	v_dual_mov_b32 v1, s4 :: v_dual_mov_b32 v2, s5
	flat_load_b32 v9, v[1:2]
	v_cndmask_b32_e64 v1, 0, 1, s6
	v_mov_b32_e32 v10, s5
	s_and_not1_b32 vcc_lo, exec_lo, s6
	s_cbranch_vccnz .LBB171_2
.LBB171_16:
	v_dual_mov_b32 v2, s4 :: v_dual_mov_b32 v3, s5
	flat_load_b32 v10, v[2:3] offset:4
	v_cmp_ne_u32_e32 vcc_lo, 1, v1
	v_mov_b32_e32 v11, s2
	s_cbranch_vccnz .LBB171_3
.LBB171_17:
	v_dual_mov_b32 v2, s2 :: v_dual_mov_b32 v3, s3
	flat_load_b32 v11, v[2:3]
	v_cmp_ne_u32_e32 vcc_lo, 1, v1
	v_mov_b32_e32 v12, s3
	s_cbranch_vccz .LBB171_4
	s_branch .LBB171_5
.LBB171_18:
                                        ; implicit-def: $vgpr13
                                        ; implicit-def: $vgpr16
                                        ; implicit-def: $vgpr17
                                        ; implicit-def: $vgpr14
.LBB171_19:
	v_dual_mov_b32 v13, 0 :: v_dual_mov_b32 v16, 0
	v_dual_mov_b32 v17, 0 :: v_dual_mov_b32 v14, 0
	s_delay_alu instid0(VALU_DEP_3)
	s_and_saveexec_b32 s3, s2
	s_cbranch_execz .LBB171_23
; %bb.20:
	v_mad_u64_u32 v[4:5], null, v2, 10, 9
	v_dual_mov_b32 v7, 0 :: v_dual_mov_b32 v16, 0
	v_dual_mov_b32 v13, 0 :: v_dual_mov_b32 v14, 0
	v_mov_b32_e32 v17, 0
	s_mov_b32 s2, 0
.LBB171_21:                             ; =>This Inner Loop Header: Depth=1
	v_ashrrev_i32_e32 v3, 31, v2
	v_dual_mov_b32 v19, v7 :: v_dual_add_nc_u32 v18, -4, v4
	v_mov_b32_e32 v23, v7
	s_delay_alu instid0(VALU_DEP_3) | instskip(SKIP_1) | instid1(VALU_DEP_4)
	v_lshlrev_b64 v[5:6], 2, v[2:3]
	v_add_nc_u32_e32 v2, 64, v2
	v_lshlrev_b64 v[18:19], 3, v[18:19]
	s_delay_alu instid0(VALU_DEP_3) | instskip(NEXT) | instid1(VALU_DEP_4)
	v_add_co_u32 v5, vcc_lo, s6, v5
	v_add_co_ci_u32_e32 v6, vcc_lo, s7, v6, vcc_lo
	global_load_b32 v3, v[5:6], off
	v_add_nc_u32_e32 v6, -9, v4
	s_delay_alu instid0(VALU_DEP_1) | instskip(NEXT) | instid1(VALU_DEP_1)
	v_lshlrev_b64 v[20:21], 3, v[6:7]
	v_add_co_u32 v20, vcc_lo, s8, v20
	s_delay_alu instid0(VALU_DEP_2) | instskip(SKIP_4) | instid1(VALU_DEP_1)
	v_add_co_ci_u32_e32 v21, vcc_lo, s9, v21, vcc_lo
	v_add_co_u32 v24, vcc_lo, s8, v18
	v_add_co_ci_u32_e32 v25, vcc_lo, s9, v19, vcc_lo
	s_waitcnt vmcnt(0)
	v_subrev_nc_u32_e32 v3, s12, v3
	v_lshl_add_u32 v22, v3, 2, v3
	v_mov_b32_e32 v5, v7
	s_delay_alu instid0(VALU_DEP_2) | instskip(NEXT) | instid1(VALU_DEP_2)
	v_lshlrev_b64 v[28:29], 3, v[22:23]
	v_lshlrev_b64 v[5:6], 3, v[4:5]
	s_delay_alu instid0(VALU_DEP_1) | instskip(NEXT) | instid1(VALU_DEP_2)
	v_add_co_u32 v5, vcc_lo, s8, v5
	v_add_co_ci_u32_e32 v6, vcc_lo, s9, v6, vcc_lo
	s_delay_alu instid0(VALU_DEP_4)
	v_add_co_u32 v28, vcc_lo, s10, v28
	v_add_co_ci_u32_e32 v29, vcc_lo, s11, v29, vcc_lo
	s_clause 0x2
	global_load_b128 v[18:21], v[20:21], off
	global_load_b64 v[24:25], v[24:25], off
	global_load_b64 v[26:27], v[5:6], off
	v_add_nc_u32_e32 v6, 1, v22
	global_load_b64 v[28:29], v[28:29], off
	v_lshlrev_b64 v[30:31], 3, v[6:7]
	s_delay_alu instid0(VALU_DEP_1) | instskip(NEXT) | instid1(VALU_DEP_2)
	v_add_co_u32 v30, vcc_lo, s10, v30
	v_add_co_ci_u32_e32 v31, vcc_lo, s11, v31, vcc_lo
	global_load_b64 v[30:31], v[30:31], off
	s_waitcnt vmcnt(1)
	v_fmac_f32_e32 v14, v25, v28
	v_fmac_f32_e32 v16, v18, v28
	;; [unrolled: 1-line block ×4, first 2 shown]
	s_delay_alu instid0(VALU_DEP_4) | instskip(NEXT) | instid1(VALU_DEP_3)
	v_fmac_f32_e32 v14, v24, v29
	v_dual_fmac_f32 v13, v18, v29 :: v_dual_add_nc_u32 v6, -3, v4
	v_fma_f32 v3, -v19, v29, v16
	s_delay_alu instid0(VALU_DEP_4) | instskip(NEXT) | instid1(VALU_DEP_3)
	v_fma_f32 v8, -v25, v29, v17
	v_lshlrev_b64 v[32:33], 3, v[6:7]
	s_waitcnt vmcnt(0)
	s_delay_alu instid0(VALU_DEP_3) | instskip(NEXT) | instid1(VALU_DEP_1)
	v_dual_fmac_f32 v3, v20, v30 :: v_dual_add_nc_u32 v6, -7, v4
	v_lshlrev_b64 v[34:35], 3, v[6:7]
	v_add_nc_u32_e32 v6, 2, v22
	s_delay_alu instid0(VALU_DEP_4) | instskip(SKIP_1) | instid1(VALU_DEP_3)
	v_add_co_u32 v32, vcc_lo, s8, v32
	v_add_co_ci_u32_e32 v33, vcc_lo, s9, v33, vcc_lo
	v_lshlrev_b64 v[36:37], 3, v[6:7]
	v_add_co_u32 v34, vcc_lo, s8, v34
	v_add_co_ci_u32_e32 v35, vcc_lo, s9, v35, vcc_lo
	global_load_b64 v[32:33], v[32:33], off
	v_add_co_u32 v36, vcc_lo, s10, v36
	global_load_b64 v[34:35], v[34:35], off
	v_add_co_ci_u32_e32 v37, vcc_lo, s11, v37, vcc_lo
	v_dual_fmac_f32 v13, v21, v30 :: v_dual_add_nc_u32 v6, -2, v4
	v_fma_f32 v3, -v21, v31, v3
	global_load_b64 v[36:37], v[36:37], off
	v_lshlrev_b64 v[38:39], 3, v[6:7]
	v_dual_fmac_f32 v13, v20, v31 :: v_dual_add_nc_u32 v6, -6, v4
	s_delay_alu instid0(VALU_DEP_1) | instskip(SKIP_1) | instid1(VALU_DEP_4)
	v_lshlrev_b64 v[40:41], 3, v[6:7]
	v_add_nc_u32_e32 v6, 3, v22
	v_add_co_u32 v38, vcc_lo, s8, v38
	v_add_co_ci_u32_e32 v39, vcc_lo, s9, v39, vcc_lo
	s_delay_alu instid0(VALU_DEP_4)
	v_add_co_u32 v40, vcc_lo, s8, v40
	v_add_co_ci_u32_e32 v41, vcc_lo, s9, v41, vcc_lo
	s_clause 0x1
	global_load_b64 v[38:39], v[38:39], off
	global_load_b64 v[40:41], v[40:41], off
	s_waitcnt vmcnt(4)
	v_fmac_f32_e32 v8, v32, v30
	s_waitcnt vmcnt(2)
	v_dual_fmac_f32 v14, v33, v30 :: v_dual_fmac_f32 v13, v35, v36
	v_fmac_f32_e32 v3, v34, v36
	v_lshlrev_b64 v[42:43], 3, v[6:7]
	v_add_nc_u32_e32 v6, -1, v4
	v_fma_f32 v8, -v33, v31, v8
	v_fmac_f32_e32 v13, v34, v37
	v_fma_f32 v3, -v35, v37, v3
	v_add_co_u32 v42, vcc_lo, s10, v42
	v_add_co_ci_u32_e32 v43, vcc_lo, s11, v43, vcc_lo
	v_lshlrev_b64 v[44:45], 3, v[6:7]
	global_load_b64 v[42:43], v[42:43], off
	v_add_nc_u32_e32 v6, -5, v4
	s_waitcnt vmcnt(0)
	v_dual_fmac_f32 v3, v40, v42 :: v_dual_add_nc_u32 v4, 0x280, v4
	s_delay_alu instid0(VALU_DEP_2) | instskip(SKIP_4) | instid1(VALU_DEP_4)
	v_lshlrev_b64 v[46:47], 3, v[6:7]
	v_fmac_f32_e32 v13, v41, v42
	v_add_nc_u32_e32 v6, 4, v22
	v_add_co_u32 v22, vcc_lo, s8, v44
	v_add_co_ci_u32_e32 v23, vcc_lo, s9, v45, vcc_lo
	v_fmac_f32_e32 v13, v40, v43
	s_delay_alu instid0(VALU_DEP_4)
	v_lshlrev_b64 v[5:6], 3, v[6:7]
	v_add_co_u32 v44, vcc_lo, s8, v46
	v_add_co_ci_u32_e32 v45, vcc_lo, s9, v47, vcc_lo
	global_load_b64 v[22:23], v[22:23], off
	v_add_co_u32 v5, vcc_lo, s10, v5
	v_add_co_ci_u32_e32 v6, vcc_lo, s11, v6, vcc_lo
	global_load_b64 v[44:45], v[44:45], off
	global_load_b64 v[5:6], v[5:6], off
	v_fmac_f32_e32 v14, v32, v31
	v_fma_f32 v3, -v41, v43, v3
	v_cmp_ge_i32_e32 vcc_lo, v2, v15
	s_or_b32 s2, vcc_lo, s2
	s_waitcnt vmcnt(0)
	v_dual_fmac_f32 v13, v45, v5 :: v_dual_fmac_f32 v8, v38, v36
	v_dual_fmac_f32 v14, v39, v36 :: v_dual_fmac_f32 v3, v44, v5
	s_delay_alu instid0(VALU_DEP_2) | instskip(NEXT) | instid1(VALU_DEP_3)
	v_fmac_f32_e32 v13, v44, v6
	v_fma_f32 v8, -v39, v37, v8
	s_delay_alu instid0(VALU_DEP_3) | instskip(NEXT) | instid1(VALU_DEP_4)
	v_fmac_f32_e32 v14, v38, v37
	v_fma_f32 v16, -v45, v6, v3
	s_delay_alu instid0(VALU_DEP_3) | instskip(NEXT) | instid1(VALU_DEP_3)
	v_fmac_f32_e32 v8, v22, v42
	v_fmac_f32_e32 v14, v23, v42
	s_delay_alu instid0(VALU_DEP_2) | instskip(NEXT) | instid1(VALU_DEP_2)
	v_fma_f32 v8, -v23, v43, v8
	v_fmac_f32_e32 v14, v22, v43
	s_delay_alu instid0(VALU_DEP_2) | instskip(NEXT) | instid1(VALU_DEP_2)
	v_fmac_f32_e32 v8, v26, v5
	v_fmac_f32_e32 v14, v27, v5
	s_delay_alu instid0(VALU_DEP_2) | instskip(NEXT) | instid1(VALU_DEP_2)
	v_fma_f32 v17, -v27, v6, v8
	v_fmac_f32_e32 v14, v26, v6
	s_and_not1_b32 exec_lo, exec_lo, s2
	s_cbranch_execnz .LBB171_21
; %bb.22:
	s_or_b32 exec_lo, exec_lo, s2
.LBB171_23:
	s_delay_alu instid0(SALU_CYCLE_1)
	s_or_b32 exec_lo, exec_lo, s3
.LBB171_24:
	v_mbcnt_lo_u32_b32 v2, -1, 0
	s_delay_alu instid0(VALU_DEP_1) | instskip(SKIP_2) | instid1(VALU_DEP_3)
	v_or_b32_e32 v3, 32, v2
	v_xor_b32_e32 v7, 16, v2
	v_xor_b32_e32 v15, 8, v2
	v_cmp_gt_i32_e32 vcc_lo, 32, v3
	v_cndmask_b32_e32 v3, v2, v3, vcc_lo
	s_delay_alu instid0(VALU_DEP_4) | instskip(NEXT) | instid1(VALU_DEP_2)
	v_cmp_gt_i32_e32 vcc_lo, 32, v7
	v_lshlrev_b32_e32 v3, 2, v3
	ds_bpermute_b32 v6, v3, v17
	s_waitcnt lgkmcnt(0)
	v_add_f32_e32 v6, v17, v6
	ds_bpermute_b32 v4, v3, v16
	ds_bpermute_b32 v5, v3, v13
	;; [unrolled: 1-line block ×3, first 2 shown]
	s_waitcnt lgkmcnt(2)
	v_dual_add_f32 v4, v16, v4 :: v_dual_cndmask_b32 v7, v2, v7
	s_waitcnt lgkmcnt(0)
	v_add_f32_e32 v3, v14, v3
	v_cmp_gt_i32_e32 vcc_lo, 32, v15
	s_delay_alu instid0(VALU_DEP_3)
	v_lshlrev_b32_e32 v7, 2, v7
	v_cndmask_b32_e32 v15, v2, v15, vcc_lo
	ds_bpermute_b32 v14, v7, v6
	s_waitcnt lgkmcnt(0)
	v_add_f32_e32 v6, v6, v14
	ds_bpermute_b32 v8, v7, v4
	s_waitcnt lgkmcnt(0)
	v_dual_add_f32 v4, v4, v8 :: v_dual_lshlrev_b32 v15, 2, v15
	v_add_f32_e32 v5, v13, v5
	ds_bpermute_b32 v13, v7, v5
	ds_bpermute_b32 v7, v7, v3
	s_waitcnt lgkmcnt(0)
	v_add_f32_e32 v3, v3, v7
	ds_bpermute_b32 v7, v15, v4
	s_waitcnt lgkmcnt(0)
	v_dual_add_f32 v4, v4, v7 :: v_dual_add_f32 v5, v5, v13
	ds_bpermute_b32 v13, v15, v6
	s_waitcnt lgkmcnt(0)
	v_add_f32_e32 v6, v6, v13
	ds_bpermute_b32 v8, v15, v5
	ds_bpermute_b32 v14, v15, v3
	v_xor_b32_e32 v15, 4, v2
	s_delay_alu instid0(VALU_DEP_1) | instskip(SKIP_1) | instid1(VALU_DEP_1)
	v_cmp_gt_i32_e32 vcc_lo, 32, v15
	v_cndmask_b32_e32 v15, v2, v15, vcc_lo
	v_lshlrev_b32_e32 v15, 2, v15
	ds_bpermute_b32 v7, v15, v4
	ds_bpermute_b32 v13, v15, v6
	s_waitcnt lgkmcnt(1)
	v_dual_add_f32 v4, v4, v7 :: v_dual_add_f32 v5, v5, v8
	s_waitcnt lgkmcnt(0)
	v_dual_add_f32 v6, v6, v13 :: v_dual_add_f32 v3, v3, v14
	ds_bpermute_b32 v8, v15, v5
	ds_bpermute_b32 v14, v15, v3
	v_xor_b32_e32 v15, 2, v2
	s_delay_alu instid0(VALU_DEP_1) | instskip(SKIP_1) | instid1(VALU_DEP_1)
	v_cmp_gt_i32_e32 vcc_lo, 32, v15
	v_cndmask_b32_e32 v15, v2, v15, vcc_lo
	v_lshlrev_b32_e32 v15, 2, v15
	s_waitcnt lgkmcnt(1)
	v_add_f32_e32 v5, v5, v8
	ds_bpermute_b32 v7, v15, v4
	ds_bpermute_b32 v13, v15, v6
	;; [unrolled: 1-line block ×3, first 2 shown]
	s_waitcnt lgkmcnt(2)
	v_dual_add_f32 v4, v4, v7 :: v_dual_add_f32 v3, v3, v14
	s_waitcnt lgkmcnt(0)
	v_add_f32_e32 v5, v5, v8
	ds_bpermute_b32 v14, v15, v3
	v_xor_b32_e32 v15, 1, v2
	s_delay_alu instid0(VALU_DEP_1) | instskip(SKIP_2) | instid1(VALU_DEP_2)
	v_cmp_gt_i32_e32 vcc_lo, 32, v15
	v_cndmask_b32_e32 v2, v2, v15, vcc_lo
	v_cmp_eq_u32_e32 vcc_lo, 63, v0
	v_dual_add_f32 v2, v6, v13 :: v_dual_lshlrev_b32 v15, 2, v2
	s_waitcnt lgkmcnt(0)
	v_add_f32_e32 v3, v3, v14
	ds_bpermute_b32 v8, v15, v4
	ds_bpermute_b32 v13, v15, v5
	;; [unrolled: 1-line block ×4, first 2 shown]
	s_and_b32 exec_lo, exec_lo, vcc_lo
	s_cbranch_execz .LBB171_29
; %bb.25:
	s_load_b64 s[2:3], s[0:1], 0x38
	v_cmp_eq_f32_e32 vcc_lo, 0, v11
	v_cmp_eq_f32_e64 s0, 0, v12
	s_waitcnt lgkmcnt(0)
	v_dual_add_f32 v0, v4, v8 :: v_dual_add_f32 v3, v3, v7
	v_add_f32_e32 v4, v5, v13
	v_add_f32_e32 v2, v2, v6
	s_and_b32 s0, vcc_lo, s0
	s_delay_alu instid0(SALU_CYCLE_1) | instskip(NEXT) | instid1(SALU_CYCLE_1)
	s_and_saveexec_b32 s1, s0
	s_xor_b32 s0, exec_lo, s1
	s_cbranch_execz .LBB171_27
; %bb.26:
	v_mul_f32_e64 v5, v4, -v10
	v_mul_f32_e32 v6, v4, v9
	v_mul_f32_e64 v7, v3, -v10
	v_mul_f32_e32 v8, v3, v9
                                        ; implicit-def: $vgpr4
                                        ; implicit-def: $vgpr3
	s_delay_alu instid0(VALU_DEP_4) | instskip(NEXT) | instid1(VALU_DEP_4)
	v_fmac_f32_e32 v5, v9, v0
	v_dual_fmac_f32 v6, v10, v0 :: v_dual_lshlrev_b32 v11, 1, v1
	s_delay_alu instid0(VALU_DEP_4) | instskip(NEXT) | instid1(VALU_DEP_4)
	v_fmac_f32_e32 v7, v9, v2
	v_fmac_f32_e32 v8, v10, v2
                                        ; implicit-def: $vgpr9
                                        ; implicit-def: $vgpr10
                                        ; implicit-def: $vgpr2
	s_delay_alu instid0(VALU_DEP_3) | instskip(NEXT) | instid1(VALU_DEP_1)
	v_ashrrev_i32_e32 v12, 31, v11
	v_lshlrev_b64 v[11:12], 3, v[11:12]
	s_delay_alu instid0(VALU_DEP_1) | instskip(NEXT) | instid1(VALU_DEP_2)
	v_add_co_u32 v0, vcc_lo, s2, v11
	v_add_co_ci_u32_e32 v1, vcc_lo, s3, v12, vcc_lo
                                        ; implicit-def: $vgpr11
                                        ; implicit-def: $vgpr12
	global_store_b128 v[0:1], v[5:8], off
                                        ; implicit-def: $vgpr1
                                        ; implicit-def: $vgpr0
.LBB171_27:
	s_and_not1_saveexec_b32 s0, s0
	s_cbranch_execz .LBB171_29
; %bb.28:
	v_lshlrev_b32_e32 v5, 1, v1
	v_mul_f32_e64 v15, v4, -v10
	v_mul_f32_e32 v1, v4, v9
	v_mul_f32_e64 v4, v3, -v10
	v_mul_f32_e32 v3, v3, v9
	s_delay_alu instid0(VALU_DEP_4) | instskip(NEXT) | instid1(VALU_DEP_3)
	v_fmac_f32_e32 v15, v9, v0
	v_fmac_f32_e32 v4, v9, v2
	v_ashrrev_i32_e32 v6, 31, v5
	s_delay_alu instid0(VALU_DEP_4) | instskip(NEXT) | instid1(VALU_DEP_2)
	v_fmac_f32_e32 v3, v10, v2
	v_lshlrev_b64 v[5:6], 3, v[5:6]
	s_delay_alu instid0(VALU_DEP_1) | instskip(NEXT) | instid1(VALU_DEP_2)
	v_add_co_u32 v13, vcc_lo, s2, v5
	v_add_co_ci_u32_e32 v14, vcc_lo, s3, v6, vcc_lo
	global_load_b128 v[5:8], v[13:14], off
	s_waitcnt vmcnt(0)
	v_dual_fmac_f32 v4, v11, v7 :: v_dual_fmac_f32 v1, v10, v0
	v_fmac_f32_e32 v15, v11, v5
	v_fmac_f32_e32 v3, v12, v7
	s_delay_alu instid0(VALU_DEP_3) | instskip(NEXT) | instid1(VALU_DEP_4)
	v_fma_f32 v2, -v12, v8, v4
	v_fmac_f32_e32 v1, v12, v5
	s_delay_alu instid0(VALU_DEP_4) | instskip(NEXT) | instid1(VALU_DEP_4)
	v_fma_f32 v0, -v12, v6, v15
	v_fmac_f32_e32 v3, v11, v8
	s_delay_alu instid0(VALU_DEP_3)
	v_fmac_f32_e32 v1, v11, v6
	global_store_b128 v[13:14], v[0:3], off
.LBB171_29:
	s_nop 0
	s_sendmsg sendmsg(MSG_DEALLOC_VGPRS)
	s_endpgm
	.section	.rodata,"a",@progbits
	.p2align	6, 0x0
	.amdhsa_kernel _ZN9rocsparseL19gebsrmvn_2xn_kernelILj128ELj5ELj64E21rocsparse_complex_numIfEEEvi20rocsparse_direction_NS_24const_host_device_scalarIT2_EEPKiS8_PKS5_SA_S6_PS5_21rocsparse_index_base_b
		.amdhsa_group_segment_fixed_size 0
		.amdhsa_private_segment_fixed_size 0
		.amdhsa_kernarg_size 72
		.amdhsa_user_sgpr_count 15
		.amdhsa_user_sgpr_dispatch_ptr 0
		.amdhsa_user_sgpr_queue_ptr 0
		.amdhsa_user_sgpr_kernarg_segment_ptr 1
		.amdhsa_user_sgpr_dispatch_id 0
		.amdhsa_user_sgpr_private_segment_size 0
		.amdhsa_wavefront_size32 1
		.amdhsa_uses_dynamic_stack 0
		.amdhsa_enable_private_segment 0
		.amdhsa_system_sgpr_workgroup_id_x 1
		.amdhsa_system_sgpr_workgroup_id_y 0
		.amdhsa_system_sgpr_workgroup_id_z 0
		.amdhsa_system_sgpr_workgroup_info 0
		.amdhsa_system_vgpr_workitem_id 0
		.amdhsa_next_free_vgpr 48
		.amdhsa_next_free_sgpr 16
		.amdhsa_reserve_vcc 1
		.amdhsa_float_round_mode_32 0
		.amdhsa_float_round_mode_16_64 0
		.amdhsa_float_denorm_mode_32 3
		.amdhsa_float_denorm_mode_16_64 3
		.amdhsa_dx10_clamp 1
		.amdhsa_ieee_mode 1
		.amdhsa_fp16_overflow 0
		.amdhsa_workgroup_processor_mode 1
		.amdhsa_memory_ordered 1
		.amdhsa_forward_progress 0
		.amdhsa_shared_vgpr_count 0
		.amdhsa_exception_fp_ieee_invalid_op 0
		.amdhsa_exception_fp_denorm_src 0
		.amdhsa_exception_fp_ieee_div_zero 0
		.amdhsa_exception_fp_ieee_overflow 0
		.amdhsa_exception_fp_ieee_underflow 0
		.amdhsa_exception_fp_ieee_inexact 0
		.amdhsa_exception_int_div_zero 0
	.end_amdhsa_kernel
	.section	.text._ZN9rocsparseL19gebsrmvn_2xn_kernelILj128ELj5ELj64E21rocsparse_complex_numIfEEEvi20rocsparse_direction_NS_24const_host_device_scalarIT2_EEPKiS8_PKS5_SA_S6_PS5_21rocsparse_index_base_b,"axG",@progbits,_ZN9rocsparseL19gebsrmvn_2xn_kernelILj128ELj5ELj64E21rocsparse_complex_numIfEEEvi20rocsparse_direction_NS_24const_host_device_scalarIT2_EEPKiS8_PKS5_SA_S6_PS5_21rocsparse_index_base_b,comdat
.Lfunc_end171:
	.size	_ZN9rocsparseL19gebsrmvn_2xn_kernelILj128ELj5ELj64E21rocsparse_complex_numIfEEEvi20rocsparse_direction_NS_24const_host_device_scalarIT2_EEPKiS8_PKS5_SA_S6_PS5_21rocsparse_index_base_b, .Lfunc_end171-_ZN9rocsparseL19gebsrmvn_2xn_kernelILj128ELj5ELj64E21rocsparse_complex_numIfEEEvi20rocsparse_direction_NS_24const_host_device_scalarIT2_EEPKiS8_PKS5_SA_S6_PS5_21rocsparse_index_base_b
                                        ; -- End function
	.section	.AMDGPU.csdata,"",@progbits
; Kernel info:
; codeLenInByte = 2928
; NumSgprs: 18
; NumVgprs: 48
; ScratchSize: 0
; MemoryBound: 0
; FloatMode: 240
; IeeeMode: 1
; LDSByteSize: 0 bytes/workgroup (compile time only)
; SGPRBlocks: 2
; VGPRBlocks: 5
; NumSGPRsForWavesPerEU: 18
; NumVGPRsForWavesPerEU: 48
; Occupancy: 16
; WaveLimiterHint : 1
; COMPUTE_PGM_RSRC2:SCRATCH_EN: 0
; COMPUTE_PGM_RSRC2:USER_SGPR: 15
; COMPUTE_PGM_RSRC2:TRAP_HANDLER: 0
; COMPUTE_PGM_RSRC2:TGID_X_EN: 1
; COMPUTE_PGM_RSRC2:TGID_Y_EN: 0
; COMPUTE_PGM_RSRC2:TGID_Z_EN: 0
; COMPUTE_PGM_RSRC2:TIDIG_COMP_CNT: 0
	.section	.text._ZN9rocsparseL19gebsrmvn_2xn_kernelILj128ELj6ELj4E21rocsparse_complex_numIfEEEvi20rocsparse_direction_NS_24const_host_device_scalarIT2_EEPKiS8_PKS5_SA_S6_PS5_21rocsparse_index_base_b,"axG",@progbits,_ZN9rocsparseL19gebsrmvn_2xn_kernelILj128ELj6ELj4E21rocsparse_complex_numIfEEEvi20rocsparse_direction_NS_24const_host_device_scalarIT2_EEPKiS8_PKS5_SA_S6_PS5_21rocsparse_index_base_b,comdat
	.globl	_ZN9rocsparseL19gebsrmvn_2xn_kernelILj128ELj6ELj4E21rocsparse_complex_numIfEEEvi20rocsparse_direction_NS_24const_host_device_scalarIT2_EEPKiS8_PKS5_SA_S6_PS5_21rocsparse_index_base_b ; -- Begin function _ZN9rocsparseL19gebsrmvn_2xn_kernelILj128ELj6ELj4E21rocsparse_complex_numIfEEEvi20rocsparse_direction_NS_24const_host_device_scalarIT2_EEPKiS8_PKS5_SA_S6_PS5_21rocsparse_index_base_b
	.p2align	8
	.type	_ZN9rocsparseL19gebsrmvn_2xn_kernelILj128ELj6ELj4E21rocsparse_complex_numIfEEEvi20rocsparse_direction_NS_24const_host_device_scalarIT2_EEPKiS8_PKS5_SA_S6_PS5_21rocsparse_index_base_b,@function
_ZN9rocsparseL19gebsrmvn_2xn_kernelILj128ELj6ELj4E21rocsparse_complex_numIfEEEvi20rocsparse_direction_NS_24const_host_device_scalarIT2_EEPKiS8_PKS5_SA_S6_PS5_21rocsparse_index_base_b: ; @_ZN9rocsparseL19gebsrmvn_2xn_kernelILj128ELj6ELj4E21rocsparse_complex_numIfEEEvi20rocsparse_direction_NS_24const_host_device_scalarIT2_EEPKiS8_PKS5_SA_S6_PS5_21rocsparse_index_base_b
; %bb.0:
	s_clause 0x2
	s_load_b64 s[12:13], s[0:1], 0x40
	s_load_b64 s[4:5], s[0:1], 0x8
	s_load_b64 s[2:3], s[0:1], 0x30
	s_waitcnt lgkmcnt(0)
	s_bitcmp1_b32 s13, 0
	v_mov_b32_e32 v9, s4
	s_cselect_b32 s6, -1, 0
	s_delay_alu instid0(SALU_CYCLE_1)
	s_and_b32 vcc_lo, exec_lo, s6
	s_xor_b32 s6, s6, -1
	s_cbranch_vccz .LBB172_15
; %bb.1:
	v_cndmask_b32_e64 v1, 0, 1, s6
	v_mov_b32_e32 v10, s5
	s_and_not1_b32 vcc_lo, exec_lo, s6
	s_cbranch_vccz .LBB172_16
.LBB172_2:
	s_delay_alu instid0(VALU_DEP_2)
	v_cmp_ne_u32_e32 vcc_lo, 1, v1
	v_mov_b32_e32 v11, s2
	s_cbranch_vccz .LBB172_17
.LBB172_3:
	v_cmp_ne_u32_e32 vcc_lo, 1, v1
	v_mov_b32_e32 v12, s3
	s_cbranch_vccnz .LBB172_5
.LBB172_4:
	v_dual_mov_b32 v1, s2 :: v_dual_mov_b32 v2, s3
	flat_load_b32 v12, v[1:2] offset:4
.LBB172_5:
	s_waitcnt vmcnt(0) lgkmcnt(0)
	v_cmp_eq_f32_e32 vcc_lo, 0, v9
	v_cmp_eq_f32_e64 s2, 0, v10
	s_delay_alu instid0(VALU_DEP_1)
	s_and_b32 s4, vcc_lo, s2
	s_mov_b32 s2, -1
	s_and_saveexec_b32 s3, s4
; %bb.6:
	v_cmp_neq_f32_e32 vcc_lo, 1.0, v11
	v_cmp_neq_f32_e64 s2, 0, v12
	s_delay_alu instid0(VALU_DEP_1) | instskip(NEXT) | instid1(SALU_CYCLE_1)
	s_or_b32 s2, vcc_lo, s2
	s_or_not1_b32 s2, s2, exec_lo
; %bb.7:
	s_or_b32 exec_lo, exec_lo, s3
	s_and_saveexec_b32 s3, s2
	s_cbranch_execz .LBB172_29
; %bb.8:
	s_load_b64 s[2:3], s[0:1], 0x0
	v_lshrrev_b32_e32 v1, 2, v0
	s_delay_alu instid0(VALU_DEP_1) | instskip(SKIP_1) | instid1(VALU_DEP_1)
	v_lshl_or_b32 v1, s15, 5, v1
	s_waitcnt lgkmcnt(0)
	v_cmp_gt_i32_e32 vcc_lo, s2, v1
	s_and_b32 exec_lo, exec_lo, vcc_lo
	s_cbranch_execz .LBB172_29
; %bb.9:
	s_load_b256 s[4:11], s[0:1], 0x10
	v_ashrrev_i32_e32 v2, 31, v1
	v_and_b32_e32 v0, 3, v0
	s_cmp_lg_u32 s3, 0
	s_delay_alu instid0(VALU_DEP_2) | instskip(SKIP_1) | instid1(VALU_DEP_1)
	v_lshlrev_b64 v[2:3], 2, v[1:2]
	s_waitcnt lgkmcnt(0)
	v_add_co_u32 v2, vcc_lo, s4, v2
	s_delay_alu instid0(VALU_DEP_2) | instskip(SKIP_4) | instid1(VALU_DEP_2)
	v_add_co_ci_u32_e32 v3, vcc_lo, s5, v3, vcc_lo
	global_load_b64 v[2:3], v[2:3], off
	s_waitcnt vmcnt(0)
	v_subrev_nc_u32_e32 v2, s12, v2
	v_subrev_nc_u32_e32 v15, s12, v3
	v_add_nc_u32_e32 v2, v2, v0
	s_delay_alu instid0(VALU_DEP_1)
	v_cmp_lt_i32_e64 s2, v2, v15
	s_cbranch_scc0 .LBB172_18
; %bb.10:
	v_dual_mov_b32 v13, 0 :: v_dual_mov_b32 v16, 0
	v_dual_mov_b32 v17, 0 :: v_dual_mov_b32 v14, 0
	s_mov_b32 s4, 0
	s_and_saveexec_b32 s5, s2
	s_cbranch_execz .LBB172_14
; %bb.11:
	v_mad_u64_u32 v[3:4], null, v2, 12, 10
	v_dual_mov_b32 v6, 0 :: v_dual_mov_b32 v7, v2
	v_dual_mov_b32 v13, 0 :: v_dual_mov_b32 v16, 0
	;; [unrolled: 1-line block ×3, first 2 shown]
	s_mov_b32 s13, 0
.LBB172_12:                             ; =>This Inner Loop Header: Depth=1
	s_delay_alu instid0(VALU_DEP_3) | instskip(NEXT) | instid1(VALU_DEP_1)
	v_ashrrev_i32_e32 v8, 31, v7
	v_lshlrev_b64 v[4:5], 2, v[7:8]
	v_add_nc_u32_e32 v7, 4, v7
	s_delay_alu instid0(VALU_DEP_2) | instskip(NEXT) | instid1(VALU_DEP_3)
	v_add_co_u32 v4, vcc_lo, s6, v4
	v_add_co_ci_u32_e32 v5, vcc_lo, s7, v5, vcc_lo
	global_load_b32 v8, v[4:5], off
	v_dual_mov_b32 v4, v6 :: v_dual_add_nc_u32 v5, -10, v3
	s_delay_alu instid0(VALU_DEP_1) | instskip(SKIP_1) | instid1(VALU_DEP_3)
	v_lshlrev_b64 v[18:19], 3, v[5:6]
	v_add_nc_u32_e32 v5, -6, v3
	v_lshlrev_b64 v[49:50], 3, v[3:4]
	s_delay_alu instid0(VALU_DEP_2) | instskip(NEXT) | instid1(VALU_DEP_4)
	v_lshlrev_b64 v[4:5], 3, v[5:6]
	v_add_co_u32 v22, vcc_lo, s8, v18
	v_add_co_ci_u32_e32 v23, vcc_lo, s9, v19, vcc_lo
	s_delay_alu instid0(VALU_DEP_4) | instskip(NEXT) | instid1(VALU_DEP_4)
	v_add_co_u32 v51, vcc_lo, s8, v49
	v_add_co_u32 v4, s3, s8, v4
	s_delay_alu instid0(VALU_DEP_1)
	v_add_co_ci_u32_e64 v5, s3, s9, v5, s3
	s_clause 0x2
	global_load_b128 v[18:21], v[22:23], off offset:16
	global_load_b128 v[22:25], v[22:23], off
	global_load_b128 v[26:29], v[4:5], off
	v_mov_b32_e32 v35, v6
	v_add_co_ci_u32_e32 v52, vcc_lo, s9, v50, vcc_lo
	v_cmp_ge_i32_e32 vcc_lo, v7, v15
	s_or_b32 s13, vcc_lo, s13
	s_waitcnt vmcnt(3)
	v_subrev_nc_u32_e32 v8, s12, v8
	s_delay_alu instid0(VALU_DEP_1) | instskip(NEXT) | instid1(VALU_DEP_1)
	v_mul_lo_u32 v34, v8, 6
	v_lshlrev_b64 v[30:31], 3, v[34:35]
	s_delay_alu instid0(VALU_DEP_1) | instskip(NEXT) | instid1(VALU_DEP_1)
	v_add_co_u32 v30, s3, s10, v30
	v_add_co_ci_u32_e64 v31, s3, s11, v31, s3
	global_load_b128 v[30:33], v[30:31], off
	v_add_nc_u32_e32 v5, 2, v34
	s_delay_alu instid0(VALU_DEP_1) | instskip(SKIP_1) | instid1(VALU_DEP_1)
	v_lshlrev_b64 v[35:36], 3, v[5:6]
	v_add_nc_u32_e32 v5, -4, v3
	v_lshlrev_b64 v[38:39], 3, v[5:6]
	s_delay_alu instid0(VALU_DEP_3) | instskip(SKIP_2) | instid1(VALU_DEP_4)
	v_add_co_u32 v35, s3, s10, v35
	v_add_nc_u32_e32 v5, -2, v3
	v_add_co_ci_u32_e64 v36, s3, s11, v36, s3
	v_add_co_u32 v38, s3, s8, v38
	s_delay_alu instid0(VALU_DEP_3)
	v_lshlrev_b64 v[42:43], 3, v[5:6]
	v_add_nc_u32_e32 v5, 4, v34
	global_load_b128 v[34:37], v[35:36], off
	v_add_co_ci_u32_e64 v39, s3, s9, v39, s3
	v_add_nc_u32_e32 v3, 48, v3
	v_add_co_u32 v42, s3, s8, v42
	global_load_b128 v[38:41], v[38:39], off
	v_add_co_ci_u32_e64 v43, s3, s9, v43, s3
	s_waitcnt vmcnt(2)
	v_fmac_f32_e32 v14, v25, v30
	v_fmac_f32_e32 v16, v22, v30
	s_delay_alu instid0(VALU_DEP_2) | instskip(NEXT) | instid1(VALU_DEP_1)
	v_fmac_f32_e32 v14, v24, v31
	v_fmac_f32_e32 v14, v21, v32
	s_delay_alu instid0(VALU_DEP_1) | instskip(SKIP_2) | instid1(VALU_DEP_2)
	v_fmac_f32_e32 v14, v20, v33
	v_lshlrev_b64 v[4:5], 3, v[5:6]
	s_waitcnt vmcnt(1)
	v_fmac_f32_e32 v14, v29, v34
	s_delay_alu instid0(VALU_DEP_2) | instskip(NEXT) | instid1(VALU_DEP_1)
	v_add_co_u32 v4, s3, s10, v4
	v_add_co_ci_u32_e64 v5, s3, s11, v5, s3
	global_load_b128 v[42:45], v[42:43], off
	global_load_b128 v[46:49], v[4:5], off
	global_load_b128 v[50:53], v[51:52], off
	v_fma_f32 v4, -v23, v31, v16
	v_dual_fmac_f32 v13, v23, v30 :: v_dual_fmac_f32 v14, v28, v35
	s_delay_alu instid0(VALU_DEP_2) | instskip(SKIP_1) | instid1(VALU_DEP_2)
	v_fmac_f32_e32 v4, v18, v32
	s_waitcnt vmcnt(3)
	v_dual_fmac_f32 v13, v22, v31 :: v_dual_fmac_f32 v14, v41, v36
	s_delay_alu instid0(VALU_DEP_2) | instskip(NEXT) | instid1(VALU_DEP_2)
	v_fma_f32 v4, -v19, v33, v4
	v_dual_fmac_f32 v13, v19, v32 :: v_dual_fmac_f32 v14, v40, v37
	s_delay_alu instid0(VALU_DEP_2) | instskip(NEXT) | instid1(VALU_DEP_2)
	v_fmac_f32_e32 v4, v26, v34
	v_fmac_f32_e32 v13, v18, v33
	s_delay_alu instid0(VALU_DEP_2) | instskip(NEXT) | instid1(VALU_DEP_1)
	v_fma_f32 v4, -v27, v35, v4
	v_dual_fmac_f32 v17, v24, v30 :: v_dual_fmac_f32 v4, v38, v36
	s_delay_alu instid0(VALU_DEP_1) | instskip(NEXT) | instid1(VALU_DEP_2)
	v_fma_f32 v5, -v25, v31, v17
	v_fma_f32 v4, -v39, v37, v4
	s_waitcnt vmcnt(1)
	s_delay_alu instid0(VALU_DEP_1) | instskip(NEXT) | instid1(VALU_DEP_1)
	v_dual_fmac_f32 v5, v20, v32 :: v_dual_fmac_f32 v4, v42, v46
	v_fma_f32 v5, -v21, v33, v5
	v_fmac_f32_e32 v14, v45, v46
	v_fmac_f32_e32 v13, v27, v34
	s_delay_alu instid0(VALU_DEP_4) | instskip(NEXT) | instid1(VALU_DEP_4)
	v_fma_f32 v4, -v43, v47, v4
	v_fmac_f32_e32 v5, v28, v34
	s_delay_alu instid0(VALU_DEP_4) | instskip(NEXT) | instid1(VALU_DEP_4)
	v_fmac_f32_e32 v14, v44, v47
	v_fmac_f32_e32 v13, v26, v35
	s_waitcnt vmcnt(0)
	v_fmac_f32_e32 v4, v50, v48
	v_fma_f32 v5, -v29, v35, v5
	v_fmac_f32_e32 v14, v53, v48
	v_fmac_f32_e32 v13, v39, v36
	s_delay_alu instid0(VALU_DEP_4) | instskip(NEXT) | instid1(VALU_DEP_4)
	v_fma_f32 v16, -v51, v49, v4
	v_fmac_f32_e32 v5, v40, v36
	s_delay_alu instid0(VALU_DEP_4) | instskip(NEXT) | instid1(VALU_DEP_4)
	v_fmac_f32_e32 v14, v52, v49
	v_fmac_f32_e32 v13, v38, v37
	s_delay_alu instid0(VALU_DEP_3) | instskip(NEXT) | instid1(VALU_DEP_2)
	v_fma_f32 v5, -v41, v37, v5
	v_fmac_f32_e32 v13, v43, v46
	s_delay_alu instid0(VALU_DEP_2) | instskip(NEXT) | instid1(VALU_DEP_2)
	v_fmac_f32_e32 v5, v44, v46
	v_fmac_f32_e32 v13, v42, v47
	s_delay_alu instid0(VALU_DEP_2) | instskip(NEXT) | instid1(VALU_DEP_2)
	v_fma_f32 v5, -v45, v47, v5
	v_fmac_f32_e32 v13, v51, v48
	s_delay_alu instid0(VALU_DEP_2) | instskip(NEXT) | instid1(VALU_DEP_2)
	v_fmac_f32_e32 v5, v52, v48
	v_fmac_f32_e32 v13, v50, v49
	s_delay_alu instid0(VALU_DEP_2)
	v_fma_f32 v17, -v53, v49, v5
	s_and_not1_b32 exec_lo, exec_lo, s13
	s_cbranch_execnz .LBB172_12
; %bb.13:
	s_or_b32 exec_lo, exec_lo, s13
.LBB172_14:
	s_delay_alu instid0(SALU_CYCLE_1) | instskip(NEXT) | instid1(SALU_CYCLE_1)
	s_or_b32 exec_lo, exec_lo, s5
	s_and_not1_b32 vcc_lo, exec_lo, s4
	s_cbranch_vccz .LBB172_19
	s_branch .LBB172_24
.LBB172_15:
	v_dual_mov_b32 v1, s4 :: v_dual_mov_b32 v2, s5
	flat_load_b32 v9, v[1:2]
	v_cndmask_b32_e64 v1, 0, 1, s6
	v_mov_b32_e32 v10, s5
	s_and_not1_b32 vcc_lo, exec_lo, s6
	s_cbranch_vccnz .LBB172_2
.LBB172_16:
	v_dual_mov_b32 v2, s4 :: v_dual_mov_b32 v3, s5
	flat_load_b32 v10, v[2:3] offset:4
	v_cmp_ne_u32_e32 vcc_lo, 1, v1
	v_mov_b32_e32 v11, s2
	s_cbranch_vccnz .LBB172_3
.LBB172_17:
	v_dual_mov_b32 v2, s2 :: v_dual_mov_b32 v3, s3
	flat_load_b32 v11, v[2:3]
	v_cmp_ne_u32_e32 vcc_lo, 1, v1
	v_mov_b32_e32 v12, s3
	s_cbranch_vccz .LBB172_4
	s_branch .LBB172_5
.LBB172_18:
                                        ; implicit-def: $vgpr13
                                        ; implicit-def: $vgpr16
                                        ; implicit-def: $vgpr17
                                        ; implicit-def: $vgpr14
.LBB172_19:
	v_dual_mov_b32 v13, 0 :: v_dual_mov_b32 v16, 0
	v_dual_mov_b32 v17, 0 :: v_dual_mov_b32 v14, 0
	s_delay_alu instid0(VALU_DEP_3)
	s_and_saveexec_b32 s3, s2
	s_cbranch_execz .LBB172_23
; %bb.20:
	v_mad_u64_u32 v[4:5], null, v2, 12, 11
	v_dual_mov_b32 v7, 0 :: v_dual_mov_b32 v16, 0
	v_dual_mov_b32 v13, 0 :: v_dual_mov_b32 v14, 0
	v_mov_b32_e32 v17, 0
	s_mov_b32 s2, 0
.LBB172_21:                             ; =>This Inner Loop Header: Depth=1
	v_ashrrev_i32_e32 v3, 31, v2
	v_dual_mov_b32 v19, v7 :: v_dual_add_nc_u32 v18, -5, v4
	v_mov_b32_e32 v35, v7
	s_delay_alu instid0(VALU_DEP_3) | instskip(SKIP_1) | instid1(VALU_DEP_4)
	v_lshlrev_b64 v[5:6], 2, v[2:3]
	v_add_nc_u32_e32 v2, 4, v2
	v_lshlrev_b64 v[18:19], 3, v[18:19]
	s_delay_alu instid0(VALU_DEP_3) | instskip(NEXT) | instid1(VALU_DEP_4)
	v_add_co_u32 v5, vcc_lo, s6, v5
	v_add_co_ci_u32_e32 v6, vcc_lo, s7, v6, vcc_lo
	global_load_b32 v3, v[5:6], off
	v_dual_mov_b32 v5, v7 :: v_dual_add_nc_u32 v6, -11, v4
	s_delay_alu instid0(VALU_DEP_1) | instskip(SKIP_1) | instid1(VALU_DEP_3)
	v_lshlrev_b64 v[20:21], 3, v[6:7]
	v_add_nc_u32_e32 v6, -4, v4
	v_lshlrev_b64 v[22:23], 3, v[4:5]
	s_delay_alu instid0(VALU_DEP_2) | instskip(NEXT) | instid1(VALU_DEP_4)
	v_lshlrev_b64 v[5:6], 3, v[6:7]
	v_add_co_u32 v24, vcc_lo, s8, v20
	v_add_co_ci_u32_e32 v25, vcc_lo, s9, v21, vcc_lo
	v_add_co_u32 v26, vcc_lo, s8, v18
	v_add_co_ci_u32_e32 v27, vcc_lo, s9, v19, vcc_lo
	;; [unrolled: 2-line block ×4, first 2 shown]
	s_clause 0x3
	global_load_b128 v[18:21], v[24:25], off offset:16
	global_load_b128 v[22:25], v[24:25], off
	global_load_b64 v[40:41], v[26:27], off
	global_load_b64 v[42:43], v[5:6], off
	s_waitcnt vmcnt(4)
	v_subrev_nc_u32_e32 v3, s12, v3
	s_delay_alu instid0(VALU_DEP_1) | instskip(NEXT) | instid1(VALU_DEP_1)
	v_mul_lo_u32 v34, v3, 6
	v_lshlrev_b64 v[26:27], 3, v[34:35]
	s_delay_alu instid0(VALU_DEP_1) | instskip(NEXT) | instid1(VALU_DEP_2)
	v_add_co_u32 v26, vcc_lo, s10, v26
	v_add_co_ci_u32_e32 v27, vcc_lo, s11, v27, vcc_lo
	global_load_b128 v[26:29], v[26:27], off
	v_add_nc_u32_e32 v6, 2, v34
	s_delay_alu instid0(VALU_DEP_1) | instskip(SKIP_1) | instid1(VALU_DEP_1)
	v_lshlrev_b64 v[30:31], 3, v[6:7]
	v_add_nc_u32_e32 v6, -3, v4
	v_lshlrev_b64 v[32:33], 3, v[6:7]
	s_delay_alu instid0(VALU_DEP_3) | instskip(NEXT) | instid1(VALU_DEP_4)
	v_add_co_u32 v30, vcc_lo, s10, v30
	v_add_co_ci_u32_e32 v31, vcc_lo, s11, v31, vcc_lo
	s_delay_alu instid0(VALU_DEP_3) | instskip(NEXT) | instid1(VALU_DEP_4)
	v_add_co_u32 v44, vcc_lo, s8, v32
	v_add_co_ci_u32_e32 v45, vcc_lo, s9, v33, vcc_lo
	global_load_b128 v[30:33], v[30:31], off
	v_add_nc_u32_e32 v6, -2, v4
	global_load_b64 v[44:45], v[44:45], off
	s_waitcnt vmcnt(2)
	v_fmac_f32_e32 v13, v23, v26
	v_fmac_f32_e32 v17, v40, v26
	v_lshlrev_b64 v[35:36], 3, v[6:7]
	s_delay_alu instid0(VALU_DEP_3) | instskip(SKIP_1) | instid1(VALU_DEP_4)
	v_fmac_f32_e32 v13, v22, v27
	v_fmac_f32_e32 v16, v22, v26
	v_fma_f32 v8, -v41, v27, v17
	s_delay_alu instid0(VALU_DEP_3) | instskip(SKIP_1) | instid1(VALU_DEP_4)
	v_fmac_f32_e32 v13, v25, v28
	v_add_nc_u32_e32 v6, -7, v4
	v_fma_f32 v3, -v23, v27, v16
	s_delay_alu instid0(VALU_DEP_3) | instskip(NEXT) | instid1(VALU_DEP_3)
	v_fmac_f32_e32 v13, v24, v29
	v_lshlrev_b64 v[46:47], 3, v[6:7]
	s_delay_alu instid0(VALU_DEP_3) | instskip(SKIP_2) | instid1(VALU_DEP_4)
	v_dual_fmac_f32 v3, v24, v28 :: v_dual_add_nc_u32 v6, 4, v34
	v_add_co_u32 v34, vcc_lo, s8, v35
	v_add_co_ci_u32_e32 v35, vcc_lo, s9, v36, vcc_lo
	v_add_co_u32 v46, vcc_lo, s8, v46
	s_delay_alu instid0(VALU_DEP_4)
	v_lshlrev_b64 v[36:37], 3, v[6:7]
	v_add_co_ci_u32_e32 v47, vcc_lo, s9, v47, vcc_lo
	v_fma_f32 v3, -v25, v29, v3
	s_waitcnt vmcnt(1)
	v_dual_fmac_f32 v13, v19, v30 :: v_dual_add_nc_u32 v6, -1, v4
	s_clause 0x1
	global_load_b64 v[46:47], v[46:47], off
	global_load_b64 v[48:49], v[34:35], off
	v_fmac_f32_e32 v3, v18, v30
	v_lshlrev_b64 v[34:35], 3, v[6:7]
	v_add_co_u32 v36, vcc_lo, s10, v36
	v_add_nc_u32_e32 v6, -6, v4
	v_add_co_ci_u32_e32 v37, vcc_lo, s11, v37, vcc_lo
	s_delay_alu instid0(VALU_DEP_4) | instskip(SKIP_1) | instid1(VALU_DEP_4)
	v_add_co_u32 v50, vcc_lo, s8, v34
	v_add_co_ci_u32_e32 v51, vcc_lo, s9, v35, vcc_lo
	v_lshlrev_b64 v[5:6], 3, v[6:7]
	global_load_b128 v[34:37], v[36:37], off
	global_load_b64 v[50:51], v[50:51], off
	v_dual_fmac_f32 v14, v41, v26 :: v_dual_fmac_f32 v13, v18, v31
	v_fma_f32 v3, -v19, v31, v3
	v_add_co_u32 v5, vcc_lo, s8, v5
	v_add_co_ci_u32_e32 v6, vcc_lo, s9, v6, vcc_lo
	s_clause 0x1
	global_load_b64 v[5:6], v[5:6], off
	global_load_b64 v[38:39], v[38:39], off
	v_dual_fmac_f32 v14, v40, v27 :: v_dual_fmac_f32 v13, v21, v32
	v_fmac_f32_e32 v3, v20, v32
	v_fmac_f32_e32 v8, v42, v28
	v_cmp_ge_i32_e32 vcc_lo, v2, v15
	s_delay_alu instid0(VALU_DEP_4) | instskip(NEXT) | instid1(VALU_DEP_4)
	v_dual_fmac_f32 v13, v20, v33 :: v_dual_add_nc_u32 v4, 48, v4
	v_fma_f32 v3, -v21, v33, v3
	v_fmac_f32_e32 v14, v43, v28
	v_fma_f32 v8, -v43, v29, v8
	s_or_b32 s2, vcc_lo, s2
	s_waitcnt vmcnt(3)
	v_fmac_f32_e32 v3, v46, v34
	v_dual_fmac_f32 v14, v42, v29 :: v_dual_fmac_f32 v13, v47, v34
	v_fmac_f32_e32 v8, v44, v30
	s_delay_alu instid0(VALU_DEP_3) | instskip(NEXT) | instid1(VALU_DEP_3)
	v_fma_f32 v3, -v47, v35, v3
	v_dual_fmac_f32 v13, v46, v35 :: v_dual_fmac_f32 v14, v45, v30
	s_delay_alu instid0(VALU_DEP_3) | instskip(SKIP_1) | instid1(VALU_DEP_3)
	v_fma_f32 v8, -v45, v31, v8
	s_waitcnt vmcnt(1)
	v_fmac_f32_e32 v3, v5, v36
	s_delay_alu instid0(VALU_DEP_3) | instskip(NEXT) | instid1(VALU_DEP_3)
	v_dual_fmac_f32 v13, v6, v36 :: v_dual_fmac_f32 v14, v44, v31
	v_fmac_f32_e32 v8, v48, v32
	s_delay_alu instid0(VALU_DEP_3) | instskip(NEXT) | instid1(VALU_DEP_3)
	v_fma_f32 v16, -v6, v37, v3
	v_fmac_f32_e32 v13, v5, v37
	s_delay_alu instid0(VALU_DEP_4) | instskip(NEXT) | instid1(VALU_DEP_4)
	v_fmac_f32_e32 v14, v49, v32
	v_fma_f32 v8, -v49, v33, v8
	s_delay_alu instid0(VALU_DEP_2) | instskip(NEXT) | instid1(VALU_DEP_2)
	v_fmac_f32_e32 v14, v48, v33
	v_fmac_f32_e32 v8, v50, v34
	s_delay_alu instid0(VALU_DEP_2) | instskip(NEXT) | instid1(VALU_DEP_2)
	v_fmac_f32_e32 v14, v51, v34
	v_fma_f32 v8, -v51, v35, v8
	s_delay_alu instid0(VALU_DEP_2) | instskip(SKIP_1) | instid1(VALU_DEP_2)
	v_fmac_f32_e32 v14, v50, v35
	s_waitcnt vmcnt(0)
	v_fmac_f32_e32 v8, v38, v36
	s_delay_alu instid0(VALU_DEP_2) | instskip(NEXT) | instid1(VALU_DEP_2)
	v_fmac_f32_e32 v14, v39, v36
	v_fma_f32 v17, -v39, v37, v8
	s_delay_alu instid0(VALU_DEP_2)
	v_fmac_f32_e32 v14, v38, v37
	s_and_not1_b32 exec_lo, exec_lo, s2
	s_cbranch_execnz .LBB172_21
; %bb.22:
	s_or_b32 exec_lo, exec_lo, s2
.LBB172_23:
	s_delay_alu instid0(SALU_CYCLE_1)
	s_or_b32 exec_lo, exec_lo, s3
.LBB172_24:
	v_mbcnt_lo_u32_b32 v2, -1, 0
	s_delay_alu instid0(VALU_DEP_1) | instskip(SKIP_1) | instid1(VALU_DEP_2)
	v_xor_b32_e32 v3, 2, v2
	v_xor_b32_e32 v7, 1, v2
	v_cmp_gt_i32_e32 vcc_lo, 32, v3
	v_cndmask_b32_e32 v3, v2, v3, vcc_lo
	s_delay_alu instid0(VALU_DEP_3) | instskip(NEXT) | instid1(VALU_DEP_2)
	v_cmp_gt_i32_e32 vcc_lo, 32, v7
	v_lshlrev_b32_e32 v3, 2, v3
	v_cndmask_b32_e32 v2, v2, v7, vcc_lo
	v_cmp_eq_u32_e32 vcc_lo, 3, v0
	ds_bpermute_b32 v6, v3, v17
	v_lshlrev_b32_e32 v7, 2, v2
	s_waitcnt lgkmcnt(0)
	v_add_f32_e32 v2, v17, v6
	ds_bpermute_b32 v4, v3, v16
	ds_bpermute_b32 v5, v3, v13
	;; [unrolled: 1-line block ×4, first 2 shown]
	s_waitcnt lgkmcnt(2)
	v_dual_add_f32 v4, v16, v4 :: v_dual_add_f32 v5, v13, v5
	s_waitcnt lgkmcnt(1)
	v_add_f32_e32 v3, v14, v3
	ds_bpermute_b32 v8, v7, v4
	ds_bpermute_b32 v13, v7, v5
	;; [unrolled: 1-line block ×3, first 2 shown]
	s_and_b32 exec_lo, exec_lo, vcc_lo
	s_cbranch_execz .LBB172_29
; %bb.25:
	s_load_b64 s[2:3], s[0:1], 0x38
	v_cmp_eq_f32_e32 vcc_lo, 0, v11
	v_cmp_eq_f32_e64 s0, 0, v12
	s_waitcnt lgkmcnt(0)
	v_dual_add_f32 v0, v4, v8 :: v_dual_add_f32 v3, v3, v7
	v_add_f32_e32 v4, v5, v13
	v_add_f32_e32 v2, v2, v6
	s_and_b32 s0, vcc_lo, s0
	s_delay_alu instid0(SALU_CYCLE_1) | instskip(NEXT) | instid1(SALU_CYCLE_1)
	s_and_saveexec_b32 s1, s0
	s_xor_b32 s0, exec_lo, s1
	s_cbranch_execz .LBB172_27
; %bb.26:
	v_mul_f32_e64 v5, v4, -v10
	v_mul_f32_e32 v6, v4, v9
	v_mul_f32_e64 v7, v3, -v10
	v_mul_f32_e32 v8, v3, v9
                                        ; implicit-def: $vgpr4
                                        ; implicit-def: $vgpr3
	s_delay_alu instid0(VALU_DEP_4) | instskip(NEXT) | instid1(VALU_DEP_4)
	v_fmac_f32_e32 v5, v9, v0
	v_dual_fmac_f32 v6, v10, v0 :: v_dual_lshlrev_b32 v11, 1, v1
	s_delay_alu instid0(VALU_DEP_4) | instskip(NEXT) | instid1(VALU_DEP_4)
	v_fmac_f32_e32 v7, v9, v2
	v_fmac_f32_e32 v8, v10, v2
                                        ; implicit-def: $vgpr9
                                        ; implicit-def: $vgpr10
                                        ; implicit-def: $vgpr2
	s_delay_alu instid0(VALU_DEP_3) | instskip(NEXT) | instid1(VALU_DEP_1)
	v_ashrrev_i32_e32 v12, 31, v11
	v_lshlrev_b64 v[11:12], 3, v[11:12]
	s_delay_alu instid0(VALU_DEP_1) | instskip(NEXT) | instid1(VALU_DEP_2)
	v_add_co_u32 v0, vcc_lo, s2, v11
	v_add_co_ci_u32_e32 v1, vcc_lo, s3, v12, vcc_lo
                                        ; implicit-def: $vgpr11
                                        ; implicit-def: $vgpr12
	global_store_b128 v[0:1], v[5:8], off
                                        ; implicit-def: $vgpr1
                                        ; implicit-def: $vgpr0
.LBB172_27:
	s_and_not1_saveexec_b32 s0, s0
	s_cbranch_execz .LBB172_29
; %bb.28:
	v_lshlrev_b32_e32 v5, 1, v1
	v_mul_f32_e64 v15, v4, -v10
	v_mul_f32_e32 v1, v4, v9
	v_mul_f32_e64 v4, v3, -v10
	v_mul_f32_e32 v3, v3, v9
	s_delay_alu instid0(VALU_DEP_4) | instskip(NEXT) | instid1(VALU_DEP_3)
	v_fmac_f32_e32 v15, v9, v0
	v_fmac_f32_e32 v4, v9, v2
	v_ashrrev_i32_e32 v6, 31, v5
	s_delay_alu instid0(VALU_DEP_4) | instskip(NEXT) | instid1(VALU_DEP_2)
	v_fmac_f32_e32 v3, v10, v2
	v_lshlrev_b64 v[5:6], 3, v[5:6]
	s_delay_alu instid0(VALU_DEP_1) | instskip(NEXT) | instid1(VALU_DEP_2)
	v_add_co_u32 v13, vcc_lo, s2, v5
	v_add_co_ci_u32_e32 v14, vcc_lo, s3, v6, vcc_lo
	global_load_b128 v[5:8], v[13:14], off
	s_waitcnt vmcnt(0)
	v_dual_fmac_f32 v4, v11, v7 :: v_dual_fmac_f32 v1, v10, v0
	v_fmac_f32_e32 v15, v11, v5
	v_fmac_f32_e32 v3, v12, v7
	s_delay_alu instid0(VALU_DEP_3) | instskip(NEXT) | instid1(VALU_DEP_4)
	v_fma_f32 v2, -v12, v8, v4
	v_fmac_f32_e32 v1, v12, v5
	s_delay_alu instid0(VALU_DEP_4) | instskip(NEXT) | instid1(VALU_DEP_4)
	v_fma_f32 v0, -v12, v6, v15
	v_fmac_f32_e32 v3, v11, v8
	s_delay_alu instid0(VALU_DEP_3)
	v_fmac_f32_e32 v1, v11, v6
	global_store_b128 v[13:14], v[0:3], off
.LBB172_29:
	s_nop 0
	s_sendmsg sendmsg(MSG_DEALLOC_VGPRS)
	s_endpgm
	.section	.rodata,"a",@progbits
	.p2align	6, 0x0
	.amdhsa_kernel _ZN9rocsparseL19gebsrmvn_2xn_kernelILj128ELj6ELj4E21rocsparse_complex_numIfEEEvi20rocsparse_direction_NS_24const_host_device_scalarIT2_EEPKiS8_PKS5_SA_S6_PS5_21rocsparse_index_base_b
		.amdhsa_group_segment_fixed_size 0
		.amdhsa_private_segment_fixed_size 0
		.amdhsa_kernarg_size 72
		.amdhsa_user_sgpr_count 15
		.amdhsa_user_sgpr_dispatch_ptr 0
		.amdhsa_user_sgpr_queue_ptr 0
		.amdhsa_user_sgpr_kernarg_segment_ptr 1
		.amdhsa_user_sgpr_dispatch_id 0
		.amdhsa_user_sgpr_private_segment_size 0
		.amdhsa_wavefront_size32 1
		.amdhsa_uses_dynamic_stack 0
		.amdhsa_enable_private_segment 0
		.amdhsa_system_sgpr_workgroup_id_x 1
		.amdhsa_system_sgpr_workgroup_id_y 0
		.amdhsa_system_sgpr_workgroup_id_z 0
		.amdhsa_system_sgpr_workgroup_info 0
		.amdhsa_system_vgpr_workitem_id 0
		.amdhsa_next_free_vgpr 54
		.amdhsa_next_free_sgpr 16
		.amdhsa_reserve_vcc 1
		.amdhsa_float_round_mode_32 0
		.amdhsa_float_round_mode_16_64 0
		.amdhsa_float_denorm_mode_32 3
		.amdhsa_float_denorm_mode_16_64 3
		.amdhsa_dx10_clamp 1
		.amdhsa_ieee_mode 1
		.amdhsa_fp16_overflow 0
		.amdhsa_workgroup_processor_mode 1
		.amdhsa_memory_ordered 1
		.amdhsa_forward_progress 0
		.amdhsa_shared_vgpr_count 0
		.amdhsa_exception_fp_ieee_invalid_op 0
		.amdhsa_exception_fp_denorm_src 0
		.amdhsa_exception_fp_ieee_div_zero 0
		.amdhsa_exception_fp_ieee_overflow 0
		.amdhsa_exception_fp_ieee_underflow 0
		.amdhsa_exception_fp_ieee_inexact 0
		.amdhsa_exception_int_div_zero 0
	.end_amdhsa_kernel
	.section	.text._ZN9rocsparseL19gebsrmvn_2xn_kernelILj128ELj6ELj4E21rocsparse_complex_numIfEEEvi20rocsparse_direction_NS_24const_host_device_scalarIT2_EEPKiS8_PKS5_SA_S6_PS5_21rocsparse_index_base_b,"axG",@progbits,_ZN9rocsparseL19gebsrmvn_2xn_kernelILj128ELj6ELj4E21rocsparse_complex_numIfEEEvi20rocsparse_direction_NS_24const_host_device_scalarIT2_EEPKiS8_PKS5_SA_S6_PS5_21rocsparse_index_base_b,comdat
.Lfunc_end172:
	.size	_ZN9rocsparseL19gebsrmvn_2xn_kernelILj128ELj6ELj4E21rocsparse_complex_numIfEEEvi20rocsparse_direction_NS_24const_host_device_scalarIT2_EEPKiS8_PKS5_SA_S6_PS5_21rocsparse_index_base_b, .Lfunc_end172-_ZN9rocsparseL19gebsrmvn_2xn_kernelILj128ELj6ELj4E21rocsparse_complex_numIfEEEvi20rocsparse_direction_NS_24const_host_device_scalarIT2_EEPKiS8_PKS5_SA_S6_PS5_21rocsparse_index_base_b
                                        ; -- End function
	.section	.AMDGPU.csdata,"",@progbits
; Kernel info:
; codeLenInByte = 2640
; NumSgprs: 18
; NumVgprs: 54
; ScratchSize: 0
; MemoryBound: 0
; FloatMode: 240
; IeeeMode: 1
; LDSByteSize: 0 bytes/workgroup (compile time only)
; SGPRBlocks: 2
; VGPRBlocks: 6
; NumSGPRsForWavesPerEU: 18
; NumVGPRsForWavesPerEU: 54
; Occupancy: 16
; WaveLimiterHint : 1
; COMPUTE_PGM_RSRC2:SCRATCH_EN: 0
; COMPUTE_PGM_RSRC2:USER_SGPR: 15
; COMPUTE_PGM_RSRC2:TRAP_HANDLER: 0
; COMPUTE_PGM_RSRC2:TGID_X_EN: 1
; COMPUTE_PGM_RSRC2:TGID_Y_EN: 0
; COMPUTE_PGM_RSRC2:TGID_Z_EN: 0
; COMPUTE_PGM_RSRC2:TIDIG_COMP_CNT: 0
	.section	.text._ZN9rocsparseL19gebsrmvn_2xn_kernelILj128ELj6ELj8E21rocsparse_complex_numIfEEEvi20rocsparse_direction_NS_24const_host_device_scalarIT2_EEPKiS8_PKS5_SA_S6_PS5_21rocsparse_index_base_b,"axG",@progbits,_ZN9rocsparseL19gebsrmvn_2xn_kernelILj128ELj6ELj8E21rocsparse_complex_numIfEEEvi20rocsparse_direction_NS_24const_host_device_scalarIT2_EEPKiS8_PKS5_SA_S6_PS5_21rocsparse_index_base_b,comdat
	.globl	_ZN9rocsparseL19gebsrmvn_2xn_kernelILj128ELj6ELj8E21rocsparse_complex_numIfEEEvi20rocsparse_direction_NS_24const_host_device_scalarIT2_EEPKiS8_PKS5_SA_S6_PS5_21rocsparse_index_base_b ; -- Begin function _ZN9rocsparseL19gebsrmvn_2xn_kernelILj128ELj6ELj8E21rocsparse_complex_numIfEEEvi20rocsparse_direction_NS_24const_host_device_scalarIT2_EEPKiS8_PKS5_SA_S6_PS5_21rocsparse_index_base_b
	.p2align	8
	.type	_ZN9rocsparseL19gebsrmvn_2xn_kernelILj128ELj6ELj8E21rocsparse_complex_numIfEEEvi20rocsparse_direction_NS_24const_host_device_scalarIT2_EEPKiS8_PKS5_SA_S6_PS5_21rocsparse_index_base_b,@function
_ZN9rocsparseL19gebsrmvn_2xn_kernelILj128ELj6ELj8E21rocsparse_complex_numIfEEEvi20rocsparse_direction_NS_24const_host_device_scalarIT2_EEPKiS8_PKS5_SA_S6_PS5_21rocsparse_index_base_b: ; @_ZN9rocsparseL19gebsrmvn_2xn_kernelILj128ELj6ELj8E21rocsparse_complex_numIfEEEvi20rocsparse_direction_NS_24const_host_device_scalarIT2_EEPKiS8_PKS5_SA_S6_PS5_21rocsparse_index_base_b
; %bb.0:
	s_clause 0x2
	s_load_b64 s[12:13], s[0:1], 0x40
	s_load_b64 s[4:5], s[0:1], 0x8
	;; [unrolled: 1-line block ×3, first 2 shown]
	s_waitcnt lgkmcnt(0)
	s_bitcmp1_b32 s13, 0
	v_mov_b32_e32 v9, s4
	s_cselect_b32 s6, -1, 0
	s_delay_alu instid0(SALU_CYCLE_1)
	s_and_b32 vcc_lo, exec_lo, s6
	s_xor_b32 s6, s6, -1
	s_cbranch_vccz .LBB173_15
; %bb.1:
	v_cndmask_b32_e64 v1, 0, 1, s6
	v_mov_b32_e32 v10, s5
	s_and_not1_b32 vcc_lo, exec_lo, s6
	s_cbranch_vccz .LBB173_16
.LBB173_2:
	s_delay_alu instid0(VALU_DEP_2)
	v_cmp_ne_u32_e32 vcc_lo, 1, v1
	v_mov_b32_e32 v11, s2
	s_cbranch_vccz .LBB173_17
.LBB173_3:
	v_cmp_ne_u32_e32 vcc_lo, 1, v1
	v_mov_b32_e32 v12, s3
	s_cbranch_vccnz .LBB173_5
.LBB173_4:
	v_dual_mov_b32 v1, s2 :: v_dual_mov_b32 v2, s3
	flat_load_b32 v12, v[1:2] offset:4
.LBB173_5:
	s_waitcnt vmcnt(0) lgkmcnt(0)
	v_cmp_eq_f32_e32 vcc_lo, 0, v9
	v_cmp_eq_f32_e64 s2, 0, v10
	s_delay_alu instid0(VALU_DEP_1)
	s_and_b32 s4, vcc_lo, s2
	s_mov_b32 s2, -1
	s_and_saveexec_b32 s3, s4
; %bb.6:
	v_cmp_neq_f32_e32 vcc_lo, 1.0, v11
	v_cmp_neq_f32_e64 s2, 0, v12
	s_delay_alu instid0(VALU_DEP_1) | instskip(NEXT) | instid1(SALU_CYCLE_1)
	s_or_b32 s2, vcc_lo, s2
	s_or_not1_b32 s2, s2, exec_lo
; %bb.7:
	s_or_b32 exec_lo, exec_lo, s3
	s_and_saveexec_b32 s3, s2
	s_cbranch_execz .LBB173_29
; %bb.8:
	s_load_b64 s[2:3], s[0:1], 0x0
	v_lshrrev_b32_e32 v1, 3, v0
	s_delay_alu instid0(VALU_DEP_1) | instskip(SKIP_1) | instid1(VALU_DEP_1)
	v_lshl_or_b32 v1, s15, 4, v1
	s_waitcnt lgkmcnt(0)
	v_cmp_gt_i32_e32 vcc_lo, s2, v1
	s_and_b32 exec_lo, exec_lo, vcc_lo
	s_cbranch_execz .LBB173_29
; %bb.9:
	s_load_b256 s[4:11], s[0:1], 0x10
	v_ashrrev_i32_e32 v2, 31, v1
	v_and_b32_e32 v0, 7, v0
	s_cmp_lg_u32 s3, 0
	s_delay_alu instid0(VALU_DEP_2) | instskip(SKIP_1) | instid1(VALU_DEP_1)
	v_lshlrev_b64 v[2:3], 2, v[1:2]
	s_waitcnt lgkmcnt(0)
	v_add_co_u32 v2, vcc_lo, s4, v2
	s_delay_alu instid0(VALU_DEP_2) | instskip(SKIP_4) | instid1(VALU_DEP_2)
	v_add_co_ci_u32_e32 v3, vcc_lo, s5, v3, vcc_lo
	global_load_b64 v[2:3], v[2:3], off
	s_waitcnt vmcnt(0)
	v_subrev_nc_u32_e32 v2, s12, v2
	v_subrev_nc_u32_e32 v15, s12, v3
	v_add_nc_u32_e32 v2, v2, v0
	s_delay_alu instid0(VALU_DEP_1)
	v_cmp_lt_i32_e64 s2, v2, v15
	s_cbranch_scc0 .LBB173_18
; %bb.10:
	v_dual_mov_b32 v13, 0 :: v_dual_mov_b32 v16, 0
	v_dual_mov_b32 v17, 0 :: v_dual_mov_b32 v14, 0
	s_mov_b32 s4, 0
	s_and_saveexec_b32 s5, s2
	s_cbranch_execz .LBB173_14
; %bb.11:
	v_mad_u64_u32 v[3:4], null, v2, 12, 10
	v_dual_mov_b32 v6, 0 :: v_dual_mov_b32 v7, v2
	v_dual_mov_b32 v13, 0 :: v_dual_mov_b32 v16, 0
	;; [unrolled: 1-line block ×3, first 2 shown]
	s_mov_b32 s13, 0
.LBB173_12:                             ; =>This Inner Loop Header: Depth=1
	s_delay_alu instid0(VALU_DEP_3) | instskip(NEXT) | instid1(VALU_DEP_1)
	v_ashrrev_i32_e32 v8, 31, v7
	v_lshlrev_b64 v[4:5], 2, v[7:8]
	v_add_nc_u32_e32 v7, 8, v7
	s_delay_alu instid0(VALU_DEP_2) | instskip(NEXT) | instid1(VALU_DEP_3)
	v_add_co_u32 v4, vcc_lo, s6, v4
	v_add_co_ci_u32_e32 v5, vcc_lo, s7, v5, vcc_lo
	global_load_b32 v8, v[4:5], off
	v_dual_mov_b32 v4, v6 :: v_dual_add_nc_u32 v5, -10, v3
	s_delay_alu instid0(VALU_DEP_1) | instskip(SKIP_1) | instid1(VALU_DEP_3)
	v_lshlrev_b64 v[18:19], 3, v[5:6]
	v_add_nc_u32_e32 v5, -6, v3
	v_lshlrev_b64 v[49:50], 3, v[3:4]
	s_delay_alu instid0(VALU_DEP_2) | instskip(NEXT) | instid1(VALU_DEP_4)
	v_lshlrev_b64 v[4:5], 3, v[5:6]
	v_add_co_u32 v22, vcc_lo, s8, v18
	v_add_co_ci_u32_e32 v23, vcc_lo, s9, v19, vcc_lo
	s_delay_alu instid0(VALU_DEP_4) | instskip(NEXT) | instid1(VALU_DEP_4)
	v_add_co_u32 v51, vcc_lo, s8, v49
	v_add_co_u32 v4, s3, s8, v4
	s_delay_alu instid0(VALU_DEP_1)
	v_add_co_ci_u32_e64 v5, s3, s9, v5, s3
	s_clause 0x2
	global_load_b128 v[18:21], v[22:23], off offset:16
	global_load_b128 v[22:25], v[22:23], off
	global_load_b128 v[26:29], v[4:5], off
	v_mov_b32_e32 v35, v6
	v_add_co_ci_u32_e32 v52, vcc_lo, s9, v50, vcc_lo
	v_cmp_ge_i32_e32 vcc_lo, v7, v15
	s_or_b32 s13, vcc_lo, s13
	s_waitcnt vmcnt(3)
	v_subrev_nc_u32_e32 v8, s12, v8
	s_delay_alu instid0(VALU_DEP_1) | instskip(NEXT) | instid1(VALU_DEP_1)
	v_mul_lo_u32 v34, v8, 6
	v_lshlrev_b64 v[30:31], 3, v[34:35]
	s_delay_alu instid0(VALU_DEP_1) | instskip(NEXT) | instid1(VALU_DEP_1)
	v_add_co_u32 v30, s3, s10, v30
	v_add_co_ci_u32_e64 v31, s3, s11, v31, s3
	global_load_b128 v[30:33], v[30:31], off
	v_add_nc_u32_e32 v5, 2, v34
	s_delay_alu instid0(VALU_DEP_1) | instskip(SKIP_1) | instid1(VALU_DEP_1)
	v_lshlrev_b64 v[35:36], 3, v[5:6]
	v_add_nc_u32_e32 v5, -4, v3
	v_lshlrev_b64 v[38:39], 3, v[5:6]
	s_delay_alu instid0(VALU_DEP_3) | instskip(SKIP_2) | instid1(VALU_DEP_4)
	v_add_co_u32 v35, s3, s10, v35
	v_add_nc_u32_e32 v5, -2, v3
	v_add_co_ci_u32_e64 v36, s3, s11, v36, s3
	v_add_co_u32 v38, s3, s8, v38
	s_delay_alu instid0(VALU_DEP_3)
	v_lshlrev_b64 v[42:43], 3, v[5:6]
	v_add_nc_u32_e32 v5, 4, v34
	global_load_b128 v[34:37], v[35:36], off
	v_add_co_ci_u32_e64 v39, s3, s9, v39, s3
	v_add_nc_u32_e32 v3, 0x60, v3
	v_add_co_u32 v42, s3, s8, v42
	global_load_b128 v[38:41], v[38:39], off
	v_add_co_ci_u32_e64 v43, s3, s9, v43, s3
	s_waitcnt vmcnt(2)
	v_fmac_f32_e32 v14, v25, v30
	v_fmac_f32_e32 v16, v22, v30
	s_delay_alu instid0(VALU_DEP_2) | instskip(NEXT) | instid1(VALU_DEP_1)
	v_fmac_f32_e32 v14, v24, v31
	v_fmac_f32_e32 v14, v21, v32
	s_delay_alu instid0(VALU_DEP_1) | instskip(SKIP_2) | instid1(VALU_DEP_2)
	v_fmac_f32_e32 v14, v20, v33
	v_lshlrev_b64 v[4:5], 3, v[5:6]
	s_waitcnt vmcnt(1)
	v_fmac_f32_e32 v14, v29, v34
	s_delay_alu instid0(VALU_DEP_2) | instskip(NEXT) | instid1(VALU_DEP_1)
	v_add_co_u32 v4, s3, s10, v4
	v_add_co_ci_u32_e64 v5, s3, s11, v5, s3
	global_load_b128 v[42:45], v[42:43], off
	global_load_b128 v[46:49], v[4:5], off
	global_load_b128 v[50:53], v[51:52], off
	v_fma_f32 v4, -v23, v31, v16
	v_dual_fmac_f32 v13, v23, v30 :: v_dual_fmac_f32 v14, v28, v35
	s_delay_alu instid0(VALU_DEP_2) | instskip(SKIP_1) | instid1(VALU_DEP_2)
	v_fmac_f32_e32 v4, v18, v32
	s_waitcnt vmcnt(3)
	v_dual_fmac_f32 v13, v22, v31 :: v_dual_fmac_f32 v14, v41, v36
	s_delay_alu instid0(VALU_DEP_2) | instskip(NEXT) | instid1(VALU_DEP_2)
	v_fma_f32 v4, -v19, v33, v4
	v_dual_fmac_f32 v13, v19, v32 :: v_dual_fmac_f32 v14, v40, v37
	s_delay_alu instid0(VALU_DEP_2) | instskip(NEXT) | instid1(VALU_DEP_2)
	v_fmac_f32_e32 v4, v26, v34
	v_fmac_f32_e32 v13, v18, v33
	s_delay_alu instid0(VALU_DEP_2) | instskip(NEXT) | instid1(VALU_DEP_1)
	v_fma_f32 v4, -v27, v35, v4
	v_dual_fmac_f32 v17, v24, v30 :: v_dual_fmac_f32 v4, v38, v36
	s_delay_alu instid0(VALU_DEP_1) | instskip(NEXT) | instid1(VALU_DEP_2)
	v_fma_f32 v5, -v25, v31, v17
	v_fma_f32 v4, -v39, v37, v4
	s_waitcnt vmcnt(1)
	s_delay_alu instid0(VALU_DEP_1) | instskip(NEXT) | instid1(VALU_DEP_1)
	v_dual_fmac_f32 v5, v20, v32 :: v_dual_fmac_f32 v4, v42, v46
	v_fma_f32 v5, -v21, v33, v5
	v_fmac_f32_e32 v14, v45, v46
	v_fmac_f32_e32 v13, v27, v34
	s_delay_alu instid0(VALU_DEP_4) | instskip(NEXT) | instid1(VALU_DEP_4)
	v_fma_f32 v4, -v43, v47, v4
	v_fmac_f32_e32 v5, v28, v34
	s_delay_alu instid0(VALU_DEP_4) | instskip(NEXT) | instid1(VALU_DEP_4)
	v_fmac_f32_e32 v14, v44, v47
	v_fmac_f32_e32 v13, v26, v35
	s_waitcnt vmcnt(0)
	v_fmac_f32_e32 v4, v50, v48
	v_fma_f32 v5, -v29, v35, v5
	v_fmac_f32_e32 v14, v53, v48
	v_fmac_f32_e32 v13, v39, v36
	s_delay_alu instid0(VALU_DEP_4) | instskip(NEXT) | instid1(VALU_DEP_4)
	v_fma_f32 v16, -v51, v49, v4
	v_fmac_f32_e32 v5, v40, v36
	s_delay_alu instid0(VALU_DEP_4) | instskip(NEXT) | instid1(VALU_DEP_4)
	v_fmac_f32_e32 v14, v52, v49
	v_fmac_f32_e32 v13, v38, v37
	s_delay_alu instid0(VALU_DEP_3) | instskip(NEXT) | instid1(VALU_DEP_2)
	v_fma_f32 v5, -v41, v37, v5
	v_fmac_f32_e32 v13, v43, v46
	s_delay_alu instid0(VALU_DEP_2) | instskip(NEXT) | instid1(VALU_DEP_2)
	v_fmac_f32_e32 v5, v44, v46
	v_fmac_f32_e32 v13, v42, v47
	s_delay_alu instid0(VALU_DEP_2) | instskip(NEXT) | instid1(VALU_DEP_2)
	v_fma_f32 v5, -v45, v47, v5
	v_fmac_f32_e32 v13, v51, v48
	s_delay_alu instid0(VALU_DEP_2) | instskip(NEXT) | instid1(VALU_DEP_2)
	v_fmac_f32_e32 v5, v52, v48
	v_fmac_f32_e32 v13, v50, v49
	s_delay_alu instid0(VALU_DEP_2)
	v_fma_f32 v17, -v53, v49, v5
	s_and_not1_b32 exec_lo, exec_lo, s13
	s_cbranch_execnz .LBB173_12
; %bb.13:
	s_or_b32 exec_lo, exec_lo, s13
.LBB173_14:
	s_delay_alu instid0(SALU_CYCLE_1) | instskip(NEXT) | instid1(SALU_CYCLE_1)
	s_or_b32 exec_lo, exec_lo, s5
	s_and_not1_b32 vcc_lo, exec_lo, s4
	s_cbranch_vccz .LBB173_19
	s_branch .LBB173_24
.LBB173_15:
	v_dual_mov_b32 v1, s4 :: v_dual_mov_b32 v2, s5
	flat_load_b32 v9, v[1:2]
	v_cndmask_b32_e64 v1, 0, 1, s6
	v_mov_b32_e32 v10, s5
	s_and_not1_b32 vcc_lo, exec_lo, s6
	s_cbranch_vccnz .LBB173_2
.LBB173_16:
	v_dual_mov_b32 v2, s4 :: v_dual_mov_b32 v3, s5
	flat_load_b32 v10, v[2:3] offset:4
	v_cmp_ne_u32_e32 vcc_lo, 1, v1
	v_mov_b32_e32 v11, s2
	s_cbranch_vccnz .LBB173_3
.LBB173_17:
	v_dual_mov_b32 v2, s2 :: v_dual_mov_b32 v3, s3
	flat_load_b32 v11, v[2:3]
	v_cmp_ne_u32_e32 vcc_lo, 1, v1
	v_mov_b32_e32 v12, s3
	s_cbranch_vccz .LBB173_4
	s_branch .LBB173_5
.LBB173_18:
                                        ; implicit-def: $vgpr13
                                        ; implicit-def: $vgpr16
                                        ; implicit-def: $vgpr17
                                        ; implicit-def: $vgpr14
.LBB173_19:
	v_dual_mov_b32 v13, 0 :: v_dual_mov_b32 v16, 0
	v_dual_mov_b32 v17, 0 :: v_dual_mov_b32 v14, 0
	s_delay_alu instid0(VALU_DEP_3)
	s_and_saveexec_b32 s3, s2
	s_cbranch_execz .LBB173_23
; %bb.20:
	v_mad_u64_u32 v[4:5], null, v2, 12, 11
	v_dual_mov_b32 v7, 0 :: v_dual_mov_b32 v16, 0
	v_dual_mov_b32 v13, 0 :: v_dual_mov_b32 v14, 0
	v_mov_b32_e32 v17, 0
	s_mov_b32 s2, 0
.LBB173_21:                             ; =>This Inner Loop Header: Depth=1
	v_ashrrev_i32_e32 v3, 31, v2
	v_dual_mov_b32 v19, v7 :: v_dual_add_nc_u32 v18, -5, v4
	v_mov_b32_e32 v35, v7
	s_delay_alu instid0(VALU_DEP_3) | instskip(SKIP_1) | instid1(VALU_DEP_4)
	v_lshlrev_b64 v[5:6], 2, v[2:3]
	v_add_nc_u32_e32 v2, 8, v2
	v_lshlrev_b64 v[18:19], 3, v[18:19]
	s_delay_alu instid0(VALU_DEP_3) | instskip(NEXT) | instid1(VALU_DEP_4)
	v_add_co_u32 v5, vcc_lo, s6, v5
	v_add_co_ci_u32_e32 v6, vcc_lo, s7, v6, vcc_lo
	global_load_b32 v3, v[5:6], off
	v_dual_mov_b32 v5, v7 :: v_dual_add_nc_u32 v6, -11, v4
	s_delay_alu instid0(VALU_DEP_1) | instskip(SKIP_1) | instid1(VALU_DEP_3)
	v_lshlrev_b64 v[20:21], 3, v[6:7]
	v_add_nc_u32_e32 v6, -4, v4
	v_lshlrev_b64 v[22:23], 3, v[4:5]
	s_delay_alu instid0(VALU_DEP_2) | instskip(NEXT) | instid1(VALU_DEP_4)
	v_lshlrev_b64 v[5:6], 3, v[6:7]
	v_add_co_u32 v24, vcc_lo, s8, v20
	v_add_co_ci_u32_e32 v25, vcc_lo, s9, v21, vcc_lo
	v_add_co_u32 v26, vcc_lo, s8, v18
	v_add_co_ci_u32_e32 v27, vcc_lo, s9, v19, vcc_lo
	;; [unrolled: 2-line block ×4, first 2 shown]
	s_clause 0x3
	global_load_b128 v[18:21], v[24:25], off offset:16
	global_load_b128 v[22:25], v[24:25], off
	global_load_b64 v[40:41], v[26:27], off
	global_load_b64 v[42:43], v[5:6], off
	s_waitcnt vmcnt(4)
	v_subrev_nc_u32_e32 v3, s12, v3
	s_delay_alu instid0(VALU_DEP_1) | instskip(NEXT) | instid1(VALU_DEP_1)
	v_mul_lo_u32 v34, v3, 6
	v_lshlrev_b64 v[26:27], 3, v[34:35]
	s_delay_alu instid0(VALU_DEP_1) | instskip(NEXT) | instid1(VALU_DEP_2)
	v_add_co_u32 v26, vcc_lo, s10, v26
	v_add_co_ci_u32_e32 v27, vcc_lo, s11, v27, vcc_lo
	global_load_b128 v[26:29], v[26:27], off
	v_add_nc_u32_e32 v6, 2, v34
	s_delay_alu instid0(VALU_DEP_1) | instskip(SKIP_1) | instid1(VALU_DEP_1)
	v_lshlrev_b64 v[30:31], 3, v[6:7]
	v_add_nc_u32_e32 v6, -3, v4
	v_lshlrev_b64 v[32:33], 3, v[6:7]
	s_delay_alu instid0(VALU_DEP_3) | instskip(NEXT) | instid1(VALU_DEP_4)
	v_add_co_u32 v30, vcc_lo, s10, v30
	v_add_co_ci_u32_e32 v31, vcc_lo, s11, v31, vcc_lo
	s_delay_alu instid0(VALU_DEP_3) | instskip(NEXT) | instid1(VALU_DEP_4)
	v_add_co_u32 v44, vcc_lo, s8, v32
	v_add_co_ci_u32_e32 v45, vcc_lo, s9, v33, vcc_lo
	global_load_b128 v[30:33], v[30:31], off
	v_add_nc_u32_e32 v6, -2, v4
	global_load_b64 v[44:45], v[44:45], off
	s_waitcnt vmcnt(2)
	v_fmac_f32_e32 v13, v23, v26
	v_fmac_f32_e32 v17, v40, v26
	v_lshlrev_b64 v[35:36], 3, v[6:7]
	s_delay_alu instid0(VALU_DEP_3) | instskip(SKIP_1) | instid1(VALU_DEP_4)
	v_fmac_f32_e32 v13, v22, v27
	v_fmac_f32_e32 v16, v22, v26
	v_fma_f32 v8, -v41, v27, v17
	s_delay_alu instid0(VALU_DEP_3) | instskip(SKIP_1) | instid1(VALU_DEP_4)
	v_fmac_f32_e32 v13, v25, v28
	v_add_nc_u32_e32 v6, -7, v4
	v_fma_f32 v3, -v23, v27, v16
	s_delay_alu instid0(VALU_DEP_3) | instskip(NEXT) | instid1(VALU_DEP_3)
	v_fmac_f32_e32 v13, v24, v29
	v_lshlrev_b64 v[46:47], 3, v[6:7]
	s_delay_alu instid0(VALU_DEP_3) | instskip(SKIP_2) | instid1(VALU_DEP_4)
	v_dual_fmac_f32 v3, v24, v28 :: v_dual_add_nc_u32 v6, 4, v34
	v_add_co_u32 v34, vcc_lo, s8, v35
	v_add_co_ci_u32_e32 v35, vcc_lo, s9, v36, vcc_lo
	v_add_co_u32 v46, vcc_lo, s8, v46
	s_delay_alu instid0(VALU_DEP_4)
	v_lshlrev_b64 v[36:37], 3, v[6:7]
	v_add_co_ci_u32_e32 v47, vcc_lo, s9, v47, vcc_lo
	v_fma_f32 v3, -v25, v29, v3
	s_waitcnt vmcnt(1)
	v_dual_fmac_f32 v13, v19, v30 :: v_dual_add_nc_u32 v6, -1, v4
	s_clause 0x1
	global_load_b64 v[46:47], v[46:47], off
	global_load_b64 v[48:49], v[34:35], off
	v_fmac_f32_e32 v3, v18, v30
	v_lshlrev_b64 v[34:35], 3, v[6:7]
	v_add_co_u32 v36, vcc_lo, s10, v36
	v_add_nc_u32_e32 v6, -6, v4
	v_add_co_ci_u32_e32 v37, vcc_lo, s11, v37, vcc_lo
	s_delay_alu instid0(VALU_DEP_4) | instskip(SKIP_1) | instid1(VALU_DEP_4)
	v_add_co_u32 v50, vcc_lo, s8, v34
	v_add_co_ci_u32_e32 v51, vcc_lo, s9, v35, vcc_lo
	v_lshlrev_b64 v[5:6], 3, v[6:7]
	global_load_b128 v[34:37], v[36:37], off
	global_load_b64 v[50:51], v[50:51], off
	v_dual_fmac_f32 v14, v41, v26 :: v_dual_fmac_f32 v13, v18, v31
	v_fma_f32 v3, -v19, v31, v3
	v_add_co_u32 v5, vcc_lo, s8, v5
	v_add_co_ci_u32_e32 v6, vcc_lo, s9, v6, vcc_lo
	s_clause 0x1
	global_load_b64 v[5:6], v[5:6], off
	global_load_b64 v[38:39], v[38:39], off
	v_dual_fmac_f32 v14, v40, v27 :: v_dual_fmac_f32 v13, v21, v32
	v_fmac_f32_e32 v3, v20, v32
	v_fmac_f32_e32 v8, v42, v28
	v_cmp_ge_i32_e32 vcc_lo, v2, v15
	s_delay_alu instid0(VALU_DEP_4) | instskip(NEXT) | instid1(VALU_DEP_4)
	v_dual_fmac_f32 v13, v20, v33 :: v_dual_add_nc_u32 v4, 0x60, v4
	v_fma_f32 v3, -v21, v33, v3
	v_fmac_f32_e32 v14, v43, v28
	v_fma_f32 v8, -v43, v29, v8
	s_or_b32 s2, vcc_lo, s2
	s_waitcnt vmcnt(3)
	v_fmac_f32_e32 v3, v46, v34
	v_dual_fmac_f32 v14, v42, v29 :: v_dual_fmac_f32 v13, v47, v34
	v_fmac_f32_e32 v8, v44, v30
	s_delay_alu instid0(VALU_DEP_3) | instskip(NEXT) | instid1(VALU_DEP_3)
	v_fma_f32 v3, -v47, v35, v3
	v_dual_fmac_f32 v13, v46, v35 :: v_dual_fmac_f32 v14, v45, v30
	s_delay_alu instid0(VALU_DEP_3) | instskip(SKIP_1) | instid1(VALU_DEP_3)
	v_fma_f32 v8, -v45, v31, v8
	s_waitcnt vmcnt(1)
	v_fmac_f32_e32 v3, v5, v36
	s_delay_alu instid0(VALU_DEP_3) | instskip(NEXT) | instid1(VALU_DEP_3)
	v_dual_fmac_f32 v13, v6, v36 :: v_dual_fmac_f32 v14, v44, v31
	v_fmac_f32_e32 v8, v48, v32
	s_delay_alu instid0(VALU_DEP_3) | instskip(NEXT) | instid1(VALU_DEP_3)
	v_fma_f32 v16, -v6, v37, v3
	v_fmac_f32_e32 v13, v5, v37
	s_delay_alu instid0(VALU_DEP_4) | instskip(NEXT) | instid1(VALU_DEP_4)
	v_fmac_f32_e32 v14, v49, v32
	v_fma_f32 v8, -v49, v33, v8
	s_delay_alu instid0(VALU_DEP_2) | instskip(NEXT) | instid1(VALU_DEP_2)
	v_fmac_f32_e32 v14, v48, v33
	v_fmac_f32_e32 v8, v50, v34
	s_delay_alu instid0(VALU_DEP_2) | instskip(NEXT) | instid1(VALU_DEP_2)
	v_fmac_f32_e32 v14, v51, v34
	v_fma_f32 v8, -v51, v35, v8
	s_delay_alu instid0(VALU_DEP_2) | instskip(SKIP_1) | instid1(VALU_DEP_2)
	v_fmac_f32_e32 v14, v50, v35
	s_waitcnt vmcnt(0)
	v_fmac_f32_e32 v8, v38, v36
	s_delay_alu instid0(VALU_DEP_2) | instskip(NEXT) | instid1(VALU_DEP_2)
	v_fmac_f32_e32 v14, v39, v36
	v_fma_f32 v17, -v39, v37, v8
	s_delay_alu instid0(VALU_DEP_2)
	v_fmac_f32_e32 v14, v38, v37
	s_and_not1_b32 exec_lo, exec_lo, s2
	s_cbranch_execnz .LBB173_21
; %bb.22:
	s_or_b32 exec_lo, exec_lo, s2
.LBB173_23:
	s_delay_alu instid0(SALU_CYCLE_1)
	s_or_b32 exec_lo, exec_lo, s3
.LBB173_24:
	v_mbcnt_lo_u32_b32 v2, -1, 0
	s_delay_alu instid0(VALU_DEP_1) | instskip(SKIP_2) | instid1(VALU_DEP_3)
	v_xor_b32_e32 v3, 4, v2
	v_xor_b32_e32 v7, 2, v2
	;; [unrolled: 1-line block ×3, first 2 shown]
	v_cmp_gt_i32_e32 vcc_lo, 32, v3
	v_cndmask_b32_e32 v3, v2, v3, vcc_lo
	s_delay_alu instid0(VALU_DEP_4) | instskip(NEXT) | instid1(VALU_DEP_2)
	v_cmp_gt_i32_e32 vcc_lo, 32, v7
	v_lshlrev_b32_e32 v3, 2, v3
	ds_bpermute_b32 v6, v3, v17
	s_waitcnt lgkmcnt(0)
	v_add_f32_e32 v6, v17, v6
	ds_bpermute_b32 v4, v3, v16
	ds_bpermute_b32 v5, v3, v13
	ds_bpermute_b32 v3, v3, v14
	s_waitcnt lgkmcnt(2)
	v_dual_add_f32 v4, v16, v4 :: v_dual_cndmask_b32 v7, v2, v7
	s_waitcnt lgkmcnt(0)
	v_add_f32_e32 v3, v14, v3
	v_cmp_gt_i32_e32 vcc_lo, 32, v15
	v_add_f32_e32 v5, v13, v5
	v_lshlrev_b32_e32 v7, 2, v7
	v_cndmask_b32_e32 v2, v2, v15, vcc_lo
	v_cmp_eq_u32_e32 vcc_lo, 7, v0
	ds_bpermute_b32 v14, v7, v6
	v_lshlrev_b32_e32 v15, 2, v2
	s_waitcnt lgkmcnt(0)
	v_add_f32_e32 v2, v6, v14
	ds_bpermute_b32 v8, v7, v4
	ds_bpermute_b32 v13, v7, v5
	;; [unrolled: 1-line block ×4, first 2 shown]
	s_waitcnt lgkmcnt(2)
	v_dual_add_f32 v4, v4, v8 :: v_dual_add_f32 v5, v5, v13
	s_waitcnt lgkmcnt(1)
	v_add_f32_e32 v3, v3, v7
	ds_bpermute_b32 v8, v15, v4
	ds_bpermute_b32 v13, v15, v5
	;; [unrolled: 1-line block ×3, first 2 shown]
	s_and_b32 exec_lo, exec_lo, vcc_lo
	s_cbranch_execz .LBB173_29
; %bb.25:
	s_load_b64 s[2:3], s[0:1], 0x38
	v_cmp_eq_f32_e32 vcc_lo, 0, v11
	v_cmp_eq_f32_e64 s0, 0, v12
	s_waitcnt lgkmcnt(0)
	v_dual_add_f32 v0, v4, v8 :: v_dual_add_f32 v3, v3, v7
	v_add_f32_e32 v4, v5, v13
	v_add_f32_e32 v2, v2, v6
	s_and_b32 s0, vcc_lo, s0
	s_delay_alu instid0(SALU_CYCLE_1) | instskip(NEXT) | instid1(SALU_CYCLE_1)
	s_and_saveexec_b32 s1, s0
	s_xor_b32 s0, exec_lo, s1
	s_cbranch_execz .LBB173_27
; %bb.26:
	v_mul_f32_e64 v5, v4, -v10
	v_mul_f32_e32 v6, v4, v9
	v_mul_f32_e64 v7, v3, -v10
	v_mul_f32_e32 v8, v3, v9
                                        ; implicit-def: $vgpr4
                                        ; implicit-def: $vgpr3
	s_delay_alu instid0(VALU_DEP_4) | instskip(NEXT) | instid1(VALU_DEP_4)
	v_fmac_f32_e32 v5, v9, v0
	v_dual_fmac_f32 v6, v10, v0 :: v_dual_lshlrev_b32 v11, 1, v1
	s_delay_alu instid0(VALU_DEP_4) | instskip(NEXT) | instid1(VALU_DEP_4)
	v_fmac_f32_e32 v7, v9, v2
	v_fmac_f32_e32 v8, v10, v2
                                        ; implicit-def: $vgpr9
                                        ; implicit-def: $vgpr10
                                        ; implicit-def: $vgpr2
	s_delay_alu instid0(VALU_DEP_3) | instskip(NEXT) | instid1(VALU_DEP_1)
	v_ashrrev_i32_e32 v12, 31, v11
	v_lshlrev_b64 v[11:12], 3, v[11:12]
	s_delay_alu instid0(VALU_DEP_1) | instskip(NEXT) | instid1(VALU_DEP_2)
	v_add_co_u32 v0, vcc_lo, s2, v11
	v_add_co_ci_u32_e32 v1, vcc_lo, s3, v12, vcc_lo
                                        ; implicit-def: $vgpr11
                                        ; implicit-def: $vgpr12
	global_store_b128 v[0:1], v[5:8], off
                                        ; implicit-def: $vgpr1
                                        ; implicit-def: $vgpr0
.LBB173_27:
	s_and_not1_saveexec_b32 s0, s0
	s_cbranch_execz .LBB173_29
; %bb.28:
	v_lshlrev_b32_e32 v5, 1, v1
	v_mul_f32_e64 v15, v4, -v10
	v_mul_f32_e32 v1, v4, v9
	v_mul_f32_e64 v4, v3, -v10
	v_mul_f32_e32 v3, v3, v9
	s_delay_alu instid0(VALU_DEP_4) | instskip(NEXT) | instid1(VALU_DEP_3)
	v_fmac_f32_e32 v15, v9, v0
	v_fmac_f32_e32 v4, v9, v2
	v_ashrrev_i32_e32 v6, 31, v5
	s_delay_alu instid0(VALU_DEP_4) | instskip(NEXT) | instid1(VALU_DEP_2)
	v_fmac_f32_e32 v3, v10, v2
	v_lshlrev_b64 v[5:6], 3, v[5:6]
	s_delay_alu instid0(VALU_DEP_1) | instskip(NEXT) | instid1(VALU_DEP_2)
	v_add_co_u32 v13, vcc_lo, s2, v5
	v_add_co_ci_u32_e32 v14, vcc_lo, s3, v6, vcc_lo
	global_load_b128 v[5:8], v[13:14], off
	s_waitcnt vmcnt(0)
	v_dual_fmac_f32 v4, v11, v7 :: v_dual_fmac_f32 v1, v10, v0
	v_fmac_f32_e32 v15, v11, v5
	v_fmac_f32_e32 v3, v12, v7
	s_delay_alu instid0(VALU_DEP_3) | instskip(NEXT) | instid1(VALU_DEP_4)
	v_fma_f32 v2, -v12, v8, v4
	v_fmac_f32_e32 v1, v12, v5
	s_delay_alu instid0(VALU_DEP_4) | instskip(NEXT) | instid1(VALU_DEP_4)
	v_fma_f32 v0, -v12, v6, v15
	v_fmac_f32_e32 v3, v11, v8
	s_delay_alu instid0(VALU_DEP_3)
	v_fmac_f32_e32 v1, v11, v6
	global_store_b128 v[13:14], v[0:3], off
.LBB173_29:
	s_nop 0
	s_sendmsg sendmsg(MSG_DEALLOC_VGPRS)
	s_endpgm
	.section	.rodata,"a",@progbits
	.p2align	6, 0x0
	.amdhsa_kernel _ZN9rocsparseL19gebsrmvn_2xn_kernelILj128ELj6ELj8E21rocsparse_complex_numIfEEEvi20rocsparse_direction_NS_24const_host_device_scalarIT2_EEPKiS8_PKS5_SA_S6_PS5_21rocsparse_index_base_b
		.amdhsa_group_segment_fixed_size 0
		.amdhsa_private_segment_fixed_size 0
		.amdhsa_kernarg_size 72
		.amdhsa_user_sgpr_count 15
		.amdhsa_user_sgpr_dispatch_ptr 0
		.amdhsa_user_sgpr_queue_ptr 0
		.amdhsa_user_sgpr_kernarg_segment_ptr 1
		.amdhsa_user_sgpr_dispatch_id 0
		.amdhsa_user_sgpr_private_segment_size 0
		.amdhsa_wavefront_size32 1
		.amdhsa_uses_dynamic_stack 0
		.amdhsa_enable_private_segment 0
		.amdhsa_system_sgpr_workgroup_id_x 1
		.amdhsa_system_sgpr_workgroup_id_y 0
		.amdhsa_system_sgpr_workgroup_id_z 0
		.amdhsa_system_sgpr_workgroup_info 0
		.amdhsa_system_vgpr_workitem_id 0
		.amdhsa_next_free_vgpr 54
		.amdhsa_next_free_sgpr 16
		.amdhsa_reserve_vcc 1
		.amdhsa_float_round_mode_32 0
		.amdhsa_float_round_mode_16_64 0
		.amdhsa_float_denorm_mode_32 3
		.amdhsa_float_denorm_mode_16_64 3
		.amdhsa_dx10_clamp 1
		.amdhsa_ieee_mode 1
		.amdhsa_fp16_overflow 0
		.amdhsa_workgroup_processor_mode 1
		.amdhsa_memory_ordered 1
		.amdhsa_forward_progress 0
		.amdhsa_shared_vgpr_count 0
		.amdhsa_exception_fp_ieee_invalid_op 0
		.amdhsa_exception_fp_denorm_src 0
		.amdhsa_exception_fp_ieee_div_zero 0
		.amdhsa_exception_fp_ieee_overflow 0
		.amdhsa_exception_fp_ieee_underflow 0
		.amdhsa_exception_fp_ieee_inexact 0
		.amdhsa_exception_int_div_zero 0
	.end_amdhsa_kernel
	.section	.text._ZN9rocsparseL19gebsrmvn_2xn_kernelILj128ELj6ELj8E21rocsparse_complex_numIfEEEvi20rocsparse_direction_NS_24const_host_device_scalarIT2_EEPKiS8_PKS5_SA_S6_PS5_21rocsparse_index_base_b,"axG",@progbits,_ZN9rocsparseL19gebsrmvn_2xn_kernelILj128ELj6ELj8E21rocsparse_complex_numIfEEEvi20rocsparse_direction_NS_24const_host_device_scalarIT2_EEPKiS8_PKS5_SA_S6_PS5_21rocsparse_index_base_b,comdat
.Lfunc_end173:
	.size	_ZN9rocsparseL19gebsrmvn_2xn_kernelILj128ELj6ELj8E21rocsparse_complex_numIfEEEvi20rocsparse_direction_NS_24const_host_device_scalarIT2_EEPKiS8_PKS5_SA_S6_PS5_21rocsparse_index_base_b, .Lfunc_end173-_ZN9rocsparseL19gebsrmvn_2xn_kernelILj128ELj6ELj8E21rocsparse_complex_numIfEEEvi20rocsparse_direction_NS_24const_host_device_scalarIT2_EEPKiS8_PKS5_SA_S6_PS5_21rocsparse_index_base_b
                                        ; -- End function
	.section	.AMDGPU.csdata,"",@progbits
; Kernel info:
; codeLenInByte = 2724
; NumSgprs: 18
; NumVgprs: 54
; ScratchSize: 0
; MemoryBound: 0
; FloatMode: 240
; IeeeMode: 1
; LDSByteSize: 0 bytes/workgroup (compile time only)
; SGPRBlocks: 2
; VGPRBlocks: 6
; NumSGPRsForWavesPerEU: 18
; NumVGPRsForWavesPerEU: 54
; Occupancy: 16
; WaveLimiterHint : 1
; COMPUTE_PGM_RSRC2:SCRATCH_EN: 0
; COMPUTE_PGM_RSRC2:USER_SGPR: 15
; COMPUTE_PGM_RSRC2:TRAP_HANDLER: 0
; COMPUTE_PGM_RSRC2:TGID_X_EN: 1
; COMPUTE_PGM_RSRC2:TGID_Y_EN: 0
; COMPUTE_PGM_RSRC2:TGID_Z_EN: 0
; COMPUTE_PGM_RSRC2:TIDIG_COMP_CNT: 0
	.section	.text._ZN9rocsparseL19gebsrmvn_2xn_kernelILj128ELj6ELj16E21rocsparse_complex_numIfEEEvi20rocsparse_direction_NS_24const_host_device_scalarIT2_EEPKiS8_PKS5_SA_S6_PS5_21rocsparse_index_base_b,"axG",@progbits,_ZN9rocsparseL19gebsrmvn_2xn_kernelILj128ELj6ELj16E21rocsparse_complex_numIfEEEvi20rocsparse_direction_NS_24const_host_device_scalarIT2_EEPKiS8_PKS5_SA_S6_PS5_21rocsparse_index_base_b,comdat
	.globl	_ZN9rocsparseL19gebsrmvn_2xn_kernelILj128ELj6ELj16E21rocsparse_complex_numIfEEEvi20rocsparse_direction_NS_24const_host_device_scalarIT2_EEPKiS8_PKS5_SA_S6_PS5_21rocsparse_index_base_b ; -- Begin function _ZN9rocsparseL19gebsrmvn_2xn_kernelILj128ELj6ELj16E21rocsparse_complex_numIfEEEvi20rocsparse_direction_NS_24const_host_device_scalarIT2_EEPKiS8_PKS5_SA_S6_PS5_21rocsparse_index_base_b
	.p2align	8
	.type	_ZN9rocsparseL19gebsrmvn_2xn_kernelILj128ELj6ELj16E21rocsparse_complex_numIfEEEvi20rocsparse_direction_NS_24const_host_device_scalarIT2_EEPKiS8_PKS5_SA_S6_PS5_21rocsparse_index_base_b,@function
_ZN9rocsparseL19gebsrmvn_2xn_kernelILj128ELj6ELj16E21rocsparse_complex_numIfEEEvi20rocsparse_direction_NS_24const_host_device_scalarIT2_EEPKiS8_PKS5_SA_S6_PS5_21rocsparse_index_base_b: ; @_ZN9rocsparseL19gebsrmvn_2xn_kernelILj128ELj6ELj16E21rocsparse_complex_numIfEEEvi20rocsparse_direction_NS_24const_host_device_scalarIT2_EEPKiS8_PKS5_SA_S6_PS5_21rocsparse_index_base_b
; %bb.0:
	s_clause 0x2
	s_load_b64 s[12:13], s[0:1], 0x40
	s_load_b64 s[4:5], s[0:1], 0x8
	;; [unrolled: 1-line block ×3, first 2 shown]
	s_waitcnt lgkmcnt(0)
	s_bitcmp1_b32 s13, 0
	v_mov_b32_e32 v9, s4
	s_cselect_b32 s6, -1, 0
	s_delay_alu instid0(SALU_CYCLE_1)
	s_and_b32 vcc_lo, exec_lo, s6
	s_xor_b32 s6, s6, -1
	s_cbranch_vccz .LBB174_15
; %bb.1:
	v_cndmask_b32_e64 v1, 0, 1, s6
	v_mov_b32_e32 v10, s5
	s_and_not1_b32 vcc_lo, exec_lo, s6
	s_cbranch_vccz .LBB174_16
.LBB174_2:
	s_delay_alu instid0(VALU_DEP_2)
	v_cmp_ne_u32_e32 vcc_lo, 1, v1
	v_mov_b32_e32 v11, s2
	s_cbranch_vccz .LBB174_17
.LBB174_3:
	v_cmp_ne_u32_e32 vcc_lo, 1, v1
	v_mov_b32_e32 v12, s3
	s_cbranch_vccnz .LBB174_5
.LBB174_4:
	v_dual_mov_b32 v1, s2 :: v_dual_mov_b32 v2, s3
	flat_load_b32 v12, v[1:2] offset:4
.LBB174_5:
	s_waitcnt vmcnt(0) lgkmcnt(0)
	v_cmp_eq_f32_e32 vcc_lo, 0, v9
	v_cmp_eq_f32_e64 s2, 0, v10
	s_delay_alu instid0(VALU_DEP_1)
	s_and_b32 s4, vcc_lo, s2
	s_mov_b32 s2, -1
	s_and_saveexec_b32 s3, s4
; %bb.6:
	v_cmp_neq_f32_e32 vcc_lo, 1.0, v11
	v_cmp_neq_f32_e64 s2, 0, v12
	s_delay_alu instid0(VALU_DEP_1) | instskip(NEXT) | instid1(SALU_CYCLE_1)
	s_or_b32 s2, vcc_lo, s2
	s_or_not1_b32 s2, s2, exec_lo
; %bb.7:
	s_or_b32 exec_lo, exec_lo, s3
	s_and_saveexec_b32 s3, s2
	s_cbranch_execz .LBB174_29
; %bb.8:
	s_load_b64 s[2:3], s[0:1], 0x0
	v_lshrrev_b32_e32 v1, 4, v0
	s_delay_alu instid0(VALU_DEP_1) | instskip(SKIP_1) | instid1(VALU_DEP_1)
	v_lshl_or_b32 v1, s15, 3, v1
	s_waitcnt lgkmcnt(0)
	v_cmp_gt_i32_e32 vcc_lo, s2, v1
	s_and_b32 exec_lo, exec_lo, vcc_lo
	s_cbranch_execz .LBB174_29
; %bb.9:
	s_load_b256 s[4:11], s[0:1], 0x10
	v_ashrrev_i32_e32 v2, 31, v1
	v_and_b32_e32 v0, 15, v0
	s_cmp_lg_u32 s3, 0
	s_delay_alu instid0(VALU_DEP_2) | instskip(SKIP_1) | instid1(VALU_DEP_1)
	v_lshlrev_b64 v[2:3], 2, v[1:2]
	s_waitcnt lgkmcnt(0)
	v_add_co_u32 v2, vcc_lo, s4, v2
	s_delay_alu instid0(VALU_DEP_2) | instskip(SKIP_4) | instid1(VALU_DEP_2)
	v_add_co_ci_u32_e32 v3, vcc_lo, s5, v3, vcc_lo
	global_load_b64 v[2:3], v[2:3], off
	s_waitcnt vmcnt(0)
	v_subrev_nc_u32_e32 v2, s12, v2
	v_subrev_nc_u32_e32 v15, s12, v3
	v_add_nc_u32_e32 v2, v2, v0
	s_delay_alu instid0(VALU_DEP_1)
	v_cmp_lt_i32_e64 s2, v2, v15
	s_cbranch_scc0 .LBB174_18
; %bb.10:
	v_dual_mov_b32 v13, 0 :: v_dual_mov_b32 v16, 0
	v_dual_mov_b32 v17, 0 :: v_dual_mov_b32 v14, 0
	s_mov_b32 s4, 0
	s_and_saveexec_b32 s5, s2
	s_cbranch_execz .LBB174_14
; %bb.11:
	v_mad_u64_u32 v[3:4], null, v2, 12, 10
	v_dual_mov_b32 v6, 0 :: v_dual_mov_b32 v7, v2
	v_dual_mov_b32 v13, 0 :: v_dual_mov_b32 v16, 0
	;; [unrolled: 1-line block ×3, first 2 shown]
	s_mov_b32 s13, 0
.LBB174_12:                             ; =>This Inner Loop Header: Depth=1
	s_delay_alu instid0(VALU_DEP_3) | instskip(NEXT) | instid1(VALU_DEP_1)
	v_ashrrev_i32_e32 v8, 31, v7
	v_lshlrev_b64 v[4:5], 2, v[7:8]
	v_add_nc_u32_e32 v7, 16, v7
	s_delay_alu instid0(VALU_DEP_2) | instskip(NEXT) | instid1(VALU_DEP_3)
	v_add_co_u32 v4, vcc_lo, s6, v4
	v_add_co_ci_u32_e32 v5, vcc_lo, s7, v5, vcc_lo
	global_load_b32 v8, v[4:5], off
	v_dual_mov_b32 v4, v6 :: v_dual_add_nc_u32 v5, -10, v3
	s_delay_alu instid0(VALU_DEP_1) | instskip(SKIP_1) | instid1(VALU_DEP_3)
	v_lshlrev_b64 v[18:19], 3, v[5:6]
	v_add_nc_u32_e32 v5, -6, v3
	v_lshlrev_b64 v[49:50], 3, v[3:4]
	s_delay_alu instid0(VALU_DEP_2) | instskip(NEXT) | instid1(VALU_DEP_4)
	v_lshlrev_b64 v[4:5], 3, v[5:6]
	v_add_co_u32 v22, vcc_lo, s8, v18
	v_add_co_ci_u32_e32 v23, vcc_lo, s9, v19, vcc_lo
	s_delay_alu instid0(VALU_DEP_4) | instskip(NEXT) | instid1(VALU_DEP_4)
	v_add_co_u32 v51, vcc_lo, s8, v49
	v_add_co_u32 v4, s3, s8, v4
	s_delay_alu instid0(VALU_DEP_1)
	v_add_co_ci_u32_e64 v5, s3, s9, v5, s3
	s_clause 0x2
	global_load_b128 v[18:21], v[22:23], off offset:16
	global_load_b128 v[22:25], v[22:23], off
	global_load_b128 v[26:29], v[4:5], off
	v_mov_b32_e32 v35, v6
	v_add_co_ci_u32_e32 v52, vcc_lo, s9, v50, vcc_lo
	v_cmp_ge_i32_e32 vcc_lo, v7, v15
	s_or_b32 s13, vcc_lo, s13
	s_waitcnt vmcnt(3)
	v_subrev_nc_u32_e32 v8, s12, v8
	s_delay_alu instid0(VALU_DEP_1) | instskip(NEXT) | instid1(VALU_DEP_1)
	v_mul_lo_u32 v34, v8, 6
	v_lshlrev_b64 v[30:31], 3, v[34:35]
	s_delay_alu instid0(VALU_DEP_1) | instskip(NEXT) | instid1(VALU_DEP_1)
	v_add_co_u32 v30, s3, s10, v30
	v_add_co_ci_u32_e64 v31, s3, s11, v31, s3
	global_load_b128 v[30:33], v[30:31], off
	v_add_nc_u32_e32 v5, 2, v34
	s_delay_alu instid0(VALU_DEP_1) | instskip(SKIP_1) | instid1(VALU_DEP_1)
	v_lshlrev_b64 v[35:36], 3, v[5:6]
	v_add_nc_u32_e32 v5, -4, v3
	v_lshlrev_b64 v[38:39], 3, v[5:6]
	s_delay_alu instid0(VALU_DEP_3) | instskip(SKIP_2) | instid1(VALU_DEP_4)
	v_add_co_u32 v35, s3, s10, v35
	v_add_nc_u32_e32 v5, -2, v3
	v_add_co_ci_u32_e64 v36, s3, s11, v36, s3
	v_add_co_u32 v38, s3, s8, v38
	s_delay_alu instid0(VALU_DEP_3)
	v_lshlrev_b64 v[42:43], 3, v[5:6]
	v_add_nc_u32_e32 v5, 4, v34
	global_load_b128 v[34:37], v[35:36], off
	v_add_co_ci_u32_e64 v39, s3, s9, v39, s3
	v_add_nc_u32_e32 v3, 0xc0, v3
	v_add_co_u32 v42, s3, s8, v42
	global_load_b128 v[38:41], v[38:39], off
	v_add_co_ci_u32_e64 v43, s3, s9, v43, s3
	s_waitcnt vmcnt(2)
	v_fmac_f32_e32 v14, v25, v30
	v_fmac_f32_e32 v16, v22, v30
	s_delay_alu instid0(VALU_DEP_2) | instskip(NEXT) | instid1(VALU_DEP_1)
	v_fmac_f32_e32 v14, v24, v31
	v_fmac_f32_e32 v14, v21, v32
	s_delay_alu instid0(VALU_DEP_1) | instskip(SKIP_2) | instid1(VALU_DEP_2)
	v_fmac_f32_e32 v14, v20, v33
	v_lshlrev_b64 v[4:5], 3, v[5:6]
	s_waitcnt vmcnt(1)
	v_fmac_f32_e32 v14, v29, v34
	s_delay_alu instid0(VALU_DEP_2) | instskip(NEXT) | instid1(VALU_DEP_1)
	v_add_co_u32 v4, s3, s10, v4
	v_add_co_ci_u32_e64 v5, s3, s11, v5, s3
	global_load_b128 v[42:45], v[42:43], off
	global_load_b128 v[46:49], v[4:5], off
	;; [unrolled: 1-line block ×3, first 2 shown]
	v_fma_f32 v4, -v23, v31, v16
	v_dual_fmac_f32 v13, v23, v30 :: v_dual_fmac_f32 v14, v28, v35
	s_delay_alu instid0(VALU_DEP_2) | instskip(SKIP_1) | instid1(VALU_DEP_2)
	v_fmac_f32_e32 v4, v18, v32
	s_waitcnt vmcnt(3)
	v_dual_fmac_f32 v13, v22, v31 :: v_dual_fmac_f32 v14, v41, v36
	s_delay_alu instid0(VALU_DEP_2) | instskip(NEXT) | instid1(VALU_DEP_2)
	v_fma_f32 v4, -v19, v33, v4
	v_dual_fmac_f32 v13, v19, v32 :: v_dual_fmac_f32 v14, v40, v37
	s_delay_alu instid0(VALU_DEP_2) | instskip(NEXT) | instid1(VALU_DEP_2)
	v_fmac_f32_e32 v4, v26, v34
	v_fmac_f32_e32 v13, v18, v33
	s_delay_alu instid0(VALU_DEP_2) | instskip(NEXT) | instid1(VALU_DEP_1)
	v_fma_f32 v4, -v27, v35, v4
	v_dual_fmac_f32 v17, v24, v30 :: v_dual_fmac_f32 v4, v38, v36
	s_delay_alu instid0(VALU_DEP_1) | instskip(NEXT) | instid1(VALU_DEP_2)
	v_fma_f32 v5, -v25, v31, v17
	v_fma_f32 v4, -v39, v37, v4
	s_waitcnt vmcnt(1)
	s_delay_alu instid0(VALU_DEP_1) | instskip(NEXT) | instid1(VALU_DEP_1)
	v_dual_fmac_f32 v5, v20, v32 :: v_dual_fmac_f32 v4, v42, v46
	v_fma_f32 v5, -v21, v33, v5
	v_fmac_f32_e32 v14, v45, v46
	v_fmac_f32_e32 v13, v27, v34
	s_delay_alu instid0(VALU_DEP_4) | instskip(NEXT) | instid1(VALU_DEP_4)
	v_fma_f32 v4, -v43, v47, v4
	v_fmac_f32_e32 v5, v28, v34
	s_delay_alu instid0(VALU_DEP_4) | instskip(NEXT) | instid1(VALU_DEP_4)
	v_fmac_f32_e32 v14, v44, v47
	v_fmac_f32_e32 v13, v26, v35
	s_waitcnt vmcnt(0)
	v_fmac_f32_e32 v4, v50, v48
	v_fma_f32 v5, -v29, v35, v5
	v_fmac_f32_e32 v14, v53, v48
	v_fmac_f32_e32 v13, v39, v36
	s_delay_alu instid0(VALU_DEP_4) | instskip(NEXT) | instid1(VALU_DEP_4)
	v_fma_f32 v16, -v51, v49, v4
	v_fmac_f32_e32 v5, v40, v36
	s_delay_alu instid0(VALU_DEP_4) | instskip(NEXT) | instid1(VALU_DEP_4)
	v_fmac_f32_e32 v14, v52, v49
	v_fmac_f32_e32 v13, v38, v37
	s_delay_alu instid0(VALU_DEP_3) | instskip(NEXT) | instid1(VALU_DEP_2)
	v_fma_f32 v5, -v41, v37, v5
	v_fmac_f32_e32 v13, v43, v46
	s_delay_alu instid0(VALU_DEP_2) | instskip(NEXT) | instid1(VALU_DEP_2)
	v_fmac_f32_e32 v5, v44, v46
	v_fmac_f32_e32 v13, v42, v47
	s_delay_alu instid0(VALU_DEP_2) | instskip(NEXT) | instid1(VALU_DEP_2)
	v_fma_f32 v5, -v45, v47, v5
	v_fmac_f32_e32 v13, v51, v48
	s_delay_alu instid0(VALU_DEP_2) | instskip(NEXT) | instid1(VALU_DEP_2)
	v_fmac_f32_e32 v5, v52, v48
	v_fmac_f32_e32 v13, v50, v49
	s_delay_alu instid0(VALU_DEP_2)
	v_fma_f32 v17, -v53, v49, v5
	s_and_not1_b32 exec_lo, exec_lo, s13
	s_cbranch_execnz .LBB174_12
; %bb.13:
	s_or_b32 exec_lo, exec_lo, s13
.LBB174_14:
	s_delay_alu instid0(SALU_CYCLE_1) | instskip(NEXT) | instid1(SALU_CYCLE_1)
	s_or_b32 exec_lo, exec_lo, s5
	s_and_not1_b32 vcc_lo, exec_lo, s4
	s_cbranch_vccz .LBB174_19
	s_branch .LBB174_24
.LBB174_15:
	v_dual_mov_b32 v1, s4 :: v_dual_mov_b32 v2, s5
	flat_load_b32 v9, v[1:2]
	v_cndmask_b32_e64 v1, 0, 1, s6
	v_mov_b32_e32 v10, s5
	s_and_not1_b32 vcc_lo, exec_lo, s6
	s_cbranch_vccnz .LBB174_2
.LBB174_16:
	v_dual_mov_b32 v2, s4 :: v_dual_mov_b32 v3, s5
	flat_load_b32 v10, v[2:3] offset:4
	v_cmp_ne_u32_e32 vcc_lo, 1, v1
	v_mov_b32_e32 v11, s2
	s_cbranch_vccnz .LBB174_3
.LBB174_17:
	v_dual_mov_b32 v2, s2 :: v_dual_mov_b32 v3, s3
	flat_load_b32 v11, v[2:3]
	v_cmp_ne_u32_e32 vcc_lo, 1, v1
	v_mov_b32_e32 v12, s3
	s_cbranch_vccz .LBB174_4
	s_branch .LBB174_5
.LBB174_18:
                                        ; implicit-def: $vgpr13
                                        ; implicit-def: $vgpr16
                                        ; implicit-def: $vgpr17
                                        ; implicit-def: $vgpr14
.LBB174_19:
	v_dual_mov_b32 v13, 0 :: v_dual_mov_b32 v16, 0
	v_dual_mov_b32 v17, 0 :: v_dual_mov_b32 v14, 0
	s_delay_alu instid0(VALU_DEP_3)
	s_and_saveexec_b32 s3, s2
	s_cbranch_execz .LBB174_23
; %bb.20:
	v_mad_u64_u32 v[4:5], null, v2, 12, 11
	v_dual_mov_b32 v7, 0 :: v_dual_mov_b32 v16, 0
	v_dual_mov_b32 v13, 0 :: v_dual_mov_b32 v14, 0
	v_mov_b32_e32 v17, 0
	s_mov_b32 s2, 0
.LBB174_21:                             ; =>This Inner Loop Header: Depth=1
	v_ashrrev_i32_e32 v3, 31, v2
	v_dual_mov_b32 v19, v7 :: v_dual_add_nc_u32 v18, -5, v4
	v_mov_b32_e32 v35, v7
	s_delay_alu instid0(VALU_DEP_3) | instskip(SKIP_1) | instid1(VALU_DEP_4)
	v_lshlrev_b64 v[5:6], 2, v[2:3]
	v_add_nc_u32_e32 v2, 16, v2
	v_lshlrev_b64 v[18:19], 3, v[18:19]
	s_delay_alu instid0(VALU_DEP_3) | instskip(NEXT) | instid1(VALU_DEP_4)
	v_add_co_u32 v5, vcc_lo, s6, v5
	v_add_co_ci_u32_e32 v6, vcc_lo, s7, v6, vcc_lo
	global_load_b32 v3, v[5:6], off
	v_dual_mov_b32 v5, v7 :: v_dual_add_nc_u32 v6, -11, v4
	s_delay_alu instid0(VALU_DEP_1) | instskip(SKIP_1) | instid1(VALU_DEP_3)
	v_lshlrev_b64 v[20:21], 3, v[6:7]
	v_add_nc_u32_e32 v6, -4, v4
	v_lshlrev_b64 v[22:23], 3, v[4:5]
	s_delay_alu instid0(VALU_DEP_2) | instskip(NEXT) | instid1(VALU_DEP_4)
	v_lshlrev_b64 v[5:6], 3, v[6:7]
	v_add_co_u32 v24, vcc_lo, s8, v20
	v_add_co_ci_u32_e32 v25, vcc_lo, s9, v21, vcc_lo
	v_add_co_u32 v26, vcc_lo, s8, v18
	v_add_co_ci_u32_e32 v27, vcc_lo, s9, v19, vcc_lo
	;; [unrolled: 2-line block ×4, first 2 shown]
	s_clause 0x3
	global_load_b128 v[18:21], v[24:25], off offset:16
	global_load_b128 v[22:25], v[24:25], off
	global_load_b64 v[40:41], v[26:27], off
	global_load_b64 v[42:43], v[5:6], off
	s_waitcnt vmcnt(4)
	v_subrev_nc_u32_e32 v3, s12, v3
	s_delay_alu instid0(VALU_DEP_1) | instskip(NEXT) | instid1(VALU_DEP_1)
	v_mul_lo_u32 v34, v3, 6
	v_lshlrev_b64 v[26:27], 3, v[34:35]
	s_delay_alu instid0(VALU_DEP_1) | instskip(NEXT) | instid1(VALU_DEP_2)
	v_add_co_u32 v26, vcc_lo, s10, v26
	v_add_co_ci_u32_e32 v27, vcc_lo, s11, v27, vcc_lo
	global_load_b128 v[26:29], v[26:27], off
	v_add_nc_u32_e32 v6, 2, v34
	s_delay_alu instid0(VALU_DEP_1) | instskip(SKIP_1) | instid1(VALU_DEP_1)
	v_lshlrev_b64 v[30:31], 3, v[6:7]
	v_add_nc_u32_e32 v6, -3, v4
	v_lshlrev_b64 v[32:33], 3, v[6:7]
	s_delay_alu instid0(VALU_DEP_3) | instskip(NEXT) | instid1(VALU_DEP_4)
	v_add_co_u32 v30, vcc_lo, s10, v30
	v_add_co_ci_u32_e32 v31, vcc_lo, s11, v31, vcc_lo
	s_delay_alu instid0(VALU_DEP_3) | instskip(NEXT) | instid1(VALU_DEP_4)
	v_add_co_u32 v44, vcc_lo, s8, v32
	v_add_co_ci_u32_e32 v45, vcc_lo, s9, v33, vcc_lo
	global_load_b128 v[30:33], v[30:31], off
	v_add_nc_u32_e32 v6, -2, v4
	global_load_b64 v[44:45], v[44:45], off
	s_waitcnt vmcnt(2)
	v_fmac_f32_e32 v13, v23, v26
	v_fmac_f32_e32 v17, v40, v26
	v_lshlrev_b64 v[35:36], 3, v[6:7]
	s_delay_alu instid0(VALU_DEP_3) | instskip(SKIP_1) | instid1(VALU_DEP_4)
	v_fmac_f32_e32 v13, v22, v27
	v_fmac_f32_e32 v16, v22, v26
	v_fma_f32 v8, -v41, v27, v17
	s_delay_alu instid0(VALU_DEP_3) | instskip(SKIP_1) | instid1(VALU_DEP_4)
	v_fmac_f32_e32 v13, v25, v28
	v_add_nc_u32_e32 v6, -7, v4
	v_fma_f32 v3, -v23, v27, v16
	s_delay_alu instid0(VALU_DEP_3) | instskip(NEXT) | instid1(VALU_DEP_3)
	v_fmac_f32_e32 v13, v24, v29
	v_lshlrev_b64 v[46:47], 3, v[6:7]
	s_delay_alu instid0(VALU_DEP_3) | instskip(SKIP_2) | instid1(VALU_DEP_4)
	v_dual_fmac_f32 v3, v24, v28 :: v_dual_add_nc_u32 v6, 4, v34
	v_add_co_u32 v34, vcc_lo, s8, v35
	v_add_co_ci_u32_e32 v35, vcc_lo, s9, v36, vcc_lo
	v_add_co_u32 v46, vcc_lo, s8, v46
	s_delay_alu instid0(VALU_DEP_4)
	v_lshlrev_b64 v[36:37], 3, v[6:7]
	v_add_co_ci_u32_e32 v47, vcc_lo, s9, v47, vcc_lo
	v_fma_f32 v3, -v25, v29, v3
	s_waitcnt vmcnt(1)
	v_dual_fmac_f32 v13, v19, v30 :: v_dual_add_nc_u32 v6, -1, v4
	s_clause 0x1
	global_load_b64 v[46:47], v[46:47], off
	global_load_b64 v[48:49], v[34:35], off
	v_fmac_f32_e32 v3, v18, v30
	v_lshlrev_b64 v[34:35], 3, v[6:7]
	v_add_co_u32 v36, vcc_lo, s10, v36
	v_add_nc_u32_e32 v6, -6, v4
	v_add_co_ci_u32_e32 v37, vcc_lo, s11, v37, vcc_lo
	s_delay_alu instid0(VALU_DEP_4) | instskip(SKIP_1) | instid1(VALU_DEP_4)
	v_add_co_u32 v50, vcc_lo, s8, v34
	v_add_co_ci_u32_e32 v51, vcc_lo, s9, v35, vcc_lo
	v_lshlrev_b64 v[5:6], 3, v[6:7]
	global_load_b128 v[34:37], v[36:37], off
	global_load_b64 v[50:51], v[50:51], off
	v_dual_fmac_f32 v14, v41, v26 :: v_dual_fmac_f32 v13, v18, v31
	v_fma_f32 v3, -v19, v31, v3
	v_add_co_u32 v5, vcc_lo, s8, v5
	v_add_co_ci_u32_e32 v6, vcc_lo, s9, v6, vcc_lo
	s_clause 0x1
	global_load_b64 v[5:6], v[5:6], off
	global_load_b64 v[38:39], v[38:39], off
	v_dual_fmac_f32 v14, v40, v27 :: v_dual_fmac_f32 v13, v21, v32
	v_fmac_f32_e32 v3, v20, v32
	v_fmac_f32_e32 v8, v42, v28
	v_cmp_ge_i32_e32 vcc_lo, v2, v15
	s_delay_alu instid0(VALU_DEP_4) | instskip(NEXT) | instid1(VALU_DEP_4)
	v_dual_fmac_f32 v13, v20, v33 :: v_dual_add_nc_u32 v4, 0xc0, v4
	v_fma_f32 v3, -v21, v33, v3
	v_fmac_f32_e32 v14, v43, v28
	v_fma_f32 v8, -v43, v29, v8
	s_or_b32 s2, vcc_lo, s2
	s_waitcnt vmcnt(3)
	v_fmac_f32_e32 v3, v46, v34
	v_dual_fmac_f32 v14, v42, v29 :: v_dual_fmac_f32 v13, v47, v34
	v_fmac_f32_e32 v8, v44, v30
	s_delay_alu instid0(VALU_DEP_3) | instskip(NEXT) | instid1(VALU_DEP_3)
	v_fma_f32 v3, -v47, v35, v3
	v_dual_fmac_f32 v13, v46, v35 :: v_dual_fmac_f32 v14, v45, v30
	s_delay_alu instid0(VALU_DEP_3) | instskip(SKIP_1) | instid1(VALU_DEP_3)
	v_fma_f32 v8, -v45, v31, v8
	s_waitcnt vmcnt(1)
	v_fmac_f32_e32 v3, v5, v36
	s_delay_alu instid0(VALU_DEP_3) | instskip(NEXT) | instid1(VALU_DEP_3)
	v_dual_fmac_f32 v13, v6, v36 :: v_dual_fmac_f32 v14, v44, v31
	v_fmac_f32_e32 v8, v48, v32
	s_delay_alu instid0(VALU_DEP_3) | instskip(NEXT) | instid1(VALU_DEP_3)
	v_fma_f32 v16, -v6, v37, v3
	v_fmac_f32_e32 v13, v5, v37
	s_delay_alu instid0(VALU_DEP_4) | instskip(NEXT) | instid1(VALU_DEP_4)
	v_fmac_f32_e32 v14, v49, v32
	v_fma_f32 v8, -v49, v33, v8
	s_delay_alu instid0(VALU_DEP_2) | instskip(NEXT) | instid1(VALU_DEP_2)
	v_fmac_f32_e32 v14, v48, v33
	v_fmac_f32_e32 v8, v50, v34
	s_delay_alu instid0(VALU_DEP_2) | instskip(NEXT) | instid1(VALU_DEP_2)
	v_fmac_f32_e32 v14, v51, v34
	v_fma_f32 v8, -v51, v35, v8
	s_delay_alu instid0(VALU_DEP_2) | instskip(SKIP_1) | instid1(VALU_DEP_2)
	v_fmac_f32_e32 v14, v50, v35
	s_waitcnt vmcnt(0)
	v_fmac_f32_e32 v8, v38, v36
	s_delay_alu instid0(VALU_DEP_2) | instskip(NEXT) | instid1(VALU_DEP_2)
	v_fmac_f32_e32 v14, v39, v36
	v_fma_f32 v17, -v39, v37, v8
	s_delay_alu instid0(VALU_DEP_2)
	v_fmac_f32_e32 v14, v38, v37
	s_and_not1_b32 exec_lo, exec_lo, s2
	s_cbranch_execnz .LBB174_21
; %bb.22:
	s_or_b32 exec_lo, exec_lo, s2
.LBB174_23:
	s_delay_alu instid0(SALU_CYCLE_1)
	s_or_b32 exec_lo, exec_lo, s3
.LBB174_24:
	v_mbcnt_lo_u32_b32 v2, -1, 0
	s_delay_alu instid0(VALU_DEP_1) | instskip(SKIP_2) | instid1(VALU_DEP_3)
	v_xor_b32_e32 v3, 8, v2
	v_xor_b32_e32 v7, 4, v2
	v_xor_b32_e32 v15, 2, v2
	v_cmp_gt_i32_e32 vcc_lo, 32, v3
	v_cndmask_b32_e32 v3, v2, v3, vcc_lo
	s_delay_alu instid0(VALU_DEP_4) | instskip(NEXT) | instid1(VALU_DEP_2)
	v_cmp_gt_i32_e32 vcc_lo, 32, v7
	v_lshlrev_b32_e32 v3, 2, v3
	ds_bpermute_b32 v6, v3, v17
	s_waitcnt lgkmcnt(0)
	v_add_f32_e32 v6, v17, v6
	ds_bpermute_b32 v4, v3, v16
	ds_bpermute_b32 v5, v3, v13
	;; [unrolled: 1-line block ×3, first 2 shown]
	s_waitcnt lgkmcnt(2)
	v_dual_add_f32 v4, v16, v4 :: v_dual_cndmask_b32 v7, v2, v7
	s_waitcnt lgkmcnt(0)
	v_add_f32_e32 v3, v14, v3
	v_add_f32_e32 v5, v13, v5
	v_cmp_gt_i32_e32 vcc_lo, 32, v15
	v_lshlrev_b32_e32 v7, 2, v7
	v_cndmask_b32_e32 v15, v2, v15, vcc_lo
	ds_bpermute_b32 v14, v7, v6
	s_waitcnt lgkmcnt(0)
	v_add_f32_e32 v6, v6, v14
	ds_bpermute_b32 v8, v7, v4
	ds_bpermute_b32 v13, v7, v5
	;; [unrolled: 1-line block ×3, first 2 shown]
	s_waitcnt lgkmcnt(2)
	v_dual_add_f32 v4, v4, v8 :: v_dual_lshlrev_b32 v15, 2, v15
	s_waitcnt lgkmcnt(0)
	v_add_f32_e32 v3, v3, v7
	ds_bpermute_b32 v7, v15, v4
	v_add_f32_e32 v5, v5, v13
	ds_bpermute_b32 v13, v15, v6
	ds_bpermute_b32 v14, v15, v3
	s_waitcnt lgkmcnt(2)
	v_add_f32_e32 v4, v4, v7
	ds_bpermute_b32 v8, v15, v5
	v_xor_b32_e32 v15, 1, v2
	s_waitcnt lgkmcnt(1)
	v_add_f32_e32 v3, v3, v14
	s_delay_alu instid0(VALU_DEP_2) | instskip(SKIP_2) | instid1(VALU_DEP_2)
	v_cmp_gt_i32_e32 vcc_lo, 32, v15
	v_cndmask_b32_e32 v2, v2, v15, vcc_lo
	v_cmp_eq_u32_e32 vcc_lo, 15, v0
	v_dual_add_f32 v2, v6, v13 :: v_dual_lshlrev_b32 v15, 2, v2
	s_waitcnt lgkmcnt(0)
	v_add_f32_e32 v5, v5, v8
	ds_bpermute_b32 v8, v15, v4
	ds_bpermute_b32 v6, v15, v2
	;; [unrolled: 1-line block ×4, first 2 shown]
	s_and_b32 exec_lo, exec_lo, vcc_lo
	s_cbranch_execz .LBB174_29
; %bb.25:
	s_load_b64 s[2:3], s[0:1], 0x38
	v_cmp_eq_f32_e32 vcc_lo, 0, v11
	v_cmp_eq_f32_e64 s0, 0, v12
	s_waitcnt lgkmcnt(0)
	v_dual_add_f32 v0, v4, v8 :: v_dual_add_f32 v3, v3, v7
	v_add_f32_e32 v4, v5, v13
	v_add_f32_e32 v2, v2, v6
	s_and_b32 s0, vcc_lo, s0
	s_delay_alu instid0(SALU_CYCLE_1) | instskip(NEXT) | instid1(SALU_CYCLE_1)
	s_and_saveexec_b32 s1, s0
	s_xor_b32 s0, exec_lo, s1
	s_cbranch_execz .LBB174_27
; %bb.26:
	v_mul_f32_e64 v5, v4, -v10
	v_mul_f32_e32 v6, v4, v9
	v_mul_f32_e64 v7, v3, -v10
	v_mul_f32_e32 v8, v3, v9
                                        ; implicit-def: $vgpr4
                                        ; implicit-def: $vgpr3
	s_delay_alu instid0(VALU_DEP_4) | instskip(NEXT) | instid1(VALU_DEP_4)
	v_fmac_f32_e32 v5, v9, v0
	v_dual_fmac_f32 v6, v10, v0 :: v_dual_lshlrev_b32 v11, 1, v1
	s_delay_alu instid0(VALU_DEP_4) | instskip(NEXT) | instid1(VALU_DEP_4)
	v_fmac_f32_e32 v7, v9, v2
	v_fmac_f32_e32 v8, v10, v2
                                        ; implicit-def: $vgpr9
                                        ; implicit-def: $vgpr10
                                        ; implicit-def: $vgpr2
	s_delay_alu instid0(VALU_DEP_3) | instskip(NEXT) | instid1(VALU_DEP_1)
	v_ashrrev_i32_e32 v12, 31, v11
	v_lshlrev_b64 v[11:12], 3, v[11:12]
	s_delay_alu instid0(VALU_DEP_1) | instskip(NEXT) | instid1(VALU_DEP_2)
	v_add_co_u32 v0, vcc_lo, s2, v11
	v_add_co_ci_u32_e32 v1, vcc_lo, s3, v12, vcc_lo
                                        ; implicit-def: $vgpr11
                                        ; implicit-def: $vgpr12
	global_store_b128 v[0:1], v[5:8], off
                                        ; implicit-def: $vgpr1
                                        ; implicit-def: $vgpr0
.LBB174_27:
	s_and_not1_saveexec_b32 s0, s0
	s_cbranch_execz .LBB174_29
; %bb.28:
	v_lshlrev_b32_e32 v5, 1, v1
	v_mul_f32_e64 v15, v4, -v10
	v_mul_f32_e32 v1, v4, v9
	v_mul_f32_e64 v4, v3, -v10
	v_mul_f32_e32 v3, v3, v9
	s_delay_alu instid0(VALU_DEP_4) | instskip(NEXT) | instid1(VALU_DEP_3)
	v_fmac_f32_e32 v15, v9, v0
	v_fmac_f32_e32 v4, v9, v2
	v_ashrrev_i32_e32 v6, 31, v5
	s_delay_alu instid0(VALU_DEP_4) | instskip(NEXT) | instid1(VALU_DEP_2)
	v_fmac_f32_e32 v3, v10, v2
	v_lshlrev_b64 v[5:6], 3, v[5:6]
	s_delay_alu instid0(VALU_DEP_1) | instskip(NEXT) | instid1(VALU_DEP_2)
	v_add_co_u32 v13, vcc_lo, s2, v5
	v_add_co_ci_u32_e32 v14, vcc_lo, s3, v6, vcc_lo
	global_load_b128 v[5:8], v[13:14], off
	s_waitcnt vmcnt(0)
	v_dual_fmac_f32 v4, v11, v7 :: v_dual_fmac_f32 v1, v10, v0
	v_fmac_f32_e32 v15, v11, v5
	v_fmac_f32_e32 v3, v12, v7
	s_delay_alu instid0(VALU_DEP_3) | instskip(NEXT) | instid1(VALU_DEP_4)
	v_fma_f32 v2, -v12, v8, v4
	v_fmac_f32_e32 v1, v12, v5
	s_delay_alu instid0(VALU_DEP_4) | instskip(NEXT) | instid1(VALU_DEP_4)
	v_fma_f32 v0, -v12, v6, v15
	v_fmac_f32_e32 v3, v11, v8
	s_delay_alu instid0(VALU_DEP_3)
	v_fmac_f32_e32 v1, v11, v6
	global_store_b128 v[13:14], v[0:3], off
.LBB174_29:
	s_nop 0
	s_sendmsg sendmsg(MSG_DEALLOC_VGPRS)
	s_endpgm
	.section	.rodata,"a",@progbits
	.p2align	6, 0x0
	.amdhsa_kernel _ZN9rocsparseL19gebsrmvn_2xn_kernelILj128ELj6ELj16E21rocsparse_complex_numIfEEEvi20rocsparse_direction_NS_24const_host_device_scalarIT2_EEPKiS8_PKS5_SA_S6_PS5_21rocsparse_index_base_b
		.amdhsa_group_segment_fixed_size 0
		.amdhsa_private_segment_fixed_size 0
		.amdhsa_kernarg_size 72
		.amdhsa_user_sgpr_count 15
		.amdhsa_user_sgpr_dispatch_ptr 0
		.amdhsa_user_sgpr_queue_ptr 0
		.amdhsa_user_sgpr_kernarg_segment_ptr 1
		.amdhsa_user_sgpr_dispatch_id 0
		.amdhsa_user_sgpr_private_segment_size 0
		.amdhsa_wavefront_size32 1
		.amdhsa_uses_dynamic_stack 0
		.amdhsa_enable_private_segment 0
		.amdhsa_system_sgpr_workgroup_id_x 1
		.amdhsa_system_sgpr_workgroup_id_y 0
		.amdhsa_system_sgpr_workgroup_id_z 0
		.amdhsa_system_sgpr_workgroup_info 0
		.amdhsa_system_vgpr_workitem_id 0
		.amdhsa_next_free_vgpr 54
		.amdhsa_next_free_sgpr 16
		.amdhsa_reserve_vcc 1
		.amdhsa_float_round_mode_32 0
		.amdhsa_float_round_mode_16_64 0
		.amdhsa_float_denorm_mode_32 3
		.amdhsa_float_denorm_mode_16_64 3
		.amdhsa_dx10_clamp 1
		.amdhsa_ieee_mode 1
		.amdhsa_fp16_overflow 0
		.amdhsa_workgroup_processor_mode 1
		.amdhsa_memory_ordered 1
		.amdhsa_forward_progress 0
		.amdhsa_shared_vgpr_count 0
		.amdhsa_exception_fp_ieee_invalid_op 0
		.amdhsa_exception_fp_denorm_src 0
		.amdhsa_exception_fp_ieee_div_zero 0
		.amdhsa_exception_fp_ieee_overflow 0
		.amdhsa_exception_fp_ieee_underflow 0
		.amdhsa_exception_fp_ieee_inexact 0
		.amdhsa_exception_int_div_zero 0
	.end_amdhsa_kernel
	.section	.text._ZN9rocsparseL19gebsrmvn_2xn_kernelILj128ELj6ELj16E21rocsparse_complex_numIfEEEvi20rocsparse_direction_NS_24const_host_device_scalarIT2_EEPKiS8_PKS5_SA_S6_PS5_21rocsparse_index_base_b,"axG",@progbits,_ZN9rocsparseL19gebsrmvn_2xn_kernelILj128ELj6ELj16E21rocsparse_complex_numIfEEEvi20rocsparse_direction_NS_24const_host_device_scalarIT2_EEPKiS8_PKS5_SA_S6_PS5_21rocsparse_index_base_b,comdat
.Lfunc_end174:
	.size	_ZN9rocsparseL19gebsrmvn_2xn_kernelILj128ELj6ELj16E21rocsparse_complex_numIfEEEvi20rocsparse_direction_NS_24const_host_device_scalarIT2_EEPKiS8_PKS5_SA_S6_PS5_21rocsparse_index_base_b, .Lfunc_end174-_ZN9rocsparseL19gebsrmvn_2xn_kernelILj128ELj6ELj16E21rocsparse_complex_numIfEEEvi20rocsparse_direction_NS_24const_host_device_scalarIT2_EEPKiS8_PKS5_SA_S6_PS5_21rocsparse_index_base_b
                                        ; -- End function
	.section	.AMDGPU.csdata,"",@progbits
; Kernel info:
; codeLenInByte = 2804
; NumSgprs: 18
; NumVgprs: 54
; ScratchSize: 0
; MemoryBound: 0
; FloatMode: 240
; IeeeMode: 1
; LDSByteSize: 0 bytes/workgroup (compile time only)
; SGPRBlocks: 2
; VGPRBlocks: 6
; NumSGPRsForWavesPerEU: 18
; NumVGPRsForWavesPerEU: 54
; Occupancy: 16
; WaveLimiterHint : 1
; COMPUTE_PGM_RSRC2:SCRATCH_EN: 0
; COMPUTE_PGM_RSRC2:USER_SGPR: 15
; COMPUTE_PGM_RSRC2:TRAP_HANDLER: 0
; COMPUTE_PGM_RSRC2:TGID_X_EN: 1
; COMPUTE_PGM_RSRC2:TGID_Y_EN: 0
; COMPUTE_PGM_RSRC2:TGID_Z_EN: 0
; COMPUTE_PGM_RSRC2:TIDIG_COMP_CNT: 0
	.section	.text._ZN9rocsparseL19gebsrmvn_2xn_kernelILj128ELj6ELj32E21rocsparse_complex_numIfEEEvi20rocsparse_direction_NS_24const_host_device_scalarIT2_EEPKiS8_PKS5_SA_S6_PS5_21rocsparse_index_base_b,"axG",@progbits,_ZN9rocsparseL19gebsrmvn_2xn_kernelILj128ELj6ELj32E21rocsparse_complex_numIfEEEvi20rocsparse_direction_NS_24const_host_device_scalarIT2_EEPKiS8_PKS5_SA_S6_PS5_21rocsparse_index_base_b,comdat
	.globl	_ZN9rocsparseL19gebsrmvn_2xn_kernelILj128ELj6ELj32E21rocsparse_complex_numIfEEEvi20rocsparse_direction_NS_24const_host_device_scalarIT2_EEPKiS8_PKS5_SA_S6_PS5_21rocsparse_index_base_b ; -- Begin function _ZN9rocsparseL19gebsrmvn_2xn_kernelILj128ELj6ELj32E21rocsparse_complex_numIfEEEvi20rocsparse_direction_NS_24const_host_device_scalarIT2_EEPKiS8_PKS5_SA_S6_PS5_21rocsparse_index_base_b
	.p2align	8
	.type	_ZN9rocsparseL19gebsrmvn_2xn_kernelILj128ELj6ELj32E21rocsparse_complex_numIfEEEvi20rocsparse_direction_NS_24const_host_device_scalarIT2_EEPKiS8_PKS5_SA_S6_PS5_21rocsparse_index_base_b,@function
_ZN9rocsparseL19gebsrmvn_2xn_kernelILj128ELj6ELj32E21rocsparse_complex_numIfEEEvi20rocsparse_direction_NS_24const_host_device_scalarIT2_EEPKiS8_PKS5_SA_S6_PS5_21rocsparse_index_base_b: ; @_ZN9rocsparseL19gebsrmvn_2xn_kernelILj128ELj6ELj32E21rocsparse_complex_numIfEEEvi20rocsparse_direction_NS_24const_host_device_scalarIT2_EEPKiS8_PKS5_SA_S6_PS5_21rocsparse_index_base_b
; %bb.0:
	s_clause 0x2
	s_load_b64 s[12:13], s[0:1], 0x40
	s_load_b64 s[4:5], s[0:1], 0x8
	;; [unrolled: 1-line block ×3, first 2 shown]
	s_waitcnt lgkmcnt(0)
	s_bitcmp1_b32 s13, 0
	v_mov_b32_e32 v9, s4
	s_cselect_b32 s6, -1, 0
	s_delay_alu instid0(SALU_CYCLE_1)
	s_and_b32 vcc_lo, exec_lo, s6
	s_xor_b32 s6, s6, -1
	s_cbranch_vccz .LBB175_15
; %bb.1:
	v_cndmask_b32_e64 v1, 0, 1, s6
	v_mov_b32_e32 v10, s5
	s_and_not1_b32 vcc_lo, exec_lo, s6
	s_cbranch_vccz .LBB175_16
.LBB175_2:
	s_delay_alu instid0(VALU_DEP_2)
	v_cmp_ne_u32_e32 vcc_lo, 1, v1
	v_mov_b32_e32 v11, s2
	s_cbranch_vccz .LBB175_17
.LBB175_3:
	v_cmp_ne_u32_e32 vcc_lo, 1, v1
	v_mov_b32_e32 v12, s3
	s_cbranch_vccnz .LBB175_5
.LBB175_4:
	v_dual_mov_b32 v1, s2 :: v_dual_mov_b32 v2, s3
	flat_load_b32 v12, v[1:2] offset:4
.LBB175_5:
	s_waitcnt vmcnt(0) lgkmcnt(0)
	v_cmp_eq_f32_e32 vcc_lo, 0, v9
	v_cmp_eq_f32_e64 s2, 0, v10
	s_delay_alu instid0(VALU_DEP_1)
	s_and_b32 s4, vcc_lo, s2
	s_mov_b32 s2, -1
	s_and_saveexec_b32 s3, s4
; %bb.6:
	v_cmp_neq_f32_e32 vcc_lo, 1.0, v11
	v_cmp_neq_f32_e64 s2, 0, v12
	s_delay_alu instid0(VALU_DEP_1) | instskip(NEXT) | instid1(SALU_CYCLE_1)
	s_or_b32 s2, vcc_lo, s2
	s_or_not1_b32 s2, s2, exec_lo
; %bb.7:
	s_or_b32 exec_lo, exec_lo, s3
	s_and_saveexec_b32 s3, s2
	s_cbranch_execz .LBB175_29
; %bb.8:
	s_load_b64 s[2:3], s[0:1], 0x0
	v_lshrrev_b32_e32 v1, 5, v0
	s_delay_alu instid0(VALU_DEP_1) | instskip(SKIP_1) | instid1(VALU_DEP_1)
	v_lshl_or_b32 v1, s15, 2, v1
	s_waitcnt lgkmcnt(0)
	v_cmp_gt_i32_e32 vcc_lo, s2, v1
	s_and_b32 exec_lo, exec_lo, vcc_lo
	s_cbranch_execz .LBB175_29
; %bb.9:
	s_load_b256 s[4:11], s[0:1], 0x10
	v_ashrrev_i32_e32 v2, 31, v1
	v_and_b32_e32 v0, 31, v0
	s_cmp_lg_u32 s3, 0
	s_delay_alu instid0(VALU_DEP_2) | instskip(SKIP_1) | instid1(VALU_DEP_1)
	v_lshlrev_b64 v[2:3], 2, v[1:2]
	s_waitcnt lgkmcnt(0)
	v_add_co_u32 v2, vcc_lo, s4, v2
	s_delay_alu instid0(VALU_DEP_2) | instskip(SKIP_4) | instid1(VALU_DEP_2)
	v_add_co_ci_u32_e32 v3, vcc_lo, s5, v3, vcc_lo
	global_load_b64 v[2:3], v[2:3], off
	s_waitcnt vmcnt(0)
	v_subrev_nc_u32_e32 v2, s12, v2
	v_subrev_nc_u32_e32 v15, s12, v3
	v_add_nc_u32_e32 v2, v2, v0
	s_delay_alu instid0(VALU_DEP_1)
	v_cmp_lt_i32_e64 s2, v2, v15
	s_cbranch_scc0 .LBB175_18
; %bb.10:
	v_dual_mov_b32 v13, 0 :: v_dual_mov_b32 v16, 0
	v_dual_mov_b32 v17, 0 :: v_dual_mov_b32 v14, 0
	s_mov_b32 s4, 0
	s_and_saveexec_b32 s5, s2
	s_cbranch_execz .LBB175_14
; %bb.11:
	v_mad_u64_u32 v[3:4], null, v2, 12, 10
	v_dual_mov_b32 v6, 0 :: v_dual_mov_b32 v7, v2
	v_dual_mov_b32 v13, 0 :: v_dual_mov_b32 v16, 0
	;; [unrolled: 1-line block ×3, first 2 shown]
	s_mov_b32 s13, 0
.LBB175_12:                             ; =>This Inner Loop Header: Depth=1
	s_delay_alu instid0(VALU_DEP_3) | instskip(NEXT) | instid1(VALU_DEP_1)
	v_ashrrev_i32_e32 v8, 31, v7
	v_lshlrev_b64 v[4:5], 2, v[7:8]
	v_add_nc_u32_e32 v7, 32, v7
	s_delay_alu instid0(VALU_DEP_2) | instskip(NEXT) | instid1(VALU_DEP_3)
	v_add_co_u32 v4, vcc_lo, s6, v4
	v_add_co_ci_u32_e32 v5, vcc_lo, s7, v5, vcc_lo
	global_load_b32 v8, v[4:5], off
	v_dual_mov_b32 v4, v6 :: v_dual_add_nc_u32 v5, -10, v3
	s_delay_alu instid0(VALU_DEP_1) | instskip(SKIP_1) | instid1(VALU_DEP_3)
	v_lshlrev_b64 v[18:19], 3, v[5:6]
	v_add_nc_u32_e32 v5, -6, v3
	v_lshlrev_b64 v[49:50], 3, v[3:4]
	s_delay_alu instid0(VALU_DEP_2) | instskip(NEXT) | instid1(VALU_DEP_4)
	v_lshlrev_b64 v[4:5], 3, v[5:6]
	v_add_co_u32 v22, vcc_lo, s8, v18
	v_add_co_ci_u32_e32 v23, vcc_lo, s9, v19, vcc_lo
	s_delay_alu instid0(VALU_DEP_4) | instskip(NEXT) | instid1(VALU_DEP_4)
	v_add_co_u32 v51, vcc_lo, s8, v49
	v_add_co_u32 v4, s3, s8, v4
	s_delay_alu instid0(VALU_DEP_1)
	v_add_co_ci_u32_e64 v5, s3, s9, v5, s3
	s_clause 0x2
	global_load_b128 v[18:21], v[22:23], off offset:16
	global_load_b128 v[22:25], v[22:23], off
	global_load_b128 v[26:29], v[4:5], off
	v_mov_b32_e32 v35, v6
	v_add_co_ci_u32_e32 v52, vcc_lo, s9, v50, vcc_lo
	v_cmp_ge_i32_e32 vcc_lo, v7, v15
	s_or_b32 s13, vcc_lo, s13
	s_waitcnt vmcnt(3)
	v_subrev_nc_u32_e32 v8, s12, v8
	s_delay_alu instid0(VALU_DEP_1) | instskip(NEXT) | instid1(VALU_DEP_1)
	v_mul_lo_u32 v34, v8, 6
	v_lshlrev_b64 v[30:31], 3, v[34:35]
	s_delay_alu instid0(VALU_DEP_1) | instskip(NEXT) | instid1(VALU_DEP_1)
	v_add_co_u32 v30, s3, s10, v30
	v_add_co_ci_u32_e64 v31, s3, s11, v31, s3
	global_load_b128 v[30:33], v[30:31], off
	v_add_nc_u32_e32 v5, 2, v34
	s_delay_alu instid0(VALU_DEP_1) | instskip(SKIP_1) | instid1(VALU_DEP_1)
	v_lshlrev_b64 v[35:36], 3, v[5:6]
	v_add_nc_u32_e32 v5, -4, v3
	v_lshlrev_b64 v[38:39], 3, v[5:6]
	s_delay_alu instid0(VALU_DEP_3) | instskip(SKIP_2) | instid1(VALU_DEP_4)
	v_add_co_u32 v35, s3, s10, v35
	v_add_nc_u32_e32 v5, -2, v3
	v_add_co_ci_u32_e64 v36, s3, s11, v36, s3
	v_add_co_u32 v38, s3, s8, v38
	s_delay_alu instid0(VALU_DEP_3)
	v_lshlrev_b64 v[42:43], 3, v[5:6]
	v_add_nc_u32_e32 v5, 4, v34
	global_load_b128 v[34:37], v[35:36], off
	v_add_co_ci_u32_e64 v39, s3, s9, v39, s3
	v_add_nc_u32_e32 v3, 0x180, v3
	v_add_co_u32 v42, s3, s8, v42
	global_load_b128 v[38:41], v[38:39], off
	v_add_co_ci_u32_e64 v43, s3, s9, v43, s3
	s_waitcnt vmcnt(2)
	v_fmac_f32_e32 v14, v25, v30
	v_fmac_f32_e32 v16, v22, v30
	s_delay_alu instid0(VALU_DEP_2) | instskip(NEXT) | instid1(VALU_DEP_1)
	v_fmac_f32_e32 v14, v24, v31
	v_fmac_f32_e32 v14, v21, v32
	s_delay_alu instid0(VALU_DEP_1) | instskip(SKIP_2) | instid1(VALU_DEP_2)
	v_fmac_f32_e32 v14, v20, v33
	v_lshlrev_b64 v[4:5], 3, v[5:6]
	s_waitcnt vmcnt(1)
	v_fmac_f32_e32 v14, v29, v34
	s_delay_alu instid0(VALU_DEP_2) | instskip(NEXT) | instid1(VALU_DEP_1)
	v_add_co_u32 v4, s3, s10, v4
	v_add_co_ci_u32_e64 v5, s3, s11, v5, s3
	global_load_b128 v[42:45], v[42:43], off
	global_load_b128 v[46:49], v[4:5], off
	;; [unrolled: 1-line block ×3, first 2 shown]
	v_fma_f32 v4, -v23, v31, v16
	v_dual_fmac_f32 v13, v23, v30 :: v_dual_fmac_f32 v14, v28, v35
	s_delay_alu instid0(VALU_DEP_2) | instskip(SKIP_1) | instid1(VALU_DEP_2)
	v_fmac_f32_e32 v4, v18, v32
	s_waitcnt vmcnt(3)
	v_dual_fmac_f32 v13, v22, v31 :: v_dual_fmac_f32 v14, v41, v36
	s_delay_alu instid0(VALU_DEP_2) | instskip(NEXT) | instid1(VALU_DEP_2)
	v_fma_f32 v4, -v19, v33, v4
	v_dual_fmac_f32 v13, v19, v32 :: v_dual_fmac_f32 v14, v40, v37
	s_delay_alu instid0(VALU_DEP_2) | instskip(NEXT) | instid1(VALU_DEP_2)
	v_fmac_f32_e32 v4, v26, v34
	v_fmac_f32_e32 v13, v18, v33
	s_delay_alu instid0(VALU_DEP_2) | instskip(NEXT) | instid1(VALU_DEP_1)
	v_fma_f32 v4, -v27, v35, v4
	v_dual_fmac_f32 v17, v24, v30 :: v_dual_fmac_f32 v4, v38, v36
	s_delay_alu instid0(VALU_DEP_1) | instskip(NEXT) | instid1(VALU_DEP_2)
	v_fma_f32 v5, -v25, v31, v17
	v_fma_f32 v4, -v39, v37, v4
	s_waitcnt vmcnt(1)
	s_delay_alu instid0(VALU_DEP_1) | instskip(NEXT) | instid1(VALU_DEP_1)
	v_dual_fmac_f32 v5, v20, v32 :: v_dual_fmac_f32 v4, v42, v46
	v_fma_f32 v5, -v21, v33, v5
	v_fmac_f32_e32 v14, v45, v46
	v_fmac_f32_e32 v13, v27, v34
	s_delay_alu instid0(VALU_DEP_4) | instskip(NEXT) | instid1(VALU_DEP_4)
	v_fma_f32 v4, -v43, v47, v4
	v_fmac_f32_e32 v5, v28, v34
	s_delay_alu instid0(VALU_DEP_4) | instskip(NEXT) | instid1(VALU_DEP_4)
	v_fmac_f32_e32 v14, v44, v47
	v_fmac_f32_e32 v13, v26, v35
	s_waitcnt vmcnt(0)
	v_fmac_f32_e32 v4, v50, v48
	v_fma_f32 v5, -v29, v35, v5
	v_fmac_f32_e32 v14, v53, v48
	v_fmac_f32_e32 v13, v39, v36
	s_delay_alu instid0(VALU_DEP_4) | instskip(NEXT) | instid1(VALU_DEP_4)
	v_fma_f32 v16, -v51, v49, v4
	v_fmac_f32_e32 v5, v40, v36
	s_delay_alu instid0(VALU_DEP_4) | instskip(NEXT) | instid1(VALU_DEP_4)
	v_fmac_f32_e32 v14, v52, v49
	v_fmac_f32_e32 v13, v38, v37
	s_delay_alu instid0(VALU_DEP_3) | instskip(NEXT) | instid1(VALU_DEP_2)
	v_fma_f32 v5, -v41, v37, v5
	v_fmac_f32_e32 v13, v43, v46
	s_delay_alu instid0(VALU_DEP_2) | instskip(NEXT) | instid1(VALU_DEP_2)
	v_fmac_f32_e32 v5, v44, v46
	v_fmac_f32_e32 v13, v42, v47
	s_delay_alu instid0(VALU_DEP_2) | instskip(NEXT) | instid1(VALU_DEP_2)
	v_fma_f32 v5, -v45, v47, v5
	v_fmac_f32_e32 v13, v51, v48
	s_delay_alu instid0(VALU_DEP_2) | instskip(NEXT) | instid1(VALU_DEP_2)
	v_fmac_f32_e32 v5, v52, v48
	v_fmac_f32_e32 v13, v50, v49
	s_delay_alu instid0(VALU_DEP_2)
	v_fma_f32 v17, -v53, v49, v5
	s_and_not1_b32 exec_lo, exec_lo, s13
	s_cbranch_execnz .LBB175_12
; %bb.13:
	s_or_b32 exec_lo, exec_lo, s13
.LBB175_14:
	s_delay_alu instid0(SALU_CYCLE_1) | instskip(NEXT) | instid1(SALU_CYCLE_1)
	s_or_b32 exec_lo, exec_lo, s5
	s_and_not1_b32 vcc_lo, exec_lo, s4
	s_cbranch_vccz .LBB175_19
	s_branch .LBB175_24
.LBB175_15:
	v_dual_mov_b32 v1, s4 :: v_dual_mov_b32 v2, s5
	flat_load_b32 v9, v[1:2]
	v_cndmask_b32_e64 v1, 0, 1, s6
	v_mov_b32_e32 v10, s5
	s_and_not1_b32 vcc_lo, exec_lo, s6
	s_cbranch_vccnz .LBB175_2
.LBB175_16:
	v_dual_mov_b32 v2, s4 :: v_dual_mov_b32 v3, s5
	flat_load_b32 v10, v[2:3] offset:4
	v_cmp_ne_u32_e32 vcc_lo, 1, v1
	v_mov_b32_e32 v11, s2
	s_cbranch_vccnz .LBB175_3
.LBB175_17:
	v_dual_mov_b32 v2, s2 :: v_dual_mov_b32 v3, s3
	flat_load_b32 v11, v[2:3]
	v_cmp_ne_u32_e32 vcc_lo, 1, v1
	v_mov_b32_e32 v12, s3
	s_cbranch_vccz .LBB175_4
	s_branch .LBB175_5
.LBB175_18:
                                        ; implicit-def: $vgpr13
                                        ; implicit-def: $vgpr16
                                        ; implicit-def: $vgpr17
                                        ; implicit-def: $vgpr14
.LBB175_19:
	v_dual_mov_b32 v13, 0 :: v_dual_mov_b32 v16, 0
	v_dual_mov_b32 v17, 0 :: v_dual_mov_b32 v14, 0
	s_delay_alu instid0(VALU_DEP_3)
	s_and_saveexec_b32 s3, s2
	s_cbranch_execz .LBB175_23
; %bb.20:
	v_mad_u64_u32 v[4:5], null, v2, 12, 11
	v_dual_mov_b32 v7, 0 :: v_dual_mov_b32 v16, 0
	v_dual_mov_b32 v13, 0 :: v_dual_mov_b32 v14, 0
	v_mov_b32_e32 v17, 0
	s_mov_b32 s2, 0
.LBB175_21:                             ; =>This Inner Loop Header: Depth=1
	v_ashrrev_i32_e32 v3, 31, v2
	v_dual_mov_b32 v19, v7 :: v_dual_add_nc_u32 v18, -5, v4
	v_mov_b32_e32 v35, v7
	s_delay_alu instid0(VALU_DEP_3) | instskip(SKIP_1) | instid1(VALU_DEP_4)
	v_lshlrev_b64 v[5:6], 2, v[2:3]
	v_add_nc_u32_e32 v2, 32, v2
	v_lshlrev_b64 v[18:19], 3, v[18:19]
	s_delay_alu instid0(VALU_DEP_3) | instskip(NEXT) | instid1(VALU_DEP_4)
	v_add_co_u32 v5, vcc_lo, s6, v5
	v_add_co_ci_u32_e32 v6, vcc_lo, s7, v6, vcc_lo
	global_load_b32 v3, v[5:6], off
	v_dual_mov_b32 v5, v7 :: v_dual_add_nc_u32 v6, -11, v4
	s_delay_alu instid0(VALU_DEP_1) | instskip(SKIP_1) | instid1(VALU_DEP_3)
	v_lshlrev_b64 v[20:21], 3, v[6:7]
	v_add_nc_u32_e32 v6, -4, v4
	v_lshlrev_b64 v[22:23], 3, v[4:5]
	s_delay_alu instid0(VALU_DEP_2) | instskip(NEXT) | instid1(VALU_DEP_4)
	v_lshlrev_b64 v[5:6], 3, v[6:7]
	v_add_co_u32 v24, vcc_lo, s8, v20
	v_add_co_ci_u32_e32 v25, vcc_lo, s9, v21, vcc_lo
	v_add_co_u32 v26, vcc_lo, s8, v18
	v_add_co_ci_u32_e32 v27, vcc_lo, s9, v19, vcc_lo
	;; [unrolled: 2-line block ×4, first 2 shown]
	s_clause 0x3
	global_load_b128 v[18:21], v[24:25], off offset:16
	global_load_b128 v[22:25], v[24:25], off
	global_load_b64 v[40:41], v[26:27], off
	global_load_b64 v[42:43], v[5:6], off
	s_waitcnt vmcnt(4)
	v_subrev_nc_u32_e32 v3, s12, v3
	s_delay_alu instid0(VALU_DEP_1) | instskip(NEXT) | instid1(VALU_DEP_1)
	v_mul_lo_u32 v34, v3, 6
	v_lshlrev_b64 v[26:27], 3, v[34:35]
	s_delay_alu instid0(VALU_DEP_1) | instskip(NEXT) | instid1(VALU_DEP_2)
	v_add_co_u32 v26, vcc_lo, s10, v26
	v_add_co_ci_u32_e32 v27, vcc_lo, s11, v27, vcc_lo
	global_load_b128 v[26:29], v[26:27], off
	v_add_nc_u32_e32 v6, 2, v34
	s_delay_alu instid0(VALU_DEP_1) | instskip(SKIP_1) | instid1(VALU_DEP_1)
	v_lshlrev_b64 v[30:31], 3, v[6:7]
	v_add_nc_u32_e32 v6, -3, v4
	v_lshlrev_b64 v[32:33], 3, v[6:7]
	s_delay_alu instid0(VALU_DEP_3) | instskip(NEXT) | instid1(VALU_DEP_4)
	v_add_co_u32 v30, vcc_lo, s10, v30
	v_add_co_ci_u32_e32 v31, vcc_lo, s11, v31, vcc_lo
	s_delay_alu instid0(VALU_DEP_3) | instskip(NEXT) | instid1(VALU_DEP_4)
	v_add_co_u32 v44, vcc_lo, s8, v32
	v_add_co_ci_u32_e32 v45, vcc_lo, s9, v33, vcc_lo
	global_load_b128 v[30:33], v[30:31], off
	v_add_nc_u32_e32 v6, -2, v4
	global_load_b64 v[44:45], v[44:45], off
	s_waitcnt vmcnt(2)
	v_fmac_f32_e32 v13, v23, v26
	v_fmac_f32_e32 v17, v40, v26
	v_lshlrev_b64 v[35:36], 3, v[6:7]
	s_delay_alu instid0(VALU_DEP_3) | instskip(SKIP_1) | instid1(VALU_DEP_4)
	v_fmac_f32_e32 v13, v22, v27
	v_fmac_f32_e32 v16, v22, v26
	v_fma_f32 v8, -v41, v27, v17
	s_delay_alu instid0(VALU_DEP_3) | instskip(SKIP_1) | instid1(VALU_DEP_4)
	v_fmac_f32_e32 v13, v25, v28
	v_add_nc_u32_e32 v6, -7, v4
	v_fma_f32 v3, -v23, v27, v16
	s_delay_alu instid0(VALU_DEP_3) | instskip(NEXT) | instid1(VALU_DEP_3)
	v_fmac_f32_e32 v13, v24, v29
	v_lshlrev_b64 v[46:47], 3, v[6:7]
	s_delay_alu instid0(VALU_DEP_3) | instskip(SKIP_2) | instid1(VALU_DEP_4)
	v_dual_fmac_f32 v3, v24, v28 :: v_dual_add_nc_u32 v6, 4, v34
	v_add_co_u32 v34, vcc_lo, s8, v35
	v_add_co_ci_u32_e32 v35, vcc_lo, s9, v36, vcc_lo
	v_add_co_u32 v46, vcc_lo, s8, v46
	s_delay_alu instid0(VALU_DEP_4)
	v_lshlrev_b64 v[36:37], 3, v[6:7]
	v_add_co_ci_u32_e32 v47, vcc_lo, s9, v47, vcc_lo
	v_fma_f32 v3, -v25, v29, v3
	s_waitcnt vmcnt(1)
	v_dual_fmac_f32 v13, v19, v30 :: v_dual_add_nc_u32 v6, -1, v4
	s_clause 0x1
	global_load_b64 v[46:47], v[46:47], off
	global_load_b64 v[48:49], v[34:35], off
	v_fmac_f32_e32 v3, v18, v30
	v_lshlrev_b64 v[34:35], 3, v[6:7]
	v_add_co_u32 v36, vcc_lo, s10, v36
	v_add_nc_u32_e32 v6, -6, v4
	v_add_co_ci_u32_e32 v37, vcc_lo, s11, v37, vcc_lo
	s_delay_alu instid0(VALU_DEP_4) | instskip(SKIP_1) | instid1(VALU_DEP_4)
	v_add_co_u32 v50, vcc_lo, s8, v34
	v_add_co_ci_u32_e32 v51, vcc_lo, s9, v35, vcc_lo
	v_lshlrev_b64 v[5:6], 3, v[6:7]
	global_load_b128 v[34:37], v[36:37], off
	global_load_b64 v[50:51], v[50:51], off
	v_dual_fmac_f32 v14, v41, v26 :: v_dual_fmac_f32 v13, v18, v31
	v_fma_f32 v3, -v19, v31, v3
	v_add_co_u32 v5, vcc_lo, s8, v5
	v_add_co_ci_u32_e32 v6, vcc_lo, s9, v6, vcc_lo
	s_clause 0x1
	global_load_b64 v[5:6], v[5:6], off
	global_load_b64 v[38:39], v[38:39], off
	v_dual_fmac_f32 v14, v40, v27 :: v_dual_fmac_f32 v13, v21, v32
	v_fmac_f32_e32 v3, v20, v32
	v_fmac_f32_e32 v8, v42, v28
	v_cmp_ge_i32_e32 vcc_lo, v2, v15
	s_delay_alu instid0(VALU_DEP_4) | instskip(NEXT) | instid1(VALU_DEP_4)
	v_dual_fmac_f32 v13, v20, v33 :: v_dual_add_nc_u32 v4, 0x180, v4
	v_fma_f32 v3, -v21, v33, v3
	v_fmac_f32_e32 v14, v43, v28
	v_fma_f32 v8, -v43, v29, v8
	s_or_b32 s2, vcc_lo, s2
	s_waitcnt vmcnt(3)
	v_fmac_f32_e32 v3, v46, v34
	v_dual_fmac_f32 v14, v42, v29 :: v_dual_fmac_f32 v13, v47, v34
	v_fmac_f32_e32 v8, v44, v30
	s_delay_alu instid0(VALU_DEP_3) | instskip(NEXT) | instid1(VALU_DEP_3)
	v_fma_f32 v3, -v47, v35, v3
	v_dual_fmac_f32 v13, v46, v35 :: v_dual_fmac_f32 v14, v45, v30
	s_delay_alu instid0(VALU_DEP_3) | instskip(SKIP_1) | instid1(VALU_DEP_3)
	v_fma_f32 v8, -v45, v31, v8
	s_waitcnt vmcnt(1)
	v_fmac_f32_e32 v3, v5, v36
	s_delay_alu instid0(VALU_DEP_3) | instskip(NEXT) | instid1(VALU_DEP_3)
	v_dual_fmac_f32 v13, v6, v36 :: v_dual_fmac_f32 v14, v44, v31
	v_fmac_f32_e32 v8, v48, v32
	s_delay_alu instid0(VALU_DEP_3) | instskip(NEXT) | instid1(VALU_DEP_3)
	v_fma_f32 v16, -v6, v37, v3
	v_fmac_f32_e32 v13, v5, v37
	s_delay_alu instid0(VALU_DEP_4) | instskip(NEXT) | instid1(VALU_DEP_4)
	v_fmac_f32_e32 v14, v49, v32
	v_fma_f32 v8, -v49, v33, v8
	s_delay_alu instid0(VALU_DEP_2) | instskip(NEXT) | instid1(VALU_DEP_2)
	v_fmac_f32_e32 v14, v48, v33
	v_fmac_f32_e32 v8, v50, v34
	s_delay_alu instid0(VALU_DEP_2) | instskip(NEXT) | instid1(VALU_DEP_2)
	v_fmac_f32_e32 v14, v51, v34
	v_fma_f32 v8, -v51, v35, v8
	s_delay_alu instid0(VALU_DEP_2) | instskip(SKIP_1) | instid1(VALU_DEP_2)
	v_fmac_f32_e32 v14, v50, v35
	s_waitcnt vmcnt(0)
	v_fmac_f32_e32 v8, v38, v36
	s_delay_alu instid0(VALU_DEP_2) | instskip(NEXT) | instid1(VALU_DEP_2)
	v_fmac_f32_e32 v14, v39, v36
	v_fma_f32 v17, -v39, v37, v8
	s_delay_alu instid0(VALU_DEP_2)
	v_fmac_f32_e32 v14, v38, v37
	s_and_not1_b32 exec_lo, exec_lo, s2
	s_cbranch_execnz .LBB175_21
; %bb.22:
	s_or_b32 exec_lo, exec_lo, s2
.LBB175_23:
	s_delay_alu instid0(SALU_CYCLE_1)
	s_or_b32 exec_lo, exec_lo, s3
.LBB175_24:
	v_mbcnt_lo_u32_b32 v2, -1, 0
	s_delay_alu instid0(VALU_DEP_1) | instskip(SKIP_2) | instid1(VALU_DEP_3)
	v_xor_b32_e32 v3, 16, v2
	v_xor_b32_e32 v7, 8, v2
	;; [unrolled: 1-line block ×3, first 2 shown]
	v_cmp_gt_i32_e32 vcc_lo, 32, v3
	v_cndmask_b32_e32 v3, v2, v3, vcc_lo
	s_delay_alu instid0(VALU_DEP_4) | instskip(NEXT) | instid1(VALU_DEP_2)
	v_cmp_gt_i32_e32 vcc_lo, 32, v7
	v_lshlrev_b32_e32 v3, 2, v3
	ds_bpermute_b32 v6, v3, v17
	s_waitcnt lgkmcnt(0)
	v_add_f32_e32 v6, v17, v6
	ds_bpermute_b32 v4, v3, v16
	ds_bpermute_b32 v5, v3, v13
	;; [unrolled: 1-line block ×3, first 2 shown]
	s_waitcnt lgkmcnt(2)
	v_dual_add_f32 v4, v16, v4 :: v_dual_cndmask_b32 v7, v2, v7
	s_waitcnt lgkmcnt(0)
	v_add_f32_e32 v3, v14, v3
	v_cmp_gt_i32_e32 vcc_lo, 32, v15
	s_delay_alu instid0(VALU_DEP_3)
	v_lshlrev_b32_e32 v7, 2, v7
	v_cndmask_b32_e32 v15, v2, v15, vcc_lo
	ds_bpermute_b32 v14, v7, v6
	s_waitcnt lgkmcnt(0)
	v_add_f32_e32 v6, v6, v14
	ds_bpermute_b32 v8, v7, v4
	s_waitcnt lgkmcnt(0)
	v_dual_add_f32 v4, v4, v8 :: v_dual_lshlrev_b32 v15, 2, v15
	v_add_f32_e32 v5, v13, v5
	ds_bpermute_b32 v13, v7, v5
	ds_bpermute_b32 v7, v7, v3
	s_waitcnt lgkmcnt(0)
	v_add_f32_e32 v3, v3, v7
	ds_bpermute_b32 v7, v15, v4
	s_waitcnt lgkmcnt(0)
	v_dual_add_f32 v4, v4, v7 :: v_dual_add_f32 v5, v5, v13
	ds_bpermute_b32 v13, v15, v6
	s_waitcnt lgkmcnt(0)
	v_add_f32_e32 v6, v6, v13
	ds_bpermute_b32 v8, v15, v5
	ds_bpermute_b32 v14, v15, v3
	v_xor_b32_e32 v15, 2, v2
	s_delay_alu instid0(VALU_DEP_1) | instskip(SKIP_1) | instid1(VALU_DEP_1)
	v_cmp_gt_i32_e32 vcc_lo, 32, v15
	v_cndmask_b32_e32 v15, v2, v15, vcc_lo
	v_lshlrev_b32_e32 v15, 2, v15
	s_waitcnt lgkmcnt(0)
	v_add_f32_e32 v3, v3, v14
	ds_bpermute_b32 v7, v15, v4
	v_add_f32_e32 v5, v5, v8
	ds_bpermute_b32 v13, v15, v6
	ds_bpermute_b32 v14, v15, v3
	s_waitcnt lgkmcnt(2)
	v_add_f32_e32 v4, v4, v7
	ds_bpermute_b32 v8, v15, v5
	v_xor_b32_e32 v15, 1, v2
	s_waitcnt lgkmcnt(1)
	v_add_f32_e32 v3, v3, v14
	s_delay_alu instid0(VALU_DEP_2) | instskip(SKIP_2) | instid1(VALU_DEP_2)
	v_cmp_gt_i32_e32 vcc_lo, 32, v15
	v_cndmask_b32_e32 v2, v2, v15, vcc_lo
	v_cmp_eq_u32_e32 vcc_lo, 31, v0
	v_dual_add_f32 v2, v6, v13 :: v_dual_lshlrev_b32 v15, 2, v2
	s_waitcnt lgkmcnt(0)
	v_add_f32_e32 v5, v5, v8
	ds_bpermute_b32 v8, v15, v4
	ds_bpermute_b32 v6, v15, v2
	;; [unrolled: 1-line block ×4, first 2 shown]
	s_and_b32 exec_lo, exec_lo, vcc_lo
	s_cbranch_execz .LBB175_29
; %bb.25:
	s_load_b64 s[2:3], s[0:1], 0x38
	v_cmp_eq_f32_e32 vcc_lo, 0, v11
	v_cmp_eq_f32_e64 s0, 0, v12
	s_waitcnt lgkmcnt(0)
	v_dual_add_f32 v0, v4, v8 :: v_dual_add_f32 v3, v3, v7
	v_add_f32_e32 v4, v5, v13
	v_add_f32_e32 v2, v2, v6
	s_and_b32 s0, vcc_lo, s0
	s_delay_alu instid0(SALU_CYCLE_1) | instskip(NEXT) | instid1(SALU_CYCLE_1)
	s_and_saveexec_b32 s1, s0
	s_xor_b32 s0, exec_lo, s1
	s_cbranch_execz .LBB175_27
; %bb.26:
	v_mul_f32_e64 v5, v4, -v10
	v_mul_f32_e32 v6, v4, v9
	v_mul_f32_e64 v7, v3, -v10
	v_mul_f32_e32 v8, v3, v9
                                        ; implicit-def: $vgpr4
                                        ; implicit-def: $vgpr3
	s_delay_alu instid0(VALU_DEP_4) | instskip(NEXT) | instid1(VALU_DEP_4)
	v_fmac_f32_e32 v5, v9, v0
	v_dual_fmac_f32 v6, v10, v0 :: v_dual_lshlrev_b32 v11, 1, v1
	s_delay_alu instid0(VALU_DEP_4) | instskip(NEXT) | instid1(VALU_DEP_4)
	v_fmac_f32_e32 v7, v9, v2
	v_fmac_f32_e32 v8, v10, v2
                                        ; implicit-def: $vgpr9
                                        ; implicit-def: $vgpr10
                                        ; implicit-def: $vgpr2
	s_delay_alu instid0(VALU_DEP_3) | instskip(NEXT) | instid1(VALU_DEP_1)
	v_ashrrev_i32_e32 v12, 31, v11
	v_lshlrev_b64 v[11:12], 3, v[11:12]
	s_delay_alu instid0(VALU_DEP_1) | instskip(NEXT) | instid1(VALU_DEP_2)
	v_add_co_u32 v0, vcc_lo, s2, v11
	v_add_co_ci_u32_e32 v1, vcc_lo, s3, v12, vcc_lo
                                        ; implicit-def: $vgpr11
                                        ; implicit-def: $vgpr12
	global_store_b128 v[0:1], v[5:8], off
                                        ; implicit-def: $vgpr1
                                        ; implicit-def: $vgpr0
.LBB175_27:
	s_and_not1_saveexec_b32 s0, s0
	s_cbranch_execz .LBB175_29
; %bb.28:
	v_lshlrev_b32_e32 v5, 1, v1
	v_mul_f32_e64 v15, v4, -v10
	v_mul_f32_e32 v1, v4, v9
	v_mul_f32_e64 v4, v3, -v10
	v_mul_f32_e32 v3, v3, v9
	s_delay_alu instid0(VALU_DEP_4) | instskip(NEXT) | instid1(VALU_DEP_3)
	v_fmac_f32_e32 v15, v9, v0
	v_fmac_f32_e32 v4, v9, v2
	v_ashrrev_i32_e32 v6, 31, v5
	s_delay_alu instid0(VALU_DEP_4) | instskip(NEXT) | instid1(VALU_DEP_2)
	v_fmac_f32_e32 v3, v10, v2
	v_lshlrev_b64 v[5:6], 3, v[5:6]
	s_delay_alu instid0(VALU_DEP_1) | instskip(NEXT) | instid1(VALU_DEP_2)
	v_add_co_u32 v13, vcc_lo, s2, v5
	v_add_co_ci_u32_e32 v14, vcc_lo, s3, v6, vcc_lo
	global_load_b128 v[5:8], v[13:14], off
	s_waitcnt vmcnt(0)
	v_dual_fmac_f32 v4, v11, v7 :: v_dual_fmac_f32 v1, v10, v0
	v_fmac_f32_e32 v15, v11, v5
	v_fmac_f32_e32 v3, v12, v7
	s_delay_alu instid0(VALU_DEP_3) | instskip(NEXT) | instid1(VALU_DEP_4)
	v_fma_f32 v2, -v12, v8, v4
	v_fmac_f32_e32 v1, v12, v5
	s_delay_alu instid0(VALU_DEP_4) | instskip(NEXT) | instid1(VALU_DEP_4)
	v_fma_f32 v0, -v12, v6, v15
	v_fmac_f32_e32 v3, v11, v8
	s_delay_alu instid0(VALU_DEP_3)
	v_fmac_f32_e32 v1, v11, v6
	global_store_b128 v[13:14], v[0:3], off
.LBB175_29:
	s_nop 0
	s_sendmsg sendmsg(MSG_DEALLOC_VGPRS)
	s_endpgm
	.section	.rodata,"a",@progbits
	.p2align	6, 0x0
	.amdhsa_kernel _ZN9rocsparseL19gebsrmvn_2xn_kernelILj128ELj6ELj32E21rocsparse_complex_numIfEEEvi20rocsparse_direction_NS_24const_host_device_scalarIT2_EEPKiS8_PKS5_SA_S6_PS5_21rocsparse_index_base_b
		.amdhsa_group_segment_fixed_size 0
		.amdhsa_private_segment_fixed_size 0
		.amdhsa_kernarg_size 72
		.amdhsa_user_sgpr_count 15
		.amdhsa_user_sgpr_dispatch_ptr 0
		.amdhsa_user_sgpr_queue_ptr 0
		.amdhsa_user_sgpr_kernarg_segment_ptr 1
		.amdhsa_user_sgpr_dispatch_id 0
		.amdhsa_user_sgpr_private_segment_size 0
		.amdhsa_wavefront_size32 1
		.amdhsa_uses_dynamic_stack 0
		.amdhsa_enable_private_segment 0
		.amdhsa_system_sgpr_workgroup_id_x 1
		.amdhsa_system_sgpr_workgroup_id_y 0
		.amdhsa_system_sgpr_workgroup_id_z 0
		.amdhsa_system_sgpr_workgroup_info 0
		.amdhsa_system_vgpr_workitem_id 0
		.amdhsa_next_free_vgpr 54
		.amdhsa_next_free_sgpr 16
		.amdhsa_reserve_vcc 1
		.amdhsa_float_round_mode_32 0
		.amdhsa_float_round_mode_16_64 0
		.amdhsa_float_denorm_mode_32 3
		.amdhsa_float_denorm_mode_16_64 3
		.amdhsa_dx10_clamp 1
		.amdhsa_ieee_mode 1
		.amdhsa_fp16_overflow 0
		.amdhsa_workgroup_processor_mode 1
		.amdhsa_memory_ordered 1
		.amdhsa_forward_progress 0
		.amdhsa_shared_vgpr_count 0
		.amdhsa_exception_fp_ieee_invalid_op 0
		.amdhsa_exception_fp_denorm_src 0
		.amdhsa_exception_fp_ieee_div_zero 0
		.amdhsa_exception_fp_ieee_overflow 0
		.amdhsa_exception_fp_ieee_underflow 0
		.amdhsa_exception_fp_ieee_inexact 0
		.amdhsa_exception_int_div_zero 0
	.end_amdhsa_kernel
	.section	.text._ZN9rocsparseL19gebsrmvn_2xn_kernelILj128ELj6ELj32E21rocsparse_complex_numIfEEEvi20rocsparse_direction_NS_24const_host_device_scalarIT2_EEPKiS8_PKS5_SA_S6_PS5_21rocsparse_index_base_b,"axG",@progbits,_ZN9rocsparseL19gebsrmvn_2xn_kernelILj128ELj6ELj32E21rocsparse_complex_numIfEEEvi20rocsparse_direction_NS_24const_host_device_scalarIT2_EEPKiS8_PKS5_SA_S6_PS5_21rocsparse_index_base_b,comdat
.Lfunc_end175:
	.size	_ZN9rocsparseL19gebsrmvn_2xn_kernelILj128ELj6ELj32E21rocsparse_complex_numIfEEEvi20rocsparse_direction_NS_24const_host_device_scalarIT2_EEPKiS8_PKS5_SA_S6_PS5_21rocsparse_index_base_b, .Lfunc_end175-_ZN9rocsparseL19gebsrmvn_2xn_kernelILj128ELj6ELj32E21rocsparse_complex_numIfEEEvi20rocsparse_direction_NS_24const_host_device_scalarIT2_EEPKiS8_PKS5_SA_S6_PS5_21rocsparse_index_base_b
                                        ; -- End function
	.section	.AMDGPU.csdata,"",@progbits
; Kernel info:
; codeLenInByte = 2888
; NumSgprs: 18
; NumVgprs: 54
; ScratchSize: 0
; MemoryBound: 0
; FloatMode: 240
; IeeeMode: 1
; LDSByteSize: 0 bytes/workgroup (compile time only)
; SGPRBlocks: 2
; VGPRBlocks: 6
; NumSGPRsForWavesPerEU: 18
; NumVGPRsForWavesPerEU: 54
; Occupancy: 16
; WaveLimiterHint : 1
; COMPUTE_PGM_RSRC2:SCRATCH_EN: 0
; COMPUTE_PGM_RSRC2:USER_SGPR: 15
; COMPUTE_PGM_RSRC2:TRAP_HANDLER: 0
; COMPUTE_PGM_RSRC2:TGID_X_EN: 1
; COMPUTE_PGM_RSRC2:TGID_Y_EN: 0
; COMPUTE_PGM_RSRC2:TGID_Z_EN: 0
; COMPUTE_PGM_RSRC2:TIDIG_COMP_CNT: 0
	.section	.text._ZN9rocsparseL19gebsrmvn_2xn_kernelILj128ELj6ELj64E21rocsparse_complex_numIfEEEvi20rocsparse_direction_NS_24const_host_device_scalarIT2_EEPKiS8_PKS5_SA_S6_PS5_21rocsparse_index_base_b,"axG",@progbits,_ZN9rocsparseL19gebsrmvn_2xn_kernelILj128ELj6ELj64E21rocsparse_complex_numIfEEEvi20rocsparse_direction_NS_24const_host_device_scalarIT2_EEPKiS8_PKS5_SA_S6_PS5_21rocsparse_index_base_b,comdat
	.globl	_ZN9rocsparseL19gebsrmvn_2xn_kernelILj128ELj6ELj64E21rocsparse_complex_numIfEEEvi20rocsparse_direction_NS_24const_host_device_scalarIT2_EEPKiS8_PKS5_SA_S6_PS5_21rocsparse_index_base_b ; -- Begin function _ZN9rocsparseL19gebsrmvn_2xn_kernelILj128ELj6ELj64E21rocsparse_complex_numIfEEEvi20rocsparse_direction_NS_24const_host_device_scalarIT2_EEPKiS8_PKS5_SA_S6_PS5_21rocsparse_index_base_b
	.p2align	8
	.type	_ZN9rocsparseL19gebsrmvn_2xn_kernelILj128ELj6ELj64E21rocsparse_complex_numIfEEEvi20rocsparse_direction_NS_24const_host_device_scalarIT2_EEPKiS8_PKS5_SA_S6_PS5_21rocsparse_index_base_b,@function
_ZN9rocsparseL19gebsrmvn_2xn_kernelILj128ELj6ELj64E21rocsparse_complex_numIfEEEvi20rocsparse_direction_NS_24const_host_device_scalarIT2_EEPKiS8_PKS5_SA_S6_PS5_21rocsparse_index_base_b: ; @_ZN9rocsparseL19gebsrmvn_2xn_kernelILj128ELj6ELj64E21rocsparse_complex_numIfEEEvi20rocsparse_direction_NS_24const_host_device_scalarIT2_EEPKiS8_PKS5_SA_S6_PS5_21rocsparse_index_base_b
; %bb.0:
	s_clause 0x2
	s_load_b64 s[12:13], s[0:1], 0x40
	s_load_b64 s[4:5], s[0:1], 0x8
	;; [unrolled: 1-line block ×3, first 2 shown]
	s_waitcnt lgkmcnt(0)
	s_bitcmp1_b32 s13, 0
	v_mov_b32_e32 v9, s4
	s_cselect_b32 s6, -1, 0
	s_delay_alu instid0(SALU_CYCLE_1)
	s_and_b32 vcc_lo, exec_lo, s6
	s_xor_b32 s6, s6, -1
	s_cbranch_vccz .LBB176_15
; %bb.1:
	v_cndmask_b32_e64 v1, 0, 1, s6
	v_mov_b32_e32 v10, s5
	s_and_not1_b32 vcc_lo, exec_lo, s6
	s_cbranch_vccz .LBB176_16
.LBB176_2:
	s_delay_alu instid0(VALU_DEP_2)
	v_cmp_ne_u32_e32 vcc_lo, 1, v1
	v_mov_b32_e32 v11, s2
	s_cbranch_vccz .LBB176_17
.LBB176_3:
	v_cmp_ne_u32_e32 vcc_lo, 1, v1
	v_mov_b32_e32 v12, s3
	s_cbranch_vccnz .LBB176_5
.LBB176_4:
	v_dual_mov_b32 v1, s2 :: v_dual_mov_b32 v2, s3
	flat_load_b32 v12, v[1:2] offset:4
.LBB176_5:
	s_waitcnt vmcnt(0) lgkmcnt(0)
	v_cmp_eq_f32_e32 vcc_lo, 0, v9
	v_cmp_eq_f32_e64 s2, 0, v10
	s_delay_alu instid0(VALU_DEP_1)
	s_and_b32 s4, vcc_lo, s2
	s_mov_b32 s2, -1
	s_and_saveexec_b32 s3, s4
; %bb.6:
	v_cmp_neq_f32_e32 vcc_lo, 1.0, v11
	v_cmp_neq_f32_e64 s2, 0, v12
	s_delay_alu instid0(VALU_DEP_1) | instskip(NEXT) | instid1(SALU_CYCLE_1)
	s_or_b32 s2, vcc_lo, s2
	s_or_not1_b32 s2, s2, exec_lo
; %bb.7:
	s_or_b32 exec_lo, exec_lo, s3
	s_and_saveexec_b32 s3, s2
	s_cbranch_execz .LBB176_29
; %bb.8:
	s_load_b64 s[2:3], s[0:1], 0x0
	v_lshrrev_b32_e32 v1, 6, v0
	s_delay_alu instid0(VALU_DEP_1) | instskip(SKIP_1) | instid1(VALU_DEP_1)
	v_lshl_or_b32 v1, s15, 1, v1
	s_waitcnt lgkmcnt(0)
	v_cmp_gt_i32_e32 vcc_lo, s2, v1
	s_and_b32 exec_lo, exec_lo, vcc_lo
	s_cbranch_execz .LBB176_29
; %bb.9:
	s_load_b256 s[4:11], s[0:1], 0x10
	v_ashrrev_i32_e32 v2, 31, v1
	v_and_b32_e32 v0, 63, v0
	s_cmp_lg_u32 s3, 0
	s_delay_alu instid0(VALU_DEP_2) | instskip(SKIP_1) | instid1(VALU_DEP_1)
	v_lshlrev_b64 v[2:3], 2, v[1:2]
	s_waitcnt lgkmcnt(0)
	v_add_co_u32 v2, vcc_lo, s4, v2
	s_delay_alu instid0(VALU_DEP_2) | instskip(SKIP_4) | instid1(VALU_DEP_2)
	v_add_co_ci_u32_e32 v3, vcc_lo, s5, v3, vcc_lo
	global_load_b64 v[2:3], v[2:3], off
	s_waitcnt vmcnt(0)
	v_subrev_nc_u32_e32 v2, s12, v2
	v_subrev_nc_u32_e32 v15, s12, v3
	v_add_nc_u32_e32 v2, v2, v0
	s_delay_alu instid0(VALU_DEP_1)
	v_cmp_lt_i32_e64 s2, v2, v15
	s_cbranch_scc0 .LBB176_18
; %bb.10:
	v_dual_mov_b32 v13, 0 :: v_dual_mov_b32 v16, 0
	v_dual_mov_b32 v17, 0 :: v_dual_mov_b32 v14, 0
	s_mov_b32 s4, 0
	s_and_saveexec_b32 s5, s2
	s_cbranch_execz .LBB176_14
; %bb.11:
	v_mad_u64_u32 v[3:4], null, v2, 12, 10
	v_dual_mov_b32 v6, 0 :: v_dual_mov_b32 v7, v2
	v_dual_mov_b32 v13, 0 :: v_dual_mov_b32 v16, 0
	;; [unrolled: 1-line block ×3, first 2 shown]
	s_mov_b32 s13, 0
.LBB176_12:                             ; =>This Inner Loop Header: Depth=1
	s_delay_alu instid0(VALU_DEP_3) | instskip(NEXT) | instid1(VALU_DEP_1)
	v_ashrrev_i32_e32 v8, 31, v7
	v_lshlrev_b64 v[4:5], 2, v[7:8]
	v_add_nc_u32_e32 v7, 64, v7
	s_delay_alu instid0(VALU_DEP_2) | instskip(NEXT) | instid1(VALU_DEP_3)
	v_add_co_u32 v4, vcc_lo, s6, v4
	v_add_co_ci_u32_e32 v5, vcc_lo, s7, v5, vcc_lo
	global_load_b32 v8, v[4:5], off
	v_dual_mov_b32 v4, v6 :: v_dual_add_nc_u32 v5, -10, v3
	s_delay_alu instid0(VALU_DEP_1) | instskip(SKIP_1) | instid1(VALU_DEP_3)
	v_lshlrev_b64 v[18:19], 3, v[5:6]
	v_add_nc_u32_e32 v5, -6, v3
	v_lshlrev_b64 v[49:50], 3, v[3:4]
	s_delay_alu instid0(VALU_DEP_2) | instskip(NEXT) | instid1(VALU_DEP_4)
	v_lshlrev_b64 v[4:5], 3, v[5:6]
	v_add_co_u32 v22, vcc_lo, s8, v18
	v_add_co_ci_u32_e32 v23, vcc_lo, s9, v19, vcc_lo
	s_delay_alu instid0(VALU_DEP_4) | instskip(NEXT) | instid1(VALU_DEP_4)
	v_add_co_u32 v51, vcc_lo, s8, v49
	v_add_co_u32 v4, s3, s8, v4
	s_delay_alu instid0(VALU_DEP_1)
	v_add_co_ci_u32_e64 v5, s3, s9, v5, s3
	s_clause 0x2
	global_load_b128 v[18:21], v[22:23], off offset:16
	global_load_b128 v[22:25], v[22:23], off
	global_load_b128 v[26:29], v[4:5], off
	v_mov_b32_e32 v35, v6
	v_add_co_ci_u32_e32 v52, vcc_lo, s9, v50, vcc_lo
	v_cmp_ge_i32_e32 vcc_lo, v7, v15
	s_or_b32 s13, vcc_lo, s13
	s_waitcnt vmcnt(3)
	v_subrev_nc_u32_e32 v8, s12, v8
	s_delay_alu instid0(VALU_DEP_1) | instskip(NEXT) | instid1(VALU_DEP_1)
	v_mul_lo_u32 v34, v8, 6
	v_lshlrev_b64 v[30:31], 3, v[34:35]
	s_delay_alu instid0(VALU_DEP_1) | instskip(NEXT) | instid1(VALU_DEP_1)
	v_add_co_u32 v30, s3, s10, v30
	v_add_co_ci_u32_e64 v31, s3, s11, v31, s3
	global_load_b128 v[30:33], v[30:31], off
	v_add_nc_u32_e32 v5, 2, v34
	s_delay_alu instid0(VALU_DEP_1) | instskip(SKIP_1) | instid1(VALU_DEP_1)
	v_lshlrev_b64 v[35:36], 3, v[5:6]
	v_add_nc_u32_e32 v5, -4, v3
	v_lshlrev_b64 v[38:39], 3, v[5:6]
	s_delay_alu instid0(VALU_DEP_3) | instskip(SKIP_2) | instid1(VALU_DEP_4)
	v_add_co_u32 v35, s3, s10, v35
	v_add_nc_u32_e32 v5, -2, v3
	v_add_co_ci_u32_e64 v36, s3, s11, v36, s3
	v_add_co_u32 v38, s3, s8, v38
	s_delay_alu instid0(VALU_DEP_3)
	v_lshlrev_b64 v[42:43], 3, v[5:6]
	v_add_nc_u32_e32 v5, 4, v34
	global_load_b128 v[34:37], v[35:36], off
	v_add_co_ci_u32_e64 v39, s3, s9, v39, s3
	v_add_nc_u32_e32 v3, 0x300, v3
	v_add_co_u32 v42, s3, s8, v42
	global_load_b128 v[38:41], v[38:39], off
	v_add_co_ci_u32_e64 v43, s3, s9, v43, s3
	s_waitcnt vmcnt(2)
	v_fmac_f32_e32 v14, v25, v30
	v_fmac_f32_e32 v16, v22, v30
	s_delay_alu instid0(VALU_DEP_2) | instskip(NEXT) | instid1(VALU_DEP_1)
	v_fmac_f32_e32 v14, v24, v31
	v_fmac_f32_e32 v14, v21, v32
	s_delay_alu instid0(VALU_DEP_1) | instskip(SKIP_2) | instid1(VALU_DEP_2)
	v_fmac_f32_e32 v14, v20, v33
	v_lshlrev_b64 v[4:5], 3, v[5:6]
	s_waitcnt vmcnt(1)
	v_fmac_f32_e32 v14, v29, v34
	s_delay_alu instid0(VALU_DEP_2) | instskip(NEXT) | instid1(VALU_DEP_1)
	v_add_co_u32 v4, s3, s10, v4
	v_add_co_ci_u32_e64 v5, s3, s11, v5, s3
	global_load_b128 v[42:45], v[42:43], off
	global_load_b128 v[46:49], v[4:5], off
	;; [unrolled: 1-line block ×3, first 2 shown]
	v_fma_f32 v4, -v23, v31, v16
	v_dual_fmac_f32 v13, v23, v30 :: v_dual_fmac_f32 v14, v28, v35
	s_delay_alu instid0(VALU_DEP_2) | instskip(SKIP_1) | instid1(VALU_DEP_2)
	v_fmac_f32_e32 v4, v18, v32
	s_waitcnt vmcnt(3)
	v_dual_fmac_f32 v13, v22, v31 :: v_dual_fmac_f32 v14, v41, v36
	s_delay_alu instid0(VALU_DEP_2) | instskip(NEXT) | instid1(VALU_DEP_2)
	v_fma_f32 v4, -v19, v33, v4
	v_dual_fmac_f32 v13, v19, v32 :: v_dual_fmac_f32 v14, v40, v37
	s_delay_alu instid0(VALU_DEP_2) | instskip(NEXT) | instid1(VALU_DEP_2)
	v_fmac_f32_e32 v4, v26, v34
	v_fmac_f32_e32 v13, v18, v33
	s_delay_alu instid0(VALU_DEP_2) | instskip(NEXT) | instid1(VALU_DEP_1)
	v_fma_f32 v4, -v27, v35, v4
	v_dual_fmac_f32 v17, v24, v30 :: v_dual_fmac_f32 v4, v38, v36
	s_delay_alu instid0(VALU_DEP_1) | instskip(NEXT) | instid1(VALU_DEP_2)
	v_fma_f32 v5, -v25, v31, v17
	v_fma_f32 v4, -v39, v37, v4
	s_waitcnt vmcnt(1)
	s_delay_alu instid0(VALU_DEP_1) | instskip(NEXT) | instid1(VALU_DEP_1)
	v_dual_fmac_f32 v5, v20, v32 :: v_dual_fmac_f32 v4, v42, v46
	v_fma_f32 v5, -v21, v33, v5
	v_fmac_f32_e32 v14, v45, v46
	v_fmac_f32_e32 v13, v27, v34
	s_delay_alu instid0(VALU_DEP_4) | instskip(NEXT) | instid1(VALU_DEP_4)
	v_fma_f32 v4, -v43, v47, v4
	v_fmac_f32_e32 v5, v28, v34
	s_delay_alu instid0(VALU_DEP_4) | instskip(NEXT) | instid1(VALU_DEP_4)
	v_fmac_f32_e32 v14, v44, v47
	v_fmac_f32_e32 v13, v26, v35
	s_waitcnt vmcnt(0)
	v_fmac_f32_e32 v4, v50, v48
	v_fma_f32 v5, -v29, v35, v5
	v_fmac_f32_e32 v14, v53, v48
	v_fmac_f32_e32 v13, v39, v36
	s_delay_alu instid0(VALU_DEP_4) | instskip(NEXT) | instid1(VALU_DEP_4)
	v_fma_f32 v16, -v51, v49, v4
	v_fmac_f32_e32 v5, v40, v36
	s_delay_alu instid0(VALU_DEP_4) | instskip(NEXT) | instid1(VALU_DEP_4)
	v_fmac_f32_e32 v14, v52, v49
	v_fmac_f32_e32 v13, v38, v37
	s_delay_alu instid0(VALU_DEP_3) | instskip(NEXT) | instid1(VALU_DEP_2)
	v_fma_f32 v5, -v41, v37, v5
	v_fmac_f32_e32 v13, v43, v46
	s_delay_alu instid0(VALU_DEP_2) | instskip(NEXT) | instid1(VALU_DEP_2)
	v_fmac_f32_e32 v5, v44, v46
	v_fmac_f32_e32 v13, v42, v47
	s_delay_alu instid0(VALU_DEP_2) | instskip(NEXT) | instid1(VALU_DEP_2)
	v_fma_f32 v5, -v45, v47, v5
	v_fmac_f32_e32 v13, v51, v48
	s_delay_alu instid0(VALU_DEP_2) | instskip(NEXT) | instid1(VALU_DEP_2)
	v_fmac_f32_e32 v5, v52, v48
	v_fmac_f32_e32 v13, v50, v49
	s_delay_alu instid0(VALU_DEP_2)
	v_fma_f32 v17, -v53, v49, v5
	s_and_not1_b32 exec_lo, exec_lo, s13
	s_cbranch_execnz .LBB176_12
; %bb.13:
	s_or_b32 exec_lo, exec_lo, s13
.LBB176_14:
	s_delay_alu instid0(SALU_CYCLE_1) | instskip(NEXT) | instid1(SALU_CYCLE_1)
	s_or_b32 exec_lo, exec_lo, s5
	s_and_not1_b32 vcc_lo, exec_lo, s4
	s_cbranch_vccz .LBB176_19
	s_branch .LBB176_24
.LBB176_15:
	v_dual_mov_b32 v1, s4 :: v_dual_mov_b32 v2, s5
	flat_load_b32 v9, v[1:2]
	v_cndmask_b32_e64 v1, 0, 1, s6
	v_mov_b32_e32 v10, s5
	s_and_not1_b32 vcc_lo, exec_lo, s6
	s_cbranch_vccnz .LBB176_2
.LBB176_16:
	v_dual_mov_b32 v2, s4 :: v_dual_mov_b32 v3, s5
	flat_load_b32 v10, v[2:3] offset:4
	v_cmp_ne_u32_e32 vcc_lo, 1, v1
	v_mov_b32_e32 v11, s2
	s_cbranch_vccnz .LBB176_3
.LBB176_17:
	v_dual_mov_b32 v2, s2 :: v_dual_mov_b32 v3, s3
	flat_load_b32 v11, v[2:3]
	v_cmp_ne_u32_e32 vcc_lo, 1, v1
	v_mov_b32_e32 v12, s3
	s_cbranch_vccz .LBB176_4
	s_branch .LBB176_5
.LBB176_18:
                                        ; implicit-def: $vgpr13
                                        ; implicit-def: $vgpr16
                                        ; implicit-def: $vgpr17
                                        ; implicit-def: $vgpr14
.LBB176_19:
	v_dual_mov_b32 v13, 0 :: v_dual_mov_b32 v16, 0
	v_dual_mov_b32 v17, 0 :: v_dual_mov_b32 v14, 0
	s_delay_alu instid0(VALU_DEP_3)
	s_and_saveexec_b32 s3, s2
	s_cbranch_execz .LBB176_23
; %bb.20:
	v_mad_u64_u32 v[4:5], null, v2, 12, 11
	v_dual_mov_b32 v7, 0 :: v_dual_mov_b32 v16, 0
	v_dual_mov_b32 v13, 0 :: v_dual_mov_b32 v14, 0
	v_mov_b32_e32 v17, 0
	s_mov_b32 s2, 0
.LBB176_21:                             ; =>This Inner Loop Header: Depth=1
	v_ashrrev_i32_e32 v3, 31, v2
	v_dual_mov_b32 v19, v7 :: v_dual_add_nc_u32 v18, -5, v4
	v_mov_b32_e32 v35, v7
	s_delay_alu instid0(VALU_DEP_3) | instskip(SKIP_1) | instid1(VALU_DEP_4)
	v_lshlrev_b64 v[5:6], 2, v[2:3]
	v_add_nc_u32_e32 v2, 64, v2
	v_lshlrev_b64 v[18:19], 3, v[18:19]
	s_delay_alu instid0(VALU_DEP_3) | instskip(NEXT) | instid1(VALU_DEP_4)
	v_add_co_u32 v5, vcc_lo, s6, v5
	v_add_co_ci_u32_e32 v6, vcc_lo, s7, v6, vcc_lo
	global_load_b32 v3, v[5:6], off
	v_dual_mov_b32 v5, v7 :: v_dual_add_nc_u32 v6, -11, v4
	s_delay_alu instid0(VALU_DEP_1) | instskip(SKIP_1) | instid1(VALU_DEP_3)
	v_lshlrev_b64 v[20:21], 3, v[6:7]
	v_add_nc_u32_e32 v6, -4, v4
	v_lshlrev_b64 v[22:23], 3, v[4:5]
	s_delay_alu instid0(VALU_DEP_2) | instskip(NEXT) | instid1(VALU_DEP_4)
	v_lshlrev_b64 v[5:6], 3, v[6:7]
	v_add_co_u32 v24, vcc_lo, s8, v20
	v_add_co_ci_u32_e32 v25, vcc_lo, s9, v21, vcc_lo
	v_add_co_u32 v26, vcc_lo, s8, v18
	v_add_co_ci_u32_e32 v27, vcc_lo, s9, v19, vcc_lo
	;; [unrolled: 2-line block ×4, first 2 shown]
	s_clause 0x3
	global_load_b128 v[18:21], v[24:25], off offset:16
	global_load_b128 v[22:25], v[24:25], off
	global_load_b64 v[40:41], v[26:27], off
	global_load_b64 v[42:43], v[5:6], off
	s_waitcnt vmcnt(4)
	v_subrev_nc_u32_e32 v3, s12, v3
	s_delay_alu instid0(VALU_DEP_1) | instskip(NEXT) | instid1(VALU_DEP_1)
	v_mul_lo_u32 v34, v3, 6
	v_lshlrev_b64 v[26:27], 3, v[34:35]
	s_delay_alu instid0(VALU_DEP_1) | instskip(NEXT) | instid1(VALU_DEP_2)
	v_add_co_u32 v26, vcc_lo, s10, v26
	v_add_co_ci_u32_e32 v27, vcc_lo, s11, v27, vcc_lo
	global_load_b128 v[26:29], v[26:27], off
	v_add_nc_u32_e32 v6, 2, v34
	s_delay_alu instid0(VALU_DEP_1) | instskip(SKIP_1) | instid1(VALU_DEP_1)
	v_lshlrev_b64 v[30:31], 3, v[6:7]
	v_add_nc_u32_e32 v6, -3, v4
	v_lshlrev_b64 v[32:33], 3, v[6:7]
	s_delay_alu instid0(VALU_DEP_3) | instskip(NEXT) | instid1(VALU_DEP_4)
	v_add_co_u32 v30, vcc_lo, s10, v30
	v_add_co_ci_u32_e32 v31, vcc_lo, s11, v31, vcc_lo
	s_delay_alu instid0(VALU_DEP_3) | instskip(NEXT) | instid1(VALU_DEP_4)
	v_add_co_u32 v44, vcc_lo, s8, v32
	v_add_co_ci_u32_e32 v45, vcc_lo, s9, v33, vcc_lo
	global_load_b128 v[30:33], v[30:31], off
	v_add_nc_u32_e32 v6, -2, v4
	global_load_b64 v[44:45], v[44:45], off
	s_waitcnt vmcnt(2)
	v_fmac_f32_e32 v13, v23, v26
	v_fmac_f32_e32 v17, v40, v26
	v_lshlrev_b64 v[35:36], 3, v[6:7]
	s_delay_alu instid0(VALU_DEP_3) | instskip(SKIP_1) | instid1(VALU_DEP_4)
	v_fmac_f32_e32 v13, v22, v27
	v_fmac_f32_e32 v16, v22, v26
	v_fma_f32 v8, -v41, v27, v17
	s_delay_alu instid0(VALU_DEP_3) | instskip(SKIP_1) | instid1(VALU_DEP_4)
	v_fmac_f32_e32 v13, v25, v28
	v_add_nc_u32_e32 v6, -7, v4
	v_fma_f32 v3, -v23, v27, v16
	s_delay_alu instid0(VALU_DEP_3) | instskip(NEXT) | instid1(VALU_DEP_3)
	v_fmac_f32_e32 v13, v24, v29
	v_lshlrev_b64 v[46:47], 3, v[6:7]
	s_delay_alu instid0(VALU_DEP_3) | instskip(SKIP_2) | instid1(VALU_DEP_4)
	v_dual_fmac_f32 v3, v24, v28 :: v_dual_add_nc_u32 v6, 4, v34
	v_add_co_u32 v34, vcc_lo, s8, v35
	v_add_co_ci_u32_e32 v35, vcc_lo, s9, v36, vcc_lo
	v_add_co_u32 v46, vcc_lo, s8, v46
	s_delay_alu instid0(VALU_DEP_4)
	v_lshlrev_b64 v[36:37], 3, v[6:7]
	v_add_co_ci_u32_e32 v47, vcc_lo, s9, v47, vcc_lo
	v_fma_f32 v3, -v25, v29, v3
	s_waitcnt vmcnt(1)
	v_dual_fmac_f32 v13, v19, v30 :: v_dual_add_nc_u32 v6, -1, v4
	s_clause 0x1
	global_load_b64 v[46:47], v[46:47], off
	global_load_b64 v[48:49], v[34:35], off
	v_fmac_f32_e32 v3, v18, v30
	v_lshlrev_b64 v[34:35], 3, v[6:7]
	v_add_co_u32 v36, vcc_lo, s10, v36
	v_add_nc_u32_e32 v6, -6, v4
	v_add_co_ci_u32_e32 v37, vcc_lo, s11, v37, vcc_lo
	s_delay_alu instid0(VALU_DEP_4) | instskip(SKIP_1) | instid1(VALU_DEP_4)
	v_add_co_u32 v50, vcc_lo, s8, v34
	v_add_co_ci_u32_e32 v51, vcc_lo, s9, v35, vcc_lo
	v_lshlrev_b64 v[5:6], 3, v[6:7]
	global_load_b128 v[34:37], v[36:37], off
	global_load_b64 v[50:51], v[50:51], off
	v_dual_fmac_f32 v14, v41, v26 :: v_dual_fmac_f32 v13, v18, v31
	v_fma_f32 v3, -v19, v31, v3
	v_add_co_u32 v5, vcc_lo, s8, v5
	v_add_co_ci_u32_e32 v6, vcc_lo, s9, v6, vcc_lo
	s_clause 0x1
	global_load_b64 v[5:6], v[5:6], off
	global_load_b64 v[38:39], v[38:39], off
	v_dual_fmac_f32 v14, v40, v27 :: v_dual_fmac_f32 v13, v21, v32
	v_fmac_f32_e32 v3, v20, v32
	v_fmac_f32_e32 v8, v42, v28
	v_cmp_ge_i32_e32 vcc_lo, v2, v15
	s_delay_alu instid0(VALU_DEP_4) | instskip(NEXT) | instid1(VALU_DEP_4)
	v_dual_fmac_f32 v13, v20, v33 :: v_dual_add_nc_u32 v4, 0x300, v4
	v_fma_f32 v3, -v21, v33, v3
	v_fmac_f32_e32 v14, v43, v28
	v_fma_f32 v8, -v43, v29, v8
	s_or_b32 s2, vcc_lo, s2
	s_waitcnt vmcnt(3)
	v_fmac_f32_e32 v3, v46, v34
	v_dual_fmac_f32 v14, v42, v29 :: v_dual_fmac_f32 v13, v47, v34
	v_fmac_f32_e32 v8, v44, v30
	s_delay_alu instid0(VALU_DEP_3) | instskip(NEXT) | instid1(VALU_DEP_3)
	v_fma_f32 v3, -v47, v35, v3
	v_dual_fmac_f32 v13, v46, v35 :: v_dual_fmac_f32 v14, v45, v30
	s_delay_alu instid0(VALU_DEP_3) | instskip(SKIP_1) | instid1(VALU_DEP_3)
	v_fma_f32 v8, -v45, v31, v8
	s_waitcnt vmcnt(1)
	v_fmac_f32_e32 v3, v5, v36
	s_delay_alu instid0(VALU_DEP_3) | instskip(NEXT) | instid1(VALU_DEP_3)
	v_dual_fmac_f32 v13, v6, v36 :: v_dual_fmac_f32 v14, v44, v31
	v_fmac_f32_e32 v8, v48, v32
	s_delay_alu instid0(VALU_DEP_3) | instskip(NEXT) | instid1(VALU_DEP_3)
	v_fma_f32 v16, -v6, v37, v3
	v_fmac_f32_e32 v13, v5, v37
	s_delay_alu instid0(VALU_DEP_4) | instskip(NEXT) | instid1(VALU_DEP_4)
	v_fmac_f32_e32 v14, v49, v32
	v_fma_f32 v8, -v49, v33, v8
	s_delay_alu instid0(VALU_DEP_2) | instskip(NEXT) | instid1(VALU_DEP_2)
	v_fmac_f32_e32 v14, v48, v33
	v_fmac_f32_e32 v8, v50, v34
	s_delay_alu instid0(VALU_DEP_2) | instskip(NEXT) | instid1(VALU_DEP_2)
	v_fmac_f32_e32 v14, v51, v34
	v_fma_f32 v8, -v51, v35, v8
	s_delay_alu instid0(VALU_DEP_2) | instskip(SKIP_1) | instid1(VALU_DEP_2)
	v_fmac_f32_e32 v14, v50, v35
	s_waitcnt vmcnt(0)
	v_fmac_f32_e32 v8, v38, v36
	s_delay_alu instid0(VALU_DEP_2) | instskip(NEXT) | instid1(VALU_DEP_2)
	v_fmac_f32_e32 v14, v39, v36
	v_fma_f32 v17, -v39, v37, v8
	s_delay_alu instid0(VALU_DEP_2)
	v_fmac_f32_e32 v14, v38, v37
	s_and_not1_b32 exec_lo, exec_lo, s2
	s_cbranch_execnz .LBB176_21
; %bb.22:
	s_or_b32 exec_lo, exec_lo, s2
.LBB176_23:
	s_delay_alu instid0(SALU_CYCLE_1)
	s_or_b32 exec_lo, exec_lo, s3
.LBB176_24:
	v_mbcnt_lo_u32_b32 v2, -1, 0
	s_delay_alu instid0(VALU_DEP_1) | instskip(SKIP_2) | instid1(VALU_DEP_3)
	v_or_b32_e32 v3, 32, v2
	v_xor_b32_e32 v7, 16, v2
	v_xor_b32_e32 v15, 8, v2
	v_cmp_gt_i32_e32 vcc_lo, 32, v3
	v_cndmask_b32_e32 v3, v2, v3, vcc_lo
	s_delay_alu instid0(VALU_DEP_4) | instskip(NEXT) | instid1(VALU_DEP_2)
	v_cmp_gt_i32_e32 vcc_lo, 32, v7
	v_lshlrev_b32_e32 v3, 2, v3
	ds_bpermute_b32 v6, v3, v17
	s_waitcnt lgkmcnt(0)
	v_add_f32_e32 v6, v17, v6
	ds_bpermute_b32 v4, v3, v16
	ds_bpermute_b32 v5, v3, v13
	;; [unrolled: 1-line block ×3, first 2 shown]
	s_waitcnt lgkmcnt(2)
	v_dual_add_f32 v4, v16, v4 :: v_dual_cndmask_b32 v7, v2, v7
	s_waitcnt lgkmcnt(0)
	v_add_f32_e32 v3, v14, v3
	v_cmp_gt_i32_e32 vcc_lo, 32, v15
	s_delay_alu instid0(VALU_DEP_3)
	v_lshlrev_b32_e32 v7, 2, v7
	v_cndmask_b32_e32 v15, v2, v15, vcc_lo
	ds_bpermute_b32 v14, v7, v6
	s_waitcnt lgkmcnt(0)
	v_add_f32_e32 v6, v6, v14
	ds_bpermute_b32 v8, v7, v4
	s_waitcnt lgkmcnt(0)
	v_dual_add_f32 v4, v4, v8 :: v_dual_lshlrev_b32 v15, 2, v15
	v_add_f32_e32 v5, v13, v5
	ds_bpermute_b32 v13, v7, v5
	ds_bpermute_b32 v7, v7, v3
	s_waitcnt lgkmcnt(0)
	v_add_f32_e32 v3, v3, v7
	ds_bpermute_b32 v7, v15, v4
	s_waitcnt lgkmcnt(0)
	v_dual_add_f32 v4, v4, v7 :: v_dual_add_f32 v5, v5, v13
	ds_bpermute_b32 v13, v15, v6
	s_waitcnt lgkmcnt(0)
	v_add_f32_e32 v6, v6, v13
	ds_bpermute_b32 v8, v15, v5
	ds_bpermute_b32 v14, v15, v3
	v_xor_b32_e32 v15, 4, v2
	s_delay_alu instid0(VALU_DEP_1) | instskip(SKIP_1) | instid1(VALU_DEP_1)
	v_cmp_gt_i32_e32 vcc_lo, 32, v15
	v_cndmask_b32_e32 v15, v2, v15, vcc_lo
	v_lshlrev_b32_e32 v15, 2, v15
	ds_bpermute_b32 v7, v15, v4
	ds_bpermute_b32 v13, v15, v6
	s_waitcnt lgkmcnt(1)
	v_dual_add_f32 v4, v4, v7 :: v_dual_add_f32 v5, v5, v8
	s_waitcnt lgkmcnt(0)
	v_dual_add_f32 v6, v6, v13 :: v_dual_add_f32 v3, v3, v14
	ds_bpermute_b32 v8, v15, v5
	ds_bpermute_b32 v14, v15, v3
	v_xor_b32_e32 v15, 2, v2
	s_delay_alu instid0(VALU_DEP_1) | instskip(SKIP_1) | instid1(VALU_DEP_1)
	v_cmp_gt_i32_e32 vcc_lo, 32, v15
	v_cndmask_b32_e32 v15, v2, v15, vcc_lo
	v_lshlrev_b32_e32 v15, 2, v15
	s_waitcnt lgkmcnt(1)
	v_add_f32_e32 v5, v5, v8
	ds_bpermute_b32 v7, v15, v4
	ds_bpermute_b32 v13, v15, v6
	;; [unrolled: 1-line block ×3, first 2 shown]
	s_waitcnt lgkmcnt(2)
	v_dual_add_f32 v4, v4, v7 :: v_dual_add_f32 v3, v3, v14
	s_waitcnt lgkmcnt(0)
	v_add_f32_e32 v5, v5, v8
	ds_bpermute_b32 v14, v15, v3
	v_xor_b32_e32 v15, 1, v2
	s_delay_alu instid0(VALU_DEP_1) | instskip(SKIP_2) | instid1(VALU_DEP_2)
	v_cmp_gt_i32_e32 vcc_lo, 32, v15
	v_cndmask_b32_e32 v2, v2, v15, vcc_lo
	v_cmp_eq_u32_e32 vcc_lo, 63, v0
	v_dual_add_f32 v2, v6, v13 :: v_dual_lshlrev_b32 v15, 2, v2
	s_waitcnt lgkmcnt(0)
	v_add_f32_e32 v3, v3, v14
	ds_bpermute_b32 v8, v15, v4
	ds_bpermute_b32 v13, v15, v5
	;; [unrolled: 1-line block ×4, first 2 shown]
	s_and_b32 exec_lo, exec_lo, vcc_lo
	s_cbranch_execz .LBB176_29
; %bb.25:
	s_load_b64 s[2:3], s[0:1], 0x38
	v_cmp_eq_f32_e32 vcc_lo, 0, v11
	v_cmp_eq_f32_e64 s0, 0, v12
	s_waitcnt lgkmcnt(0)
	v_dual_add_f32 v0, v4, v8 :: v_dual_add_f32 v3, v3, v7
	v_add_f32_e32 v4, v5, v13
	v_add_f32_e32 v2, v2, v6
	s_and_b32 s0, vcc_lo, s0
	s_delay_alu instid0(SALU_CYCLE_1) | instskip(NEXT) | instid1(SALU_CYCLE_1)
	s_and_saveexec_b32 s1, s0
	s_xor_b32 s0, exec_lo, s1
	s_cbranch_execz .LBB176_27
; %bb.26:
	v_mul_f32_e64 v5, v4, -v10
	v_mul_f32_e32 v6, v4, v9
	v_mul_f32_e64 v7, v3, -v10
	v_mul_f32_e32 v8, v3, v9
                                        ; implicit-def: $vgpr4
                                        ; implicit-def: $vgpr3
	s_delay_alu instid0(VALU_DEP_4) | instskip(NEXT) | instid1(VALU_DEP_4)
	v_fmac_f32_e32 v5, v9, v0
	v_dual_fmac_f32 v6, v10, v0 :: v_dual_lshlrev_b32 v11, 1, v1
	s_delay_alu instid0(VALU_DEP_4) | instskip(NEXT) | instid1(VALU_DEP_4)
	v_fmac_f32_e32 v7, v9, v2
	v_fmac_f32_e32 v8, v10, v2
                                        ; implicit-def: $vgpr9
                                        ; implicit-def: $vgpr10
                                        ; implicit-def: $vgpr2
	s_delay_alu instid0(VALU_DEP_3) | instskip(NEXT) | instid1(VALU_DEP_1)
	v_ashrrev_i32_e32 v12, 31, v11
	v_lshlrev_b64 v[11:12], 3, v[11:12]
	s_delay_alu instid0(VALU_DEP_1) | instskip(NEXT) | instid1(VALU_DEP_2)
	v_add_co_u32 v0, vcc_lo, s2, v11
	v_add_co_ci_u32_e32 v1, vcc_lo, s3, v12, vcc_lo
                                        ; implicit-def: $vgpr11
                                        ; implicit-def: $vgpr12
	global_store_b128 v[0:1], v[5:8], off
                                        ; implicit-def: $vgpr1
                                        ; implicit-def: $vgpr0
.LBB176_27:
	s_and_not1_saveexec_b32 s0, s0
	s_cbranch_execz .LBB176_29
; %bb.28:
	v_lshlrev_b32_e32 v5, 1, v1
	v_mul_f32_e64 v15, v4, -v10
	v_mul_f32_e32 v1, v4, v9
	v_mul_f32_e64 v4, v3, -v10
	v_mul_f32_e32 v3, v3, v9
	s_delay_alu instid0(VALU_DEP_4) | instskip(NEXT) | instid1(VALU_DEP_3)
	v_fmac_f32_e32 v15, v9, v0
	v_fmac_f32_e32 v4, v9, v2
	v_ashrrev_i32_e32 v6, 31, v5
	s_delay_alu instid0(VALU_DEP_4) | instskip(NEXT) | instid1(VALU_DEP_2)
	v_fmac_f32_e32 v3, v10, v2
	v_lshlrev_b64 v[5:6], 3, v[5:6]
	s_delay_alu instid0(VALU_DEP_1) | instskip(NEXT) | instid1(VALU_DEP_2)
	v_add_co_u32 v13, vcc_lo, s2, v5
	v_add_co_ci_u32_e32 v14, vcc_lo, s3, v6, vcc_lo
	global_load_b128 v[5:8], v[13:14], off
	s_waitcnt vmcnt(0)
	v_dual_fmac_f32 v4, v11, v7 :: v_dual_fmac_f32 v1, v10, v0
	v_fmac_f32_e32 v15, v11, v5
	v_fmac_f32_e32 v3, v12, v7
	s_delay_alu instid0(VALU_DEP_3) | instskip(NEXT) | instid1(VALU_DEP_4)
	v_fma_f32 v2, -v12, v8, v4
	v_fmac_f32_e32 v1, v12, v5
	s_delay_alu instid0(VALU_DEP_4) | instskip(NEXT) | instid1(VALU_DEP_4)
	v_fma_f32 v0, -v12, v6, v15
	v_fmac_f32_e32 v3, v11, v8
	s_delay_alu instid0(VALU_DEP_3)
	v_fmac_f32_e32 v1, v11, v6
	global_store_b128 v[13:14], v[0:3], off
.LBB176_29:
	s_nop 0
	s_sendmsg sendmsg(MSG_DEALLOC_VGPRS)
	s_endpgm
	.section	.rodata,"a",@progbits
	.p2align	6, 0x0
	.amdhsa_kernel _ZN9rocsparseL19gebsrmvn_2xn_kernelILj128ELj6ELj64E21rocsparse_complex_numIfEEEvi20rocsparse_direction_NS_24const_host_device_scalarIT2_EEPKiS8_PKS5_SA_S6_PS5_21rocsparse_index_base_b
		.amdhsa_group_segment_fixed_size 0
		.amdhsa_private_segment_fixed_size 0
		.amdhsa_kernarg_size 72
		.amdhsa_user_sgpr_count 15
		.amdhsa_user_sgpr_dispatch_ptr 0
		.amdhsa_user_sgpr_queue_ptr 0
		.amdhsa_user_sgpr_kernarg_segment_ptr 1
		.amdhsa_user_sgpr_dispatch_id 0
		.amdhsa_user_sgpr_private_segment_size 0
		.amdhsa_wavefront_size32 1
		.amdhsa_uses_dynamic_stack 0
		.amdhsa_enable_private_segment 0
		.amdhsa_system_sgpr_workgroup_id_x 1
		.amdhsa_system_sgpr_workgroup_id_y 0
		.amdhsa_system_sgpr_workgroup_id_z 0
		.amdhsa_system_sgpr_workgroup_info 0
		.amdhsa_system_vgpr_workitem_id 0
		.amdhsa_next_free_vgpr 54
		.amdhsa_next_free_sgpr 16
		.amdhsa_reserve_vcc 1
		.amdhsa_float_round_mode_32 0
		.amdhsa_float_round_mode_16_64 0
		.amdhsa_float_denorm_mode_32 3
		.amdhsa_float_denorm_mode_16_64 3
		.amdhsa_dx10_clamp 1
		.amdhsa_ieee_mode 1
		.amdhsa_fp16_overflow 0
		.amdhsa_workgroup_processor_mode 1
		.amdhsa_memory_ordered 1
		.amdhsa_forward_progress 0
		.amdhsa_shared_vgpr_count 0
		.amdhsa_exception_fp_ieee_invalid_op 0
		.amdhsa_exception_fp_denorm_src 0
		.amdhsa_exception_fp_ieee_div_zero 0
		.amdhsa_exception_fp_ieee_overflow 0
		.amdhsa_exception_fp_ieee_underflow 0
		.amdhsa_exception_fp_ieee_inexact 0
		.amdhsa_exception_int_div_zero 0
	.end_amdhsa_kernel
	.section	.text._ZN9rocsparseL19gebsrmvn_2xn_kernelILj128ELj6ELj64E21rocsparse_complex_numIfEEEvi20rocsparse_direction_NS_24const_host_device_scalarIT2_EEPKiS8_PKS5_SA_S6_PS5_21rocsparse_index_base_b,"axG",@progbits,_ZN9rocsparseL19gebsrmvn_2xn_kernelILj128ELj6ELj64E21rocsparse_complex_numIfEEEvi20rocsparse_direction_NS_24const_host_device_scalarIT2_EEPKiS8_PKS5_SA_S6_PS5_21rocsparse_index_base_b,comdat
.Lfunc_end176:
	.size	_ZN9rocsparseL19gebsrmvn_2xn_kernelILj128ELj6ELj64E21rocsparse_complex_numIfEEEvi20rocsparse_direction_NS_24const_host_device_scalarIT2_EEPKiS8_PKS5_SA_S6_PS5_21rocsparse_index_base_b, .Lfunc_end176-_ZN9rocsparseL19gebsrmvn_2xn_kernelILj128ELj6ELj64E21rocsparse_complex_numIfEEEvi20rocsparse_direction_NS_24const_host_device_scalarIT2_EEPKiS8_PKS5_SA_S6_PS5_21rocsparse_index_base_b
                                        ; -- End function
	.section	.AMDGPU.csdata,"",@progbits
; Kernel info:
; codeLenInByte = 2964
; NumSgprs: 18
; NumVgprs: 54
; ScratchSize: 0
; MemoryBound: 0
; FloatMode: 240
; IeeeMode: 1
; LDSByteSize: 0 bytes/workgroup (compile time only)
; SGPRBlocks: 2
; VGPRBlocks: 6
; NumSGPRsForWavesPerEU: 18
; NumVGPRsForWavesPerEU: 54
; Occupancy: 16
; WaveLimiterHint : 1
; COMPUTE_PGM_RSRC2:SCRATCH_EN: 0
; COMPUTE_PGM_RSRC2:USER_SGPR: 15
; COMPUTE_PGM_RSRC2:TRAP_HANDLER: 0
; COMPUTE_PGM_RSRC2:TGID_X_EN: 1
; COMPUTE_PGM_RSRC2:TGID_Y_EN: 0
; COMPUTE_PGM_RSRC2:TGID_Z_EN: 0
; COMPUTE_PGM_RSRC2:TIDIG_COMP_CNT: 0
	.section	.text._ZN9rocsparseL19gebsrmvn_2xn_kernelILj128ELj7ELj4E21rocsparse_complex_numIfEEEvi20rocsparse_direction_NS_24const_host_device_scalarIT2_EEPKiS8_PKS5_SA_S6_PS5_21rocsparse_index_base_b,"axG",@progbits,_ZN9rocsparseL19gebsrmvn_2xn_kernelILj128ELj7ELj4E21rocsparse_complex_numIfEEEvi20rocsparse_direction_NS_24const_host_device_scalarIT2_EEPKiS8_PKS5_SA_S6_PS5_21rocsparse_index_base_b,comdat
	.globl	_ZN9rocsparseL19gebsrmvn_2xn_kernelILj128ELj7ELj4E21rocsparse_complex_numIfEEEvi20rocsparse_direction_NS_24const_host_device_scalarIT2_EEPKiS8_PKS5_SA_S6_PS5_21rocsparse_index_base_b ; -- Begin function _ZN9rocsparseL19gebsrmvn_2xn_kernelILj128ELj7ELj4E21rocsparse_complex_numIfEEEvi20rocsparse_direction_NS_24const_host_device_scalarIT2_EEPKiS8_PKS5_SA_S6_PS5_21rocsparse_index_base_b
	.p2align	8
	.type	_ZN9rocsparseL19gebsrmvn_2xn_kernelILj128ELj7ELj4E21rocsparse_complex_numIfEEEvi20rocsparse_direction_NS_24const_host_device_scalarIT2_EEPKiS8_PKS5_SA_S6_PS5_21rocsparse_index_base_b,@function
_ZN9rocsparseL19gebsrmvn_2xn_kernelILj128ELj7ELj4E21rocsparse_complex_numIfEEEvi20rocsparse_direction_NS_24const_host_device_scalarIT2_EEPKiS8_PKS5_SA_S6_PS5_21rocsparse_index_base_b: ; @_ZN9rocsparseL19gebsrmvn_2xn_kernelILj128ELj7ELj4E21rocsparse_complex_numIfEEEvi20rocsparse_direction_NS_24const_host_device_scalarIT2_EEPKiS8_PKS5_SA_S6_PS5_21rocsparse_index_base_b
; %bb.0:
	s_clause 0x2
	s_load_b64 s[12:13], s[0:1], 0x40
	s_load_b64 s[4:5], s[0:1], 0x8
	;; [unrolled: 1-line block ×3, first 2 shown]
	s_waitcnt lgkmcnt(0)
	s_bitcmp1_b32 s13, 0
	v_mov_b32_e32 v9, s4
	s_cselect_b32 s6, -1, 0
	s_delay_alu instid0(SALU_CYCLE_1)
	s_and_b32 vcc_lo, exec_lo, s6
	s_xor_b32 s6, s6, -1
	s_cbranch_vccz .LBB177_15
; %bb.1:
	v_cndmask_b32_e64 v1, 0, 1, s6
	v_mov_b32_e32 v10, s5
	s_and_not1_b32 vcc_lo, exec_lo, s6
	s_cbranch_vccz .LBB177_16
.LBB177_2:
	s_delay_alu instid0(VALU_DEP_2)
	v_cmp_ne_u32_e32 vcc_lo, 1, v1
	v_mov_b32_e32 v11, s2
	s_cbranch_vccz .LBB177_17
.LBB177_3:
	v_cmp_ne_u32_e32 vcc_lo, 1, v1
	v_mov_b32_e32 v12, s3
	s_cbranch_vccnz .LBB177_5
.LBB177_4:
	v_dual_mov_b32 v1, s2 :: v_dual_mov_b32 v2, s3
	flat_load_b32 v12, v[1:2] offset:4
.LBB177_5:
	s_waitcnt vmcnt(0) lgkmcnt(0)
	v_cmp_eq_f32_e32 vcc_lo, 0, v9
	v_cmp_eq_f32_e64 s2, 0, v10
	s_delay_alu instid0(VALU_DEP_1)
	s_and_b32 s4, vcc_lo, s2
	s_mov_b32 s2, -1
	s_and_saveexec_b32 s3, s4
; %bb.6:
	v_cmp_neq_f32_e32 vcc_lo, 1.0, v11
	v_cmp_neq_f32_e64 s2, 0, v12
	s_delay_alu instid0(VALU_DEP_1) | instskip(NEXT) | instid1(SALU_CYCLE_1)
	s_or_b32 s2, vcc_lo, s2
	s_or_not1_b32 s2, s2, exec_lo
; %bb.7:
	s_or_b32 exec_lo, exec_lo, s3
	s_and_saveexec_b32 s3, s2
	s_cbranch_execz .LBB177_29
; %bb.8:
	s_load_b64 s[2:3], s[0:1], 0x0
	v_lshrrev_b32_e32 v1, 2, v0
	s_delay_alu instid0(VALU_DEP_1) | instskip(SKIP_1) | instid1(VALU_DEP_1)
	v_lshl_or_b32 v1, s15, 5, v1
	s_waitcnt lgkmcnt(0)
	v_cmp_gt_i32_e32 vcc_lo, s2, v1
	s_and_b32 exec_lo, exec_lo, vcc_lo
	s_cbranch_execz .LBB177_29
; %bb.9:
	s_load_b256 s[4:11], s[0:1], 0x10
	v_ashrrev_i32_e32 v2, 31, v1
	v_and_b32_e32 v0, 3, v0
	s_cmp_lg_u32 s3, 0
	s_delay_alu instid0(VALU_DEP_2) | instskip(SKIP_1) | instid1(VALU_DEP_1)
	v_lshlrev_b64 v[2:3], 2, v[1:2]
	s_waitcnt lgkmcnt(0)
	v_add_co_u32 v2, vcc_lo, s4, v2
	s_delay_alu instid0(VALU_DEP_2) | instskip(SKIP_4) | instid1(VALU_DEP_2)
	v_add_co_ci_u32_e32 v3, vcc_lo, s5, v3, vcc_lo
	global_load_b64 v[2:3], v[2:3], off
	s_waitcnt vmcnt(0)
	v_subrev_nc_u32_e32 v2, s12, v2
	v_subrev_nc_u32_e32 v15, s12, v3
	v_add_nc_u32_e32 v2, v2, v0
	s_delay_alu instid0(VALU_DEP_1)
	v_cmp_lt_i32_e64 s2, v2, v15
	s_cbranch_scc0 .LBB177_18
; %bb.10:
	v_dual_mov_b32 v13, 0 :: v_dual_mov_b32 v16, 0
	v_dual_mov_b32 v17, 0 :: v_dual_mov_b32 v14, 0
	s_mov_b32 s3, 0
	s_and_saveexec_b32 s4, s2
	s_cbranch_execz .LBB177_14
; %bb.11:
	v_mad_u64_u32 v[3:4], null, v2, 14, 12
	v_dual_mov_b32 v6, 0 :: v_dual_mov_b32 v7, v2
	v_dual_mov_b32 v13, 0 :: v_dual_mov_b32 v16, 0
	v_dual_mov_b32 v17, 0 :: v_dual_mov_b32 v14, 0
	s_mov_b32 s5, 0
.LBB177_12:                             ; =>This Inner Loop Header: Depth=1
	s_delay_alu instid0(VALU_DEP_3) | instskip(NEXT) | instid1(VALU_DEP_1)
	v_ashrrev_i32_e32 v8, 31, v7
	v_lshlrev_b64 v[4:5], 2, v[7:8]
	v_add_nc_u32_e32 v7, 4, v7
	s_delay_alu instid0(VALU_DEP_2) | instskip(NEXT) | instid1(VALU_DEP_3)
	v_add_co_u32 v4, vcc_lo, s6, v4
	v_add_co_ci_u32_e32 v5, vcc_lo, s7, v5, vcc_lo
	global_load_b32 v8, v[4:5], off
	v_dual_mov_b32 v4, v6 :: v_dual_add_nc_u32 v5, -12, v3
	s_delay_alu instid0(VALU_DEP_1) | instskip(SKIP_1) | instid1(VALU_DEP_3)
	v_lshlrev_b64 v[18:19], 3, v[5:6]
	v_add_nc_u32_e32 v5, -10, v3
	v_lshlrev_b64 v[20:21], 3, v[3:4]
	s_delay_alu instid0(VALU_DEP_2) | instskip(NEXT) | instid1(VALU_DEP_4)
	v_lshlrev_b64 v[4:5], 3, v[5:6]
	v_add_co_u32 v18, vcc_lo, s8, v18
	v_add_co_ci_u32_e32 v19, vcc_lo, s9, v19, vcc_lo
	s_delay_alu instid0(VALU_DEP_4)
	v_add_co_u32 v42, vcc_lo, s8, v20
	v_add_co_ci_u32_e32 v43, vcc_lo, s9, v21, vcc_lo
	v_add_co_u32 v4, vcc_lo, s8, v4
	v_add_co_ci_u32_e32 v5, vcc_lo, s9, v5, vcc_lo
	s_clause 0x1
	global_load_b128 v[18:21], v[18:19], off
	global_load_b128 v[22:25], v[4:5], off
	v_mov_b32_e32 v39, v6
	s_waitcnt vmcnt(2)
	v_subrev_nc_u32_e32 v4, s12, v8
	s_delay_alu instid0(VALU_DEP_1) | instskip(NEXT) | instid1(VALU_DEP_1)
	v_mul_lo_u32 v38, v4, 7
	v_lshlrev_b64 v[26:27], 3, v[38:39]
	s_delay_alu instid0(VALU_DEP_1) | instskip(NEXT) | instid1(VALU_DEP_2)
	v_add_co_u32 v26, vcc_lo, s10, v26
	v_add_co_ci_u32_e32 v27, vcc_lo, s11, v27, vcc_lo
	global_load_b64 v[46:47], v[26:27], off
	v_add_nc_u32_e32 v5, 1, v38
	s_delay_alu instid0(VALU_DEP_1) | instskip(NEXT) | instid1(VALU_DEP_1)
	v_lshlrev_b64 v[28:29], 3, v[5:6]
	v_add_co_u32 v28, vcc_lo, s10, v28
	s_delay_alu instid0(VALU_DEP_2)
	v_add_co_ci_u32_e32 v29, vcc_lo, s11, v29, vcc_lo
	global_load_b64 v[48:49], v[28:29], off
	s_waitcnt vmcnt(1)
	v_fmac_f32_e32 v16, v18, v46
	v_fmac_f32_e32 v17, v20, v46
	v_fmac_f32_e32 v14, v21, v46
	s_delay_alu instid0(VALU_DEP_3) | instskip(SKIP_1) | instid1(VALU_DEP_4)
	v_fma_f32 v8, -v19, v47, v16
	v_add_nc_u32_e32 v5, -8, v3
	v_fma_f32 v16, -v21, v47, v17
	s_delay_alu instid0(VALU_DEP_4)
	v_fmac_f32_e32 v14, v20, v47
	s_waitcnt vmcnt(0)
	v_fmac_f32_e32 v8, v22, v48
	v_lshlrev_b64 v[30:31], 3, v[5:6]
	v_dual_fmac_f32 v16, v24, v48 :: v_dual_add_nc_u32 v5, 2, v38
	v_fmac_f32_e32 v14, v25, v48
	s_delay_alu instid0(VALU_DEP_4) | instskip(NEXT) | instid1(VALU_DEP_3)
	v_fma_f32 v8, -v23, v49, v8
	v_lshlrev_b64 v[26:27], 3, v[5:6]
	v_add_co_u32 v28, vcc_lo, s8, v30
	v_add_co_ci_u32_e32 v29, vcc_lo, s9, v31, vcc_lo
	v_add_nc_u32_e32 v5, -6, v3
	s_delay_alu instid0(VALU_DEP_4) | instskip(SKIP_1) | instid1(VALU_DEP_3)
	v_add_co_u32 v32, vcc_lo, s10, v26
	v_add_co_ci_u32_e32 v33, vcc_lo, s11, v27, vcc_lo
	v_lshlrev_b64 v[30:31], 3, v[5:6]
	v_dual_fmac_f32 v14, v24, v49 :: v_dual_add_nc_u32 v5, 3, v38
	global_load_b128 v[26:29], v[28:29], off
	global_load_b64 v[50:51], v[32:33], off
	v_fma_f32 v16, -v25, v49, v16
	v_lshlrev_b64 v[34:35], 3, v[5:6]
	v_add_co_u32 v30, vcc_lo, s8, v30
	v_add_co_ci_u32_e32 v31, vcc_lo, s9, v31, vcc_lo
	s_delay_alu instid0(VALU_DEP_3) | instskip(NEXT) | instid1(VALU_DEP_4)
	v_add_co_u32 v34, vcc_lo, s10, v34
	v_add_co_ci_u32_e32 v35, vcc_lo, s11, v35, vcc_lo
	global_load_b64 v[52:53], v[34:35], off
	global_load_b128 v[30:33], v[30:31], off
	s_waitcnt vmcnt(2)
	v_dual_fmac_f32 v8, v26, v50 :: v_dual_add_nc_u32 v5, -4, v3
	s_delay_alu instid0(VALU_DEP_1) | instskip(SKIP_4) | instid1(VALU_DEP_4)
	v_lshlrev_b64 v[36:37], 3, v[5:6]
	v_fmac_f32_e32 v14, v29, v50
	v_add_nc_u32_e32 v5, 4, v38
	v_fmac_f32_e32 v16, v28, v50
	v_fma_f32 v8, -v27, v51, v8
	v_fmac_f32_e32 v14, v28, v51
	s_delay_alu instid0(VALU_DEP_4) | instskip(SKIP_3) | instid1(VALU_DEP_3)
	v_lshlrev_b64 v[39:40], 3, v[5:6]
	v_add_nc_u32_e32 v5, -2, v3
	v_add_co_u32 v34, vcc_lo, s8, v36
	v_add_co_ci_u32_e32 v35, vcc_lo, s9, v37, vcc_lo
	v_lshlrev_b64 v[44:45], 3, v[5:6]
	s_waitcnt vmcnt(0)
	v_dual_fmac_f32 v8, v30, v52 :: v_dual_add_nc_u32 v5, 5, v38
	v_add_co_u32 v39, vcc_lo, s10, v39
	v_add_co_ci_u32_e32 v40, vcc_lo, s11, v40, vcc_lo
	s_delay_alu instid0(VALU_DEP_3)
	v_lshlrev_b64 v[54:55], 3, v[5:6]
	global_load_b128 v[34:37], v[34:35], off
	v_fma_f32 v16, -v29, v51, v16
	global_load_b64 v[56:57], v[39:40], off
	v_add_nc_u32_e32 v5, 6, v38
	v_add_co_u32 v38, vcc_lo, s8, v44
	v_fmac_f32_e32 v16, v32, v52
	v_add_co_ci_u32_e32 v39, vcc_lo, s9, v45, vcc_lo
	v_add_co_u32 v44, vcc_lo, s10, v54
	v_add_co_ci_u32_e32 v45, vcc_lo, s11, v55, vcc_lo
	global_load_b128 v[38:41], v[38:39], off
	global_load_b64 v[54:55], v[44:45], off
	v_lshlrev_b64 v[4:5], 3, v[5:6]
	v_dual_fmac_f32 v13, v19, v46 :: v_dual_fmac_f32 v14, v33, v52
	v_fma_f32 v16, -v33, v53, v16
	v_fma_f32 v8, -v31, v53, v8
	v_add_nc_u32_e32 v3, 56, v3
	v_add_co_u32 v4, vcc_lo, s10, v4
	v_add_co_ci_u32_e32 v5, vcc_lo, s11, v5, vcc_lo
	global_load_b128 v[42:45], v[42:43], off
	global_load_b64 v[4:5], v[4:5], off
	v_dual_fmac_f32 v13, v18, v47 :: v_dual_fmac_f32 v14, v32, v53
	v_cmp_ge_i32_e32 vcc_lo, v7, v15
	s_or_b32 s5, vcc_lo, s5
	s_waitcnt vmcnt(4)
	s_delay_alu instid0(VALU_DEP_2) | instskip(SKIP_3) | instid1(VALU_DEP_4)
	v_fmac_f32_e32 v14, v37, v56
	v_fmac_f32_e32 v13, v23, v48
	;; [unrolled: 1-line block ×5, first 2 shown]
	s_delay_alu instid0(VALU_DEP_4) | instskip(NEXT) | instid1(VALU_DEP_4)
	v_fmac_f32_e32 v13, v22, v49
	v_fma_f32 v16, -v37, v57, v16
	s_delay_alu instid0(VALU_DEP_4) | instskip(SKIP_3) | instid1(VALU_DEP_3)
	v_fma_f32 v8, -v35, v57, v8
	s_waitcnt vmcnt(2)
	v_fmac_f32_e32 v14, v41, v54
	v_fmac_f32_e32 v13, v27, v50
	;; [unrolled: 1-line block ×4, first 2 shown]
	s_delay_alu instid0(VALU_DEP_4) | instskip(NEXT) | instid1(VALU_DEP_4)
	v_fmac_f32_e32 v14, v40, v55
	v_fmac_f32_e32 v13, v26, v51
	s_delay_alu instid0(VALU_DEP_4) | instskip(NEXT) | instid1(VALU_DEP_4)
	v_fma_f32 v8, -v39, v55, v8
	v_fma_f32 v17, -v41, v55, v16
	s_delay_alu instid0(VALU_DEP_3) | instskip(SKIP_2) | instid1(VALU_DEP_3)
	v_fmac_f32_e32 v13, v31, v52
	s_waitcnt vmcnt(0)
	v_fmac_f32_e32 v14, v45, v4
	v_fmac_f32_e32 v17, v44, v4
	v_fmac_f32_e32 v8, v42, v4
	v_fmac_f32_e32 v13, v30, v53
	s_delay_alu instid0(VALU_DEP_4) | instskip(NEXT) | instid1(VALU_DEP_4)
	v_fmac_f32_e32 v14, v44, v5
	v_fma_f32 v17, -v45, v5, v17
	s_delay_alu instid0(VALU_DEP_4) | instskip(NEXT) | instid1(VALU_DEP_4)
	v_fma_f32 v16, -v43, v5, v8
	v_fmac_f32_e32 v13, v35, v56
	s_delay_alu instid0(VALU_DEP_1) | instskip(NEXT) | instid1(VALU_DEP_1)
	v_fmac_f32_e32 v13, v34, v57
	v_fmac_f32_e32 v13, v39, v54
	s_delay_alu instid0(VALU_DEP_1) | instskip(NEXT) | instid1(VALU_DEP_1)
	v_fmac_f32_e32 v13, v38, v55
	v_fmac_f32_e32 v13, v43, v4
	s_delay_alu instid0(VALU_DEP_1)
	v_fmac_f32_e32 v13, v42, v5
	s_and_not1_b32 exec_lo, exec_lo, s5
	s_cbranch_execnz .LBB177_12
; %bb.13:
	s_or_b32 exec_lo, exec_lo, s5
.LBB177_14:
	s_delay_alu instid0(SALU_CYCLE_1) | instskip(NEXT) | instid1(SALU_CYCLE_1)
	s_or_b32 exec_lo, exec_lo, s4
	s_and_not1_b32 vcc_lo, exec_lo, s3
	s_cbranch_vccz .LBB177_19
	s_branch .LBB177_24
.LBB177_15:
	v_dual_mov_b32 v1, s4 :: v_dual_mov_b32 v2, s5
	flat_load_b32 v9, v[1:2]
	v_cndmask_b32_e64 v1, 0, 1, s6
	v_mov_b32_e32 v10, s5
	s_and_not1_b32 vcc_lo, exec_lo, s6
	s_cbranch_vccnz .LBB177_2
.LBB177_16:
	v_dual_mov_b32 v2, s4 :: v_dual_mov_b32 v3, s5
	flat_load_b32 v10, v[2:3] offset:4
	v_cmp_ne_u32_e32 vcc_lo, 1, v1
	v_mov_b32_e32 v11, s2
	s_cbranch_vccnz .LBB177_3
.LBB177_17:
	v_dual_mov_b32 v2, s2 :: v_dual_mov_b32 v3, s3
	flat_load_b32 v11, v[2:3]
	v_cmp_ne_u32_e32 vcc_lo, 1, v1
	v_mov_b32_e32 v12, s3
	s_cbranch_vccz .LBB177_4
	s_branch .LBB177_5
.LBB177_18:
                                        ; implicit-def: $vgpr13
                                        ; implicit-def: $vgpr16
                                        ; implicit-def: $vgpr17
                                        ; implicit-def: $vgpr14
.LBB177_19:
	v_dual_mov_b32 v13, 0 :: v_dual_mov_b32 v16, 0
	v_dual_mov_b32 v17, 0 :: v_dual_mov_b32 v14, 0
	s_delay_alu instid0(VALU_DEP_3)
	s_and_saveexec_b32 s3, s2
	s_cbranch_execz .LBB177_23
; %bb.20:
	v_mad_u64_u32 v[4:5], null, v2, 14, 13
	v_dual_mov_b32 v7, 0 :: v_dual_mov_b32 v16, 0
	v_dual_mov_b32 v13, 0 :: v_dual_mov_b32 v14, 0
	v_mov_b32_e32 v17, 0
	s_mov_b32 s2, 0
.LBB177_21:                             ; =>This Inner Loop Header: Depth=1
	v_ashrrev_i32_e32 v3, 31, v2
	v_dual_mov_b32 v19, v7 :: v_dual_add_nc_u32 v18, -6, v4
	v_mov_b32_e32 v23, v7
	s_delay_alu instid0(VALU_DEP_3) | instskip(SKIP_1) | instid1(VALU_DEP_4)
	v_lshlrev_b64 v[5:6], 2, v[2:3]
	v_add_nc_u32_e32 v2, 4, v2
	v_lshlrev_b64 v[18:19], 3, v[18:19]
	s_delay_alu instid0(VALU_DEP_3) | instskip(NEXT) | instid1(VALU_DEP_4)
	v_add_co_u32 v5, vcc_lo, s6, v5
	v_add_co_ci_u32_e32 v6, vcc_lo, s7, v6, vcc_lo
	global_load_b32 v3, v[5:6], off
	v_add_nc_u32_e32 v6, -13, v4
	s_delay_alu instid0(VALU_DEP_1) | instskip(NEXT) | instid1(VALU_DEP_1)
	v_lshlrev_b64 v[20:21], 3, v[6:7]
	v_add_co_u32 v20, vcc_lo, s8, v20
	s_delay_alu instid0(VALU_DEP_2) | instskip(SKIP_4) | instid1(VALU_DEP_1)
	v_add_co_ci_u32_e32 v21, vcc_lo, s9, v21, vcc_lo
	v_add_co_u32 v24, vcc_lo, s8, v18
	v_add_co_ci_u32_e32 v25, vcc_lo, s9, v19, vcc_lo
	s_waitcnt vmcnt(0)
	v_subrev_nc_u32_e32 v3, s12, v3
	v_mul_lo_u32 v22, v3, 7
	v_mov_b32_e32 v5, v7
	s_delay_alu instid0(VALU_DEP_1) | instskip(NEXT) | instid1(VALU_DEP_3)
	v_lshlrev_b64 v[5:6], 3, v[4:5]
	v_lshlrev_b64 v[28:29], 3, v[22:23]
	s_delay_alu instid0(VALU_DEP_2) | instskip(NEXT) | instid1(VALU_DEP_3)
	v_add_co_u32 v5, vcc_lo, s8, v5
	v_add_co_ci_u32_e32 v6, vcc_lo, s9, v6, vcc_lo
	s_delay_alu instid0(VALU_DEP_3) | instskip(NEXT) | instid1(VALU_DEP_4)
	v_add_co_u32 v28, vcc_lo, s10, v28
	v_add_co_ci_u32_e32 v29, vcc_lo, s11, v29, vcc_lo
	s_clause 0x2
	global_load_b128 v[18:21], v[20:21], off
	global_load_b64 v[24:25], v[24:25], off
	global_load_b64 v[26:27], v[5:6], off
	v_add_nc_u32_e32 v6, 1, v22
	global_load_b64 v[28:29], v[28:29], off
	v_lshlrev_b64 v[30:31], 3, v[6:7]
	s_delay_alu instid0(VALU_DEP_1) | instskip(NEXT) | instid1(VALU_DEP_2)
	v_add_co_u32 v30, vcc_lo, s10, v30
	v_add_co_ci_u32_e32 v31, vcc_lo, s11, v31, vcc_lo
	global_load_b64 v[30:31], v[30:31], off
	s_waitcnt vmcnt(1)
	v_fmac_f32_e32 v14, v25, v28
	v_fmac_f32_e32 v16, v18, v28
	;; [unrolled: 1-line block ×4, first 2 shown]
	s_delay_alu instid0(VALU_DEP_4) | instskip(NEXT) | instid1(VALU_DEP_3)
	v_fmac_f32_e32 v14, v24, v29
	v_dual_fmac_f32 v13, v18, v29 :: v_dual_add_nc_u32 v6, -5, v4
	v_fma_f32 v3, -v19, v29, v16
	s_delay_alu instid0(VALU_DEP_4) | instskip(NEXT) | instid1(VALU_DEP_3)
	v_fma_f32 v8, -v25, v29, v17
	v_lshlrev_b64 v[32:33], 3, v[6:7]
	s_waitcnt vmcnt(0)
	s_delay_alu instid0(VALU_DEP_3) | instskip(NEXT) | instid1(VALU_DEP_1)
	v_dual_fmac_f32 v3, v20, v30 :: v_dual_add_nc_u32 v6, -11, v4
	v_lshlrev_b64 v[34:35], 3, v[6:7]
	v_add_nc_u32_e32 v6, 2, v22
	s_delay_alu instid0(VALU_DEP_4) | instskip(SKIP_1) | instid1(VALU_DEP_3)
	v_add_co_u32 v32, vcc_lo, s8, v32
	v_add_co_ci_u32_e32 v33, vcc_lo, s9, v33, vcc_lo
	v_lshlrev_b64 v[36:37], 3, v[6:7]
	v_add_co_u32 v34, vcc_lo, s8, v34
	v_add_co_ci_u32_e32 v35, vcc_lo, s9, v35, vcc_lo
	global_load_b64 v[32:33], v[32:33], off
	v_add_co_u32 v36, vcc_lo, s10, v36
	global_load_b64 v[34:35], v[34:35], off
	v_add_co_ci_u32_e32 v37, vcc_lo, s11, v37, vcc_lo
	v_dual_fmac_f32 v13, v21, v30 :: v_dual_add_nc_u32 v6, -4, v4
	v_fma_f32 v3, -v21, v31, v3
	global_load_b64 v[36:37], v[36:37], off
	v_lshlrev_b64 v[38:39], 3, v[6:7]
	v_dual_fmac_f32 v13, v20, v31 :: v_dual_add_nc_u32 v6, -10, v4
	s_delay_alu instid0(VALU_DEP_1) | instskip(SKIP_1) | instid1(VALU_DEP_4)
	v_lshlrev_b64 v[40:41], 3, v[6:7]
	v_add_nc_u32_e32 v6, 3, v22
	v_add_co_u32 v38, vcc_lo, s8, v38
	v_add_co_ci_u32_e32 v39, vcc_lo, s9, v39, vcc_lo
	s_delay_alu instid0(VALU_DEP_4)
	v_add_co_u32 v40, vcc_lo, s8, v40
	v_add_co_ci_u32_e32 v41, vcc_lo, s9, v41, vcc_lo
	s_clause 0x1
	global_load_b64 v[38:39], v[38:39], off
	global_load_b64 v[40:41], v[40:41], off
	s_waitcnt vmcnt(2)
	v_dual_fmac_f32 v8, v32, v30 :: v_dual_fmac_f32 v13, v35, v36
	v_fmac_f32_e32 v3, v34, v36
	v_lshlrev_b64 v[42:43], 3, v[6:7]
	v_add_nc_u32_e32 v6, -3, v4
	s_delay_alu instid0(VALU_DEP_4)
	v_fma_f32 v8, -v33, v31, v8
	v_fmac_f32_e32 v13, v34, v37
	v_fma_f32 v3, -v35, v37, v3
	v_add_co_u32 v42, vcc_lo, s10, v42
	v_add_co_ci_u32_e32 v43, vcc_lo, s11, v43, vcc_lo
	v_lshlrev_b64 v[44:45], 3, v[6:7]
	global_load_b64 v[42:43], v[42:43], off
	v_add_nc_u32_e32 v6, -9, v4
	v_add_co_u32 v44, vcc_lo, s8, v44
	v_add_co_ci_u32_e32 v45, vcc_lo, s9, v45, vcc_lo
	s_waitcnt vmcnt(2)
	v_fmac_f32_e32 v8, v38, v36
	global_load_b64 v[44:45], v[44:45], off
	v_fma_f32 v8, -v39, v37, v8
	s_waitcnt vmcnt(1)
	v_fmac_f32_e32 v3, v40, v42
	v_lshlrev_b64 v[46:47], 3, v[6:7]
	v_fmac_f32_e32 v13, v41, v42
	v_add_nc_u32_e32 v6, 4, v22
	s_delay_alu instid0(VALU_DEP_4) | instskip(NEXT) | instid1(VALU_DEP_3)
	v_fma_f32 v3, -v41, v43, v3
	v_fmac_f32_e32 v13, v40, v43
	s_delay_alu instid0(VALU_DEP_3) | instskip(SKIP_2) | instid1(VALU_DEP_3)
	v_lshlrev_b64 v[48:49], 3, v[6:7]
	v_add_co_u32 v46, vcc_lo, s8, v46
	v_add_co_ci_u32_e32 v47, vcc_lo, s9, v47, vcc_lo
	v_add_co_u32 v48, vcc_lo, s10, v48
	s_delay_alu instid0(VALU_DEP_4)
	v_add_co_ci_u32_e32 v49, vcc_lo, s11, v49, vcc_lo
	global_load_b64 v[46:47], v[46:47], off
	s_waitcnt vmcnt(1)
	v_fmac_f32_e32 v8, v44, v42
	global_load_b64 v[48:49], v[48:49], off
	v_fmac_f32_e32 v14, v33, v30
	v_fma_f32 v8, -v45, v43, v8
	s_waitcnt vmcnt(0)
	s_delay_alu instid0(VALU_DEP_2) | instskip(SKIP_2) | instid1(VALU_DEP_3)
	v_dual_fmac_f32 v3, v46, v48 :: v_dual_fmac_f32 v14, v32, v31
	v_fmac_f32_e32 v13, v47, v48
	v_add_nc_u32_e32 v6, -2, v4
	v_fma_f32 v3, -v47, v49, v3
	s_delay_alu instid0(VALU_DEP_3) | instskip(NEXT) | instid1(VALU_DEP_3)
	v_dual_fmac_f32 v14, v39, v36 :: v_dual_fmac_f32 v13, v46, v49
	v_lshlrev_b64 v[50:51], 3, v[6:7]
	v_add_nc_u32_e32 v6, -8, v4
	s_delay_alu instid0(VALU_DEP_3) | instskip(NEXT) | instid1(VALU_DEP_2)
	v_fmac_f32_e32 v14, v38, v37
	v_lshlrev_b64 v[52:53], 3, v[6:7]
	s_delay_alu instid0(VALU_DEP_4) | instskip(SKIP_1) | instid1(VALU_DEP_4)
	v_add_co_u32 v50, vcc_lo, s8, v50
	v_add_co_ci_u32_e32 v51, vcc_lo, s9, v51, vcc_lo
	v_fmac_f32_e32 v14, v45, v42
	s_delay_alu instid0(VALU_DEP_4)
	v_add_co_u32 v52, vcc_lo, s8, v52
	v_add_co_ci_u32_e32 v53, vcc_lo, s9, v53, vcc_lo
	global_load_b64 v[50:51], v[50:51], off
	v_fmac_f32_e32 v14, v44, v43
	global_load_b64 v[52:53], v[52:53], off
	v_add_nc_u32_e32 v6, 5, v22
	s_delay_alu instid0(VALU_DEP_1) | instskip(NEXT) | instid1(VALU_DEP_1)
	v_lshlrev_b64 v[54:55], 3, v[6:7]
	v_add_co_u32 v54, vcc_lo, s10, v54
	s_delay_alu instid0(VALU_DEP_2)
	v_add_co_ci_u32_e32 v55, vcc_lo, s11, v55, vcc_lo
	global_load_b64 v[54:55], v[54:55], off
	v_add_nc_u32_e32 v6, -1, v4
	s_waitcnt vmcnt(2)
	v_fmac_f32_e32 v8, v50, v48
	v_fmac_f32_e32 v14, v51, v48
	s_delay_alu instid0(VALU_DEP_2) | instskip(SKIP_1) | instid1(VALU_DEP_2)
	v_fma_f32 v8, -v51, v49, v8
	s_waitcnt vmcnt(0)
	v_dual_fmac_f32 v14, v50, v49 :: v_dual_fmac_f32 v13, v53, v54
	v_fmac_f32_e32 v3, v52, v54
	v_lshlrev_b64 v[56:57], 3, v[6:7]
	s_delay_alu instid0(VALU_DEP_3) | instskip(NEXT) | instid1(VALU_DEP_3)
	v_fmac_f32_e32 v13, v52, v55
	v_fma_f32 v3, -v53, v55, v3
	v_add_nc_u32_e32 v6, -7, v4
	v_add_nc_u32_e32 v4, 56, v4
	s_delay_alu instid0(VALU_DEP_2) | instskip(SKIP_3) | instid1(VALU_DEP_3)
	v_lshlrev_b64 v[58:59], 3, v[6:7]
	v_add_nc_u32_e32 v6, 6, v22
	v_add_co_u32 v22, vcc_lo, s8, v56
	v_add_co_ci_u32_e32 v23, vcc_lo, s9, v57, vcc_lo
	v_lshlrev_b64 v[5:6], 3, v[6:7]
	v_add_co_u32 v56, vcc_lo, s8, v58
	global_load_b64 v[22:23], v[22:23], off
	v_add_co_ci_u32_e32 v57, vcc_lo, s9, v59, vcc_lo
	v_add_co_u32 v5, vcc_lo, s10, v5
	v_add_co_ci_u32_e32 v6, vcc_lo, s11, v6, vcc_lo
	global_load_b64 v[56:57], v[56:57], off
	global_load_b64 v[5:6], v[5:6], off
	v_cmp_ge_i32_e32 vcc_lo, v2, v15
	s_or_b32 s2, vcc_lo, s2
	s_waitcnt vmcnt(2)
	v_fmac_f32_e32 v8, v22, v54
	v_fmac_f32_e32 v14, v23, v54
	s_delay_alu instid0(VALU_DEP_2) | instskip(SKIP_1) | instid1(VALU_DEP_2)
	v_fma_f32 v8, -v23, v55, v8
	s_waitcnt vmcnt(0)
	v_dual_fmac_f32 v14, v22, v55 :: v_dual_fmac_f32 v13, v57, v5
	v_fmac_f32_e32 v3, v56, v5
	s_delay_alu instid0(VALU_DEP_3) | instskip(NEXT) | instid1(VALU_DEP_3)
	v_fmac_f32_e32 v8, v26, v5
	v_dual_fmac_f32 v14, v27, v5 :: v_dual_fmac_f32 v13, v56, v6
	s_delay_alu instid0(VALU_DEP_3) | instskip(NEXT) | instid1(VALU_DEP_3)
	v_fma_f32 v16, -v57, v6, v3
	v_fma_f32 v17, -v27, v6, v8
	s_delay_alu instid0(VALU_DEP_3)
	v_fmac_f32_e32 v14, v26, v6
	s_and_not1_b32 exec_lo, exec_lo, s2
	s_cbranch_execnz .LBB177_21
; %bb.22:
	s_or_b32 exec_lo, exec_lo, s2
.LBB177_23:
	s_delay_alu instid0(SALU_CYCLE_1)
	s_or_b32 exec_lo, exec_lo, s3
.LBB177_24:
	v_mbcnt_lo_u32_b32 v2, -1, 0
	s_delay_alu instid0(VALU_DEP_1) | instskip(SKIP_1) | instid1(VALU_DEP_2)
	v_xor_b32_e32 v3, 2, v2
	v_xor_b32_e32 v7, 1, v2
	v_cmp_gt_i32_e32 vcc_lo, 32, v3
	v_cndmask_b32_e32 v3, v2, v3, vcc_lo
	s_delay_alu instid0(VALU_DEP_3) | instskip(NEXT) | instid1(VALU_DEP_2)
	v_cmp_gt_i32_e32 vcc_lo, 32, v7
	v_lshlrev_b32_e32 v3, 2, v3
	v_cndmask_b32_e32 v2, v2, v7, vcc_lo
	v_cmp_eq_u32_e32 vcc_lo, 3, v0
	ds_bpermute_b32 v6, v3, v17
	v_lshlrev_b32_e32 v7, 2, v2
	s_waitcnt lgkmcnt(0)
	v_add_f32_e32 v2, v17, v6
	ds_bpermute_b32 v4, v3, v16
	ds_bpermute_b32 v5, v3, v13
	;; [unrolled: 1-line block ×4, first 2 shown]
	s_waitcnt lgkmcnt(2)
	v_dual_add_f32 v4, v16, v4 :: v_dual_add_f32 v5, v13, v5
	s_waitcnt lgkmcnt(1)
	v_add_f32_e32 v3, v14, v3
	ds_bpermute_b32 v8, v7, v4
	ds_bpermute_b32 v13, v7, v5
	;; [unrolled: 1-line block ×3, first 2 shown]
	s_and_b32 exec_lo, exec_lo, vcc_lo
	s_cbranch_execz .LBB177_29
; %bb.25:
	s_load_b64 s[2:3], s[0:1], 0x38
	v_cmp_eq_f32_e32 vcc_lo, 0, v11
	v_cmp_eq_f32_e64 s0, 0, v12
	s_waitcnt lgkmcnt(0)
	v_dual_add_f32 v0, v4, v8 :: v_dual_add_f32 v3, v3, v7
	v_add_f32_e32 v4, v5, v13
	v_add_f32_e32 v2, v2, v6
	s_and_b32 s0, vcc_lo, s0
	s_delay_alu instid0(SALU_CYCLE_1) | instskip(NEXT) | instid1(SALU_CYCLE_1)
	s_and_saveexec_b32 s1, s0
	s_xor_b32 s0, exec_lo, s1
	s_cbranch_execz .LBB177_27
; %bb.26:
	v_mul_f32_e64 v5, v4, -v10
	v_mul_f32_e32 v6, v4, v9
	v_mul_f32_e64 v7, v3, -v10
	v_mul_f32_e32 v8, v3, v9
                                        ; implicit-def: $vgpr4
                                        ; implicit-def: $vgpr3
	s_delay_alu instid0(VALU_DEP_4) | instskip(NEXT) | instid1(VALU_DEP_4)
	v_fmac_f32_e32 v5, v9, v0
	v_dual_fmac_f32 v6, v10, v0 :: v_dual_lshlrev_b32 v11, 1, v1
	s_delay_alu instid0(VALU_DEP_4) | instskip(NEXT) | instid1(VALU_DEP_4)
	v_fmac_f32_e32 v7, v9, v2
	v_fmac_f32_e32 v8, v10, v2
                                        ; implicit-def: $vgpr9
                                        ; implicit-def: $vgpr10
                                        ; implicit-def: $vgpr2
	s_delay_alu instid0(VALU_DEP_3) | instskip(NEXT) | instid1(VALU_DEP_1)
	v_ashrrev_i32_e32 v12, 31, v11
	v_lshlrev_b64 v[11:12], 3, v[11:12]
	s_delay_alu instid0(VALU_DEP_1) | instskip(NEXT) | instid1(VALU_DEP_2)
	v_add_co_u32 v0, vcc_lo, s2, v11
	v_add_co_ci_u32_e32 v1, vcc_lo, s3, v12, vcc_lo
                                        ; implicit-def: $vgpr11
                                        ; implicit-def: $vgpr12
	global_store_b128 v[0:1], v[5:8], off
                                        ; implicit-def: $vgpr1
                                        ; implicit-def: $vgpr0
.LBB177_27:
	s_and_not1_saveexec_b32 s0, s0
	s_cbranch_execz .LBB177_29
; %bb.28:
	v_lshlrev_b32_e32 v5, 1, v1
	v_mul_f32_e64 v15, v4, -v10
	v_mul_f32_e32 v1, v4, v9
	v_mul_f32_e64 v4, v3, -v10
	v_mul_f32_e32 v3, v3, v9
	s_delay_alu instid0(VALU_DEP_4) | instskip(NEXT) | instid1(VALU_DEP_3)
	v_fmac_f32_e32 v15, v9, v0
	v_fmac_f32_e32 v4, v9, v2
	v_ashrrev_i32_e32 v6, 31, v5
	s_delay_alu instid0(VALU_DEP_4) | instskip(NEXT) | instid1(VALU_DEP_2)
	v_fmac_f32_e32 v3, v10, v2
	v_lshlrev_b64 v[5:6], 3, v[5:6]
	s_delay_alu instid0(VALU_DEP_1) | instskip(NEXT) | instid1(VALU_DEP_2)
	v_add_co_u32 v13, vcc_lo, s2, v5
	v_add_co_ci_u32_e32 v14, vcc_lo, s3, v6, vcc_lo
	global_load_b128 v[5:8], v[13:14], off
	s_waitcnt vmcnt(0)
	v_dual_fmac_f32 v4, v11, v7 :: v_dual_fmac_f32 v1, v10, v0
	v_fmac_f32_e32 v15, v11, v5
	v_fmac_f32_e32 v3, v12, v7
	s_delay_alu instid0(VALU_DEP_3) | instskip(NEXT) | instid1(VALU_DEP_4)
	v_fma_f32 v2, -v12, v8, v4
	v_fmac_f32_e32 v1, v12, v5
	s_delay_alu instid0(VALU_DEP_4) | instskip(NEXT) | instid1(VALU_DEP_4)
	v_fma_f32 v0, -v12, v6, v15
	v_fmac_f32_e32 v3, v11, v8
	s_delay_alu instid0(VALU_DEP_3)
	v_fmac_f32_e32 v1, v11, v6
	global_store_b128 v[13:14], v[0:3], off
.LBB177_29:
	s_nop 0
	s_sendmsg sendmsg(MSG_DEALLOC_VGPRS)
	s_endpgm
	.section	.rodata,"a",@progbits
	.p2align	6, 0x0
	.amdhsa_kernel _ZN9rocsparseL19gebsrmvn_2xn_kernelILj128ELj7ELj4E21rocsparse_complex_numIfEEEvi20rocsparse_direction_NS_24const_host_device_scalarIT2_EEPKiS8_PKS5_SA_S6_PS5_21rocsparse_index_base_b
		.amdhsa_group_segment_fixed_size 0
		.amdhsa_private_segment_fixed_size 0
		.amdhsa_kernarg_size 72
		.amdhsa_user_sgpr_count 15
		.amdhsa_user_sgpr_dispatch_ptr 0
		.amdhsa_user_sgpr_queue_ptr 0
		.amdhsa_user_sgpr_kernarg_segment_ptr 1
		.amdhsa_user_sgpr_dispatch_id 0
		.amdhsa_user_sgpr_private_segment_size 0
		.amdhsa_wavefront_size32 1
		.amdhsa_uses_dynamic_stack 0
		.amdhsa_enable_private_segment 0
		.amdhsa_system_sgpr_workgroup_id_x 1
		.amdhsa_system_sgpr_workgroup_id_y 0
		.amdhsa_system_sgpr_workgroup_id_z 0
		.amdhsa_system_sgpr_workgroup_info 0
		.amdhsa_system_vgpr_workitem_id 0
		.amdhsa_next_free_vgpr 60
		.amdhsa_next_free_sgpr 16
		.amdhsa_reserve_vcc 1
		.amdhsa_float_round_mode_32 0
		.amdhsa_float_round_mode_16_64 0
		.amdhsa_float_denorm_mode_32 3
		.amdhsa_float_denorm_mode_16_64 3
		.amdhsa_dx10_clamp 1
		.amdhsa_ieee_mode 1
		.amdhsa_fp16_overflow 0
		.amdhsa_workgroup_processor_mode 1
		.amdhsa_memory_ordered 1
		.amdhsa_forward_progress 0
		.amdhsa_shared_vgpr_count 0
		.amdhsa_exception_fp_ieee_invalid_op 0
		.amdhsa_exception_fp_denorm_src 0
		.amdhsa_exception_fp_ieee_div_zero 0
		.amdhsa_exception_fp_ieee_overflow 0
		.amdhsa_exception_fp_ieee_underflow 0
		.amdhsa_exception_fp_ieee_inexact 0
		.amdhsa_exception_int_div_zero 0
	.end_amdhsa_kernel
	.section	.text._ZN9rocsparseL19gebsrmvn_2xn_kernelILj128ELj7ELj4E21rocsparse_complex_numIfEEEvi20rocsparse_direction_NS_24const_host_device_scalarIT2_EEPKiS8_PKS5_SA_S6_PS5_21rocsparse_index_base_b,"axG",@progbits,_ZN9rocsparseL19gebsrmvn_2xn_kernelILj128ELj7ELj4E21rocsparse_complex_numIfEEEvi20rocsparse_direction_NS_24const_host_device_scalarIT2_EEPKiS8_PKS5_SA_S6_PS5_21rocsparse_index_base_b,comdat
.Lfunc_end177:
	.size	_ZN9rocsparseL19gebsrmvn_2xn_kernelILj128ELj7ELj4E21rocsparse_complex_numIfEEEvi20rocsparse_direction_NS_24const_host_device_scalarIT2_EEPKiS8_PKS5_SA_S6_PS5_21rocsparse_index_base_b, .Lfunc_end177-_ZN9rocsparseL19gebsrmvn_2xn_kernelILj128ELj7ELj4E21rocsparse_complex_numIfEEEvi20rocsparse_direction_NS_24const_host_device_scalarIT2_EEPKiS8_PKS5_SA_S6_PS5_21rocsparse_index_base_b
                                        ; -- End function
	.section	.AMDGPU.csdata,"",@progbits
; Kernel info:
; codeLenInByte = 3176
; NumSgprs: 18
; NumVgprs: 60
; ScratchSize: 0
; MemoryBound: 0
; FloatMode: 240
; IeeeMode: 1
; LDSByteSize: 0 bytes/workgroup (compile time only)
; SGPRBlocks: 2
; VGPRBlocks: 7
; NumSGPRsForWavesPerEU: 18
; NumVGPRsForWavesPerEU: 60
; Occupancy: 16
; WaveLimiterHint : 1
; COMPUTE_PGM_RSRC2:SCRATCH_EN: 0
; COMPUTE_PGM_RSRC2:USER_SGPR: 15
; COMPUTE_PGM_RSRC2:TRAP_HANDLER: 0
; COMPUTE_PGM_RSRC2:TGID_X_EN: 1
; COMPUTE_PGM_RSRC2:TGID_Y_EN: 0
; COMPUTE_PGM_RSRC2:TGID_Z_EN: 0
; COMPUTE_PGM_RSRC2:TIDIG_COMP_CNT: 0
	.section	.text._ZN9rocsparseL19gebsrmvn_2xn_kernelILj128ELj7ELj8E21rocsparse_complex_numIfEEEvi20rocsparse_direction_NS_24const_host_device_scalarIT2_EEPKiS8_PKS5_SA_S6_PS5_21rocsparse_index_base_b,"axG",@progbits,_ZN9rocsparseL19gebsrmvn_2xn_kernelILj128ELj7ELj8E21rocsparse_complex_numIfEEEvi20rocsparse_direction_NS_24const_host_device_scalarIT2_EEPKiS8_PKS5_SA_S6_PS5_21rocsparse_index_base_b,comdat
	.globl	_ZN9rocsparseL19gebsrmvn_2xn_kernelILj128ELj7ELj8E21rocsparse_complex_numIfEEEvi20rocsparse_direction_NS_24const_host_device_scalarIT2_EEPKiS8_PKS5_SA_S6_PS5_21rocsparse_index_base_b ; -- Begin function _ZN9rocsparseL19gebsrmvn_2xn_kernelILj128ELj7ELj8E21rocsparse_complex_numIfEEEvi20rocsparse_direction_NS_24const_host_device_scalarIT2_EEPKiS8_PKS5_SA_S6_PS5_21rocsparse_index_base_b
	.p2align	8
	.type	_ZN9rocsparseL19gebsrmvn_2xn_kernelILj128ELj7ELj8E21rocsparse_complex_numIfEEEvi20rocsparse_direction_NS_24const_host_device_scalarIT2_EEPKiS8_PKS5_SA_S6_PS5_21rocsparse_index_base_b,@function
_ZN9rocsparseL19gebsrmvn_2xn_kernelILj128ELj7ELj8E21rocsparse_complex_numIfEEEvi20rocsparse_direction_NS_24const_host_device_scalarIT2_EEPKiS8_PKS5_SA_S6_PS5_21rocsparse_index_base_b: ; @_ZN9rocsparseL19gebsrmvn_2xn_kernelILj128ELj7ELj8E21rocsparse_complex_numIfEEEvi20rocsparse_direction_NS_24const_host_device_scalarIT2_EEPKiS8_PKS5_SA_S6_PS5_21rocsparse_index_base_b
; %bb.0:
	s_clause 0x2
	s_load_b64 s[12:13], s[0:1], 0x40
	s_load_b64 s[4:5], s[0:1], 0x8
	;; [unrolled: 1-line block ×3, first 2 shown]
	s_waitcnt lgkmcnt(0)
	s_bitcmp1_b32 s13, 0
	v_mov_b32_e32 v9, s4
	s_cselect_b32 s6, -1, 0
	s_delay_alu instid0(SALU_CYCLE_1)
	s_and_b32 vcc_lo, exec_lo, s6
	s_xor_b32 s6, s6, -1
	s_cbranch_vccz .LBB178_15
; %bb.1:
	v_cndmask_b32_e64 v1, 0, 1, s6
	v_mov_b32_e32 v10, s5
	s_and_not1_b32 vcc_lo, exec_lo, s6
	s_cbranch_vccz .LBB178_16
.LBB178_2:
	s_delay_alu instid0(VALU_DEP_2)
	v_cmp_ne_u32_e32 vcc_lo, 1, v1
	v_mov_b32_e32 v11, s2
	s_cbranch_vccz .LBB178_17
.LBB178_3:
	v_cmp_ne_u32_e32 vcc_lo, 1, v1
	v_mov_b32_e32 v12, s3
	s_cbranch_vccnz .LBB178_5
.LBB178_4:
	v_dual_mov_b32 v1, s2 :: v_dual_mov_b32 v2, s3
	flat_load_b32 v12, v[1:2] offset:4
.LBB178_5:
	s_waitcnt vmcnt(0) lgkmcnt(0)
	v_cmp_eq_f32_e32 vcc_lo, 0, v9
	v_cmp_eq_f32_e64 s2, 0, v10
	s_delay_alu instid0(VALU_DEP_1)
	s_and_b32 s4, vcc_lo, s2
	s_mov_b32 s2, -1
	s_and_saveexec_b32 s3, s4
; %bb.6:
	v_cmp_neq_f32_e32 vcc_lo, 1.0, v11
	v_cmp_neq_f32_e64 s2, 0, v12
	s_delay_alu instid0(VALU_DEP_1) | instskip(NEXT) | instid1(SALU_CYCLE_1)
	s_or_b32 s2, vcc_lo, s2
	s_or_not1_b32 s2, s2, exec_lo
; %bb.7:
	s_or_b32 exec_lo, exec_lo, s3
	s_and_saveexec_b32 s3, s2
	s_cbranch_execz .LBB178_29
; %bb.8:
	s_load_b64 s[2:3], s[0:1], 0x0
	v_lshrrev_b32_e32 v1, 3, v0
	s_delay_alu instid0(VALU_DEP_1) | instskip(SKIP_1) | instid1(VALU_DEP_1)
	v_lshl_or_b32 v1, s15, 4, v1
	s_waitcnt lgkmcnt(0)
	v_cmp_gt_i32_e32 vcc_lo, s2, v1
	s_and_b32 exec_lo, exec_lo, vcc_lo
	s_cbranch_execz .LBB178_29
; %bb.9:
	s_load_b256 s[4:11], s[0:1], 0x10
	v_ashrrev_i32_e32 v2, 31, v1
	v_and_b32_e32 v0, 7, v0
	s_cmp_lg_u32 s3, 0
	s_delay_alu instid0(VALU_DEP_2) | instskip(SKIP_1) | instid1(VALU_DEP_1)
	v_lshlrev_b64 v[2:3], 2, v[1:2]
	s_waitcnt lgkmcnt(0)
	v_add_co_u32 v2, vcc_lo, s4, v2
	s_delay_alu instid0(VALU_DEP_2) | instskip(SKIP_4) | instid1(VALU_DEP_2)
	v_add_co_ci_u32_e32 v3, vcc_lo, s5, v3, vcc_lo
	global_load_b64 v[2:3], v[2:3], off
	s_waitcnt vmcnt(0)
	v_subrev_nc_u32_e32 v2, s12, v2
	v_subrev_nc_u32_e32 v15, s12, v3
	v_add_nc_u32_e32 v2, v2, v0
	s_delay_alu instid0(VALU_DEP_1)
	v_cmp_lt_i32_e64 s2, v2, v15
	s_cbranch_scc0 .LBB178_18
; %bb.10:
	v_dual_mov_b32 v13, 0 :: v_dual_mov_b32 v16, 0
	v_dual_mov_b32 v17, 0 :: v_dual_mov_b32 v14, 0
	s_mov_b32 s3, 0
	s_and_saveexec_b32 s4, s2
	s_cbranch_execz .LBB178_14
; %bb.11:
	v_mad_u64_u32 v[3:4], null, v2, 14, 12
	v_dual_mov_b32 v6, 0 :: v_dual_mov_b32 v7, v2
	v_dual_mov_b32 v13, 0 :: v_dual_mov_b32 v16, 0
	;; [unrolled: 1-line block ×3, first 2 shown]
	s_mov_b32 s5, 0
.LBB178_12:                             ; =>This Inner Loop Header: Depth=1
	s_delay_alu instid0(VALU_DEP_3) | instskip(NEXT) | instid1(VALU_DEP_1)
	v_ashrrev_i32_e32 v8, 31, v7
	v_lshlrev_b64 v[4:5], 2, v[7:8]
	v_add_nc_u32_e32 v7, 8, v7
	s_delay_alu instid0(VALU_DEP_2) | instskip(NEXT) | instid1(VALU_DEP_3)
	v_add_co_u32 v4, vcc_lo, s6, v4
	v_add_co_ci_u32_e32 v5, vcc_lo, s7, v5, vcc_lo
	global_load_b32 v8, v[4:5], off
	v_dual_mov_b32 v4, v6 :: v_dual_add_nc_u32 v5, -12, v3
	s_delay_alu instid0(VALU_DEP_1) | instskip(SKIP_1) | instid1(VALU_DEP_3)
	v_lshlrev_b64 v[18:19], 3, v[5:6]
	v_add_nc_u32_e32 v5, -10, v3
	v_lshlrev_b64 v[20:21], 3, v[3:4]
	s_delay_alu instid0(VALU_DEP_2) | instskip(NEXT) | instid1(VALU_DEP_4)
	v_lshlrev_b64 v[4:5], 3, v[5:6]
	v_add_co_u32 v18, vcc_lo, s8, v18
	v_add_co_ci_u32_e32 v19, vcc_lo, s9, v19, vcc_lo
	s_delay_alu instid0(VALU_DEP_4)
	v_add_co_u32 v42, vcc_lo, s8, v20
	v_add_co_ci_u32_e32 v43, vcc_lo, s9, v21, vcc_lo
	v_add_co_u32 v4, vcc_lo, s8, v4
	v_add_co_ci_u32_e32 v5, vcc_lo, s9, v5, vcc_lo
	s_clause 0x1
	global_load_b128 v[18:21], v[18:19], off
	global_load_b128 v[22:25], v[4:5], off
	v_mov_b32_e32 v39, v6
	s_waitcnt vmcnt(2)
	v_subrev_nc_u32_e32 v4, s12, v8
	s_delay_alu instid0(VALU_DEP_1) | instskip(NEXT) | instid1(VALU_DEP_1)
	v_mul_lo_u32 v38, v4, 7
	v_lshlrev_b64 v[26:27], 3, v[38:39]
	s_delay_alu instid0(VALU_DEP_1) | instskip(NEXT) | instid1(VALU_DEP_2)
	v_add_co_u32 v26, vcc_lo, s10, v26
	v_add_co_ci_u32_e32 v27, vcc_lo, s11, v27, vcc_lo
	global_load_b64 v[46:47], v[26:27], off
	v_add_nc_u32_e32 v5, 1, v38
	s_delay_alu instid0(VALU_DEP_1) | instskip(NEXT) | instid1(VALU_DEP_1)
	v_lshlrev_b64 v[28:29], 3, v[5:6]
	v_add_co_u32 v28, vcc_lo, s10, v28
	s_delay_alu instid0(VALU_DEP_2)
	v_add_co_ci_u32_e32 v29, vcc_lo, s11, v29, vcc_lo
	global_load_b64 v[48:49], v[28:29], off
	s_waitcnt vmcnt(1)
	v_fmac_f32_e32 v16, v18, v46
	v_fmac_f32_e32 v17, v20, v46
	;; [unrolled: 1-line block ×3, first 2 shown]
	s_delay_alu instid0(VALU_DEP_3) | instskip(SKIP_1) | instid1(VALU_DEP_4)
	v_fma_f32 v8, -v19, v47, v16
	v_add_nc_u32_e32 v5, -8, v3
	v_fma_f32 v16, -v21, v47, v17
	s_delay_alu instid0(VALU_DEP_4)
	v_fmac_f32_e32 v14, v20, v47
	s_waitcnt vmcnt(0)
	v_fmac_f32_e32 v8, v22, v48
	v_lshlrev_b64 v[30:31], 3, v[5:6]
	v_dual_fmac_f32 v16, v24, v48 :: v_dual_add_nc_u32 v5, 2, v38
	v_fmac_f32_e32 v14, v25, v48
	s_delay_alu instid0(VALU_DEP_4) | instskip(NEXT) | instid1(VALU_DEP_3)
	v_fma_f32 v8, -v23, v49, v8
	v_lshlrev_b64 v[26:27], 3, v[5:6]
	v_add_co_u32 v28, vcc_lo, s8, v30
	v_add_co_ci_u32_e32 v29, vcc_lo, s9, v31, vcc_lo
	v_add_nc_u32_e32 v5, -6, v3
	s_delay_alu instid0(VALU_DEP_4) | instskip(SKIP_1) | instid1(VALU_DEP_3)
	v_add_co_u32 v32, vcc_lo, s10, v26
	v_add_co_ci_u32_e32 v33, vcc_lo, s11, v27, vcc_lo
	v_lshlrev_b64 v[30:31], 3, v[5:6]
	v_dual_fmac_f32 v14, v24, v49 :: v_dual_add_nc_u32 v5, 3, v38
	global_load_b128 v[26:29], v[28:29], off
	global_load_b64 v[50:51], v[32:33], off
	v_fma_f32 v16, -v25, v49, v16
	v_lshlrev_b64 v[34:35], 3, v[5:6]
	v_add_co_u32 v30, vcc_lo, s8, v30
	v_add_co_ci_u32_e32 v31, vcc_lo, s9, v31, vcc_lo
	s_delay_alu instid0(VALU_DEP_3) | instskip(NEXT) | instid1(VALU_DEP_4)
	v_add_co_u32 v34, vcc_lo, s10, v34
	v_add_co_ci_u32_e32 v35, vcc_lo, s11, v35, vcc_lo
	global_load_b64 v[52:53], v[34:35], off
	global_load_b128 v[30:33], v[30:31], off
	s_waitcnt vmcnt(2)
	v_dual_fmac_f32 v8, v26, v50 :: v_dual_add_nc_u32 v5, -4, v3
	s_delay_alu instid0(VALU_DEP_1) | instskip(SKIP_4) | instid1(VALU_DEP_4)
	v_lshlrev_b64 v[36:37], 3, v[5:6]
	v_fmac_f32_e32 v14, v29, v50
	v_add_nc_u32_e32 v5, 4, v38
	v_fmac_f32_e32 v16, v28, v50
	v_fma_f32 v8, -v27, v51, v8
	v_fmac_f32_e32 v14, v28, v51
	s_delay_alu instid0(VALU_DEP_4) | instskip(SKIP_3) | instid1(VALU_DEP_3)
	v_lshlrev_b64 v[39:40], 3, v[5:6]
	v_add_nc_u32_e32 v5, -2, v3
	v_add_co_u32 v34, vcc_lo, s8, v36
	v_add_co_ci_u32_e32 v35, vcc_lo, s9, v37, vcc_lo
	v_lshlrev_b64 v[44:45], 3, v[5:6]
	s_waitcnt vmcnt(0)
	v_dual_fmac_f32 v8, v30, v52 :: v_dual_add_nc_u32 v5, 5, v38
	v_add_co_u32 v39, vcc_lo, s10, v39
	v_add_co_ci_u32_e32 v40, vcc_lo, s11, v40, vcc_lo
	s_delay_alu instid0(VALU_DEP_3)
	v_lshlrev_b64 v[54:55], 3, v[5:6]
	global_load_b128 v[34:37], v[34:35], off
	v_fma_f32 v16, -v29, v51, v16
	global_load_b64 v[56:57], v[39:40], off
	v_add_nc_u32_e32 v5, 6, v38
	v_add_co_u32 v38, vcc_lo, s8, v44
	v_fmac_f32_e32 v16, v32, v52
	v_add_co_ci_u32_e32 v39, vcc_lo, s9, v45, vcc_lo
	v_add_co_u32 v44, vcc_lo, s10, v54
	v_add_co_ci_u32_e32 v45, vcc_lo, s11, v55, vcc_lo
	global_load_b128 v[38:41], v[38:39], off
	global_load_b64 v[54:55], v[44:45], off
	v_lshlrev_b64 v[4:5], 3, v[5:6]
	v_dual_fmac_f32 v13, v19, v46 :: v_dual_fmac_f32 v14, v33, v52
	v_fma_f32 v16, -v33, v53, v16
	v_fma_f32 v8, -v31, v53, v8
	v_add_nc_u32_e32 v3, 0x70, v3
	v_add_co_u32 v4, vcc_lo, s10, v4
	v_add_co_ci_u32_e32 v5, vcc_lo, s11, v5, vcc_lo
	global_load_b128 v[42:45], v[42:43], off
	global_load_b64 v[4:5], v[4:5], off
	v_dual_fmac_f32 v13, v18, v47 :: v_dual_fmac_f32 v14, v32, v53
	v_cmp_ge_i32_e32 vcc_lo, v7, v15
	s_or_b32 s5, vcc_lo, s5
	s_waitcnt vmcnt(4)
	s_delay_alu instid0(VALU_DEP_2) | instskip(SKIP_3) | instid1(VALU_DEP_4)
	v_fmac_f32_e32 v14, v37, v56
	v_fmac_f32_e32 v13, v23, v48
	;; [unrolled: 1-line block ×5, first 2 shown]
	s_delay_alu instid0(VALU_DEP_4) | instskip(NEXT) | instid1(VALU_DEP_4)
	v_fmac_f32_e32 v13, v22, v49
	v_fma_f32 v16, -v37, v57, v16
	s_delay_alu instid0(VALU_DEP_4) | instskip(SKIP_3) | instid1(VALU_DEP_3)
	v_fma_f32 v8, -v35, v57, v8
	s_waitcnt vmcnt(2)
	v_fmac_f32_e32 v14, v41, v54
	v_fmac_f32_e32 v13, v27, v50
	;; [unrolled: 1-line block ×4, first 2 shown]
	s_delay_alu instid0(VALU_DEP_4) | instskip(NEXT) | instid1(VALU_DEP_4)
	v_fmac_f32_e32 v14, v40, v55
	v_fmac_f32_e32 v13, v26, v51
	s_delay_alu instid0(VALU_DEP_4) | instskip(NEXT) | instid1(VALU_DEP_4)
	v_fma_f32 v8, -v39, v55, v8
	v_fma_f32 v17, -v41, v55, v16
	s_delay_alu instid0(VALU_DEP_3) | instskip(SKIP_2) | instid1(VALU_DEP_3)
	v_fmac_f32_e32 v13, v31, v52
	s_waitcnt vmcnt(0)
	v_fmac_f32_e32 v14, v45, v4
	v_fmac_f32_e32 v17, v44, v4
	v_fmac_f32_e32 v8, v42, v4
	v_fmac_f32_e32 v13, v30, v53
	s_delay_alu instid0(VALU_DEP_4) | instskip(NEXT) | instid1(VALU_DEP_4)
	v_fmac_f32_e32 v14, v44, v5
	v_fma_f32 v17, -v45, v5, v17
	s_delay_alu instid0(VALU_DEP_4) | instskip(NEXT) | instid1(VALU_DEP_4)
	v_fma_f32 v16, -v43, v5, v8
	v_fmac_f32_e32 v13, v35, v56
	s_delay_alu instid0(VALU_DEP_1) | instskip(NEXT) | instid1(VALU_DEP_1)
	v_fmac_f32_e32 v13, v34, v57
	v_fmac_f32_e32 v13, v39, v54
	s_delay_alu instid0(VALU_DEP_1) | instskip(NEXT) | instid1(VALU_DEP_1)
	v_fmac_f32_e32 v13, v38, v55
	v_fmac_f32_e32 v13, v43, v4
	s_delay_alu instid0(VALU_DEP_1)
	v_fmac_f32_e32 v13, v42, v5
	s_and_not1_b32 exec_lo, exec_lo, s5
	s_cbranch_execnz .LBB178_12
; %bb.13:
	s_or_b32 exec_lo, exec_lo, s5
.LBB178_14:
	s_delay_alu instid0(SALU_CYCLE_1) | instskip(NEXT) | instid1(SALU_CYCLE_1)
	s_or_b32 exec_lo, exec_lo, s4
	s_and_not1_b32 vcc_lo, exec_lo, s3
	s_cbranch_vccz .LBB178_19
	s_branch .LBB178_24
.LBB178_15:
	v_dual_mov_b32 v1, s4 :: v_dual_mov_b32 v2, s5
	flat_load_b32 v9, v[1:2]
	v_cndmask_b32_e64 v1, 0, 1, s6
	v_mov_b32_e32 v10, s5
	s_and_not1_b32 vcc_lo, exec_lo, s6
	s_cbranch_vccnz .LBB178_2
.LBB178_16:
	v_dual_mov_b32 v2, s4 :: v_dual_mov_b32 v3, s5
	flat_load_b32 v10, v[2:3] offset:4
	v_cmp_ne_u32_e32 vcc_lo, 1, v1
	v_mov_b32_e32 v11, s2
	s_cbranch_vccnz .LBB178_3
.LBB178_17:
	v_dual_mov_b32 v2, s2 :: v_dual_mov_b32 v3, s3
	flat_load_b32 v11, v[2:3]
	v_cmp_ne_u32_e32 vcc_lo, 1, v1
	v_mov_b32_e32 v12, s3
	s_cbranch_vccz .LBB178_4
	s_branch .LBB178_5
.LBB178_18:
                                        ; implicit-def: $vgpr13
                                        ; implicit-def: $vgpr16
                                        ; implicit-def: $vgpr17
                                        ; implicit-def: $vgpr14
.LBB178_19:
	v_dual_mov_b32 v13, 0 :: v_dual_mov_b32 v16, 0
	v_dual_mov_b32 v17, 0 :: v_dual_mov_b32 v14, 0
	s_delay_alu instid0(VALU_DEP_3)
	s_and_saveexec_b32 s3, s2
	s_cbranch_execz .LBB178_23
; %bb.20:
	v_mad_u64_u32 v[4:5], null, v2, 14, 13
	v_dual_mov_b32 v7, 0 :: v_dual_mov_b32 v16, 0
	v_dual_mov_b32 v13, 0 :: v_dual_mov_b32 v14, 0
	v_mov_b32_e32 v17, 0
	s_mov_b32 s2, 0
.LBB178_21:                             ; =>This Inner Loop Header: Depth=1
	v_ashrrev_i32_e32 v3, 31, v2
	v_dual_mov_b32 v19, v7 :: v_dual_add_nc_u32 v18, -6, v4
	v_mov_b32_e32 v23, v7
	s_delay_alu instid0(VALU_DEP_3) | instskip(SKIP_1) | instid1(VALU_DEP_4)
	v_lshlrev_b64 v[5:6], 2, v[2:3]
	v_add_nc_u32_e32 v2, 8, v2
	v_lshlrev_b64 v[18:19], 3, v[18:19]
	s_delay_alu instid0(VALU_DEP_3) | instskip(NEXT) | instid1(VALU_DEP_4)
	v_add_co_u32 v5, vcc_lo, s6, v5
	v_add_co_ci_u32_e32 v6, vcc_lo, s7, v6, vcc_lo
	global_load_b32 v3, v[5:6], off
	v_add_nc_u32_e32 v6, -13, v4
	s_delay_alu instid0(VALU_DEP_1) | instskip(NEXT) | instid1(VALU_DEP_1)
	v_lshlrev_b64 v[20:21], 3, v[6:7]
	v_add_co_u32 v20, vcc_lo, s8, v20
	s_delay_alu instid0(VALU_DEP_2) | instskip(SKIP_4) | instid1(VALU_DEP_1)
	v_add_co_ci_u32_e32 v21, vcc_lo, s9, v21, vcc_lo
	v_add_co_u32 v24, vcc_lo, s8, v18
	v_add_co_ci_u32_e32 v25, vcc_lo, s9, v19, vcc_lo
	s_waitcnt vmcnt(0)
	v_subrev_nc_u32_e32 v3, s12, v3
	v_mul_lo_u32 v22, v3, 7
	v_mov_b32_e32 v5, v7
	s_delay_alu instid0(VALU_DEP_1) | instskip(NEXT) | instid1(VALU_DEP_3)
	v_lshlrev_b64 v[5:6], 3, v[4:5]
	v_lshlrev_b64 v[28:29], 3, v[22:23]
	s_delay_alu instid0(VALU_DEP_2) | instskip(NEXT) | instid1(VALU_DEP_3)
	v_add_co_u32 v5, vcc_lo, s8, v5
	v_add_co_ci_u32_e32 v6, vcc_lo, s9, v6, vcc_lo
	s_delay_alu instid0(VALU_DEP_3) | instskip(NEXT) | instid1(VALU_DEP_4)
	v_add_co_u32 v28, vcc_lo, s10, v28
	v_add_co_ci_u32_e32 v29, vcc_lo, s11, v29, vcc_lo
	s_clause 0x2
	global_load_b128 v[18:21], v[20:21], off
	global_load_b64 v[24:25], v[24:25], off
	global_load_b64 v[26:27], v[5:6], off
	v_add_nc_u32_e32 v6, 1, v22
	global_load_b64 v[28:29], v[28:29], off
	v_lshlrev_b64 v[30:31], 3, v[6:7]
	s_delay_alu instid0(VALU_DEP_1) | instskip(NEXT) | instid1(VALU_DEP_2)
	v_add_co_u32 v30, vcc_lo, s10, v30
	v_add_co_ci_u32_e32 v31, vcc_lo, s11, v31, vcc_lo
	global_load_b64 v[30:31], v[30:31], off
	s_waitcnt vmcnt(1)
	v_fmac_f32_e32 v14, v25, v28
	v_fmac_f32_e32 v16, v18, v28
	;; [unrolled: 1-line block ×4, first 2 shown]
	s_delay_alu instid0(VALU_DEP_4) | instskip(NEXT) | instid1(VALU_DEP_3)
	v_fmac_f32_e32 v14, v24, v29
	v_dual_fmac_f32 v13, v18, v29 :: v_dual_add_nc_u32 v6, -5, v4
	v_fma_f32 v3, -v19, v29, v16
	s_delay_alu instid0(VALU_DEP_4) | instskip(NEXT) | instid1(VALU_DEP_3)
	v_fma_f32 v8, -v25, v29, v17
	v_lshlrev_b64 v[32:33], 3, v[6:7]
	s_waitcnt vmcnt(0)
	s_delay_alu instid0(VALU_DEP_3) | instskip(NEXT) | instid1(VALU_DEP_1)
	v_dual_fmac_f32 v3, v20, v30 :: v_dual_add_nc_u32 v6, -11, v4
	v_lshlrev_b64 v[34:35], 3, v[6:7]
	v_add_nc_u32_e32 v6, 2, v22
	s_delay_alu instid0(VALU_DEP_4) | instskip(SKIP_1) | instid1(VALU_DEP_3)
	v_add_co_u32 v32, vcc_lo, s8, v32
	v_add_co_ci_u32_e32 v33, vcc_lo, s9, v33, vcc_lo
	v_lshlrev_b64 v[36:37], 3, v[6:7]
	v_add_co_u32 v34, vcc_lo, s8, v34
	v_add_co_ci_u32_e32 v35, vcc_lo, s9, v35, vcc_lo
	global_load_b64 v[32:33], v[32:33], off
	v_add_co_u32 v36, vcc_lo, s10, v36
	global_load_b64 v[34:35], v[34:35], off
	v_add_co_ci_u32_e32 v37, vcc_lo, s11, v37, vcc_lo
	v_dual_fmac_f32 v13, v21, v30 :: v_dual_add_nc_u32 v6, -4, v4
	v_fma_f32 v3, -v21, v31, v3
	global_load_b64 v[36:37], v[36:37], off
	v_lshlrev_b64 v[38:39], 3, v[6:7]
	v_dual_fmac_f32 v13, v20, v31 :: v_dual_add_nc_u32 v6, -10, v4
	s_delay_alu instid0(VALU_DEP_1) | instskip(SKIP_1) | instid1(VALU_DEP_4)
	v_lshlrev_b64 v[40:41], 3, v[6:7]
	v_add_nc_u32_e32 v6, 3, v22
	v_add_co_u32 v38, vcc_lo, s8, v38
	v_add_co_ci_u32_e32 v39, vcc_lo, s9, v39, vcc_lo
	s_delay_alu instid0(VALU_DEP_4)
	v_add_co_u32 v40, vcc_lo, s8, v40
	v_add_co_ci_u32_e32 v41, vcc_lo, s9, v41, vcc_lo
	s_clause 0x1
	global_load_b64 v[38:39], v[38:39], off
	global_load_b64 v[40:41], v[40:41], off
	s_waitcnt vmcnt(2)
	v_dual_fmac_f32 v8, v32, v30 :: v_dual_fmac_f32 v13, v35, v36
	v_fmac_f32_e32 v3, v34, v36
	v_lshlrev_b64 v[42:43], 3, v[6:7]
	v_add_nc_u32_e32 v6, -3, v4
	s_delay_alu instid0(VALU_DEP_4)
	v_fma_f32 v8, -v33, v31, v8
	v_fmac_f32_e32 v13, v34, v37
	v_fma_f32 v3, -v35, v37, v3
	v_add_co_u32 v42, vcc_lo, s10, v42
	v_add_co_ci_u32_e32 v43, vcc_lo, s11, v43, vcc_lo
	v_lshlrev_b64 v[44:45], 3, v[6:7]
	global_load_b64 v[42:43], v[42:43], off
	v_add_nc_u32_e32 v6, -9, v4
	v_add_co_u32 v44, vcc_lo, s8, v44
	v_add_co_ci_u32_e32 v45, vcc_lo, s9, v45, vcc_lo
	s_waitcnt vmcnt(2)
	v_fmac_f32_e32 v8, v38, v36
	global_load_b64 v[44:45], v[44:45], off
	v_fma_f32 v8, -v39, v37, v8
	s_waitcnt vmcnt(1)
	v_fmac_f32_e32 v3, v40, v42
	v_lshlrev_b64 v[46:47], 3, v[6:7]
	v_fmac_f32_e32 v13, v41, v42
	v_add_nc_u32_e32 v6, 4, v22
	s_delay_alu instid0(VALU_DEP_4) | instskip(NEXT) | instid1(VALU_DEP_3)
	v_fma_f32 v3, -v41, v43, v3
	v_fmac_f32_e32 v13, v40, v43
	s_delay_alu instid0(VALU_DEP_3) | instskip(SKIP_2) | instid1(VALU_DEP_3)
	v_lshlrev_b64 v[48:49], 3, v[6:7]
	v_add_co_u32 v46, vcc_lo, s8, v46
	v_add_co_ci_u32_e32 v47, vcc_lo, s9, v47, vcc_lo
	v_add_co_u32 v48, vcc_lo, s10, v48
	s_delay_alu instid0(VALU_DEP_4)
	v_add_co_ci_u32_e32 v49, vcc_lo, s11, v49, vcc_lo
	global_load_b64 v[46:47], v[46:47], off
	s_waitcnt vmcnt(1)
	v_fmac_f32_e32 v8, v44, v42
	global_load_b64 v[48:49], v[48:49], off
	v_fmac_f32_e32 v14, v33, v30
	v_fma_f32 v8, -v45, v43, v8
	s_waitcnt vmcnt(0)
	s_delay_alu instid0(VALU_DEP_2) | instskip(SKIP_2) | instid1(VALU_DEP_3)
	v_dual_fmac_f32 v3, v46, v48 :: v_dual_fmac_f32 v14, v32, v31
	v_fmac_f32_e32 v13, v47, v48
	v_add_nc_u32_e32 v6, -2, v4
	v_fma_f32 v3, -v47, v49, v3
	s_delay_alu instid0(VALU_DEP_3) | instskip(NEXT) | instid1(VALU_DEP_3)
	v_dual_fmac_f32 v14, v39, v36 :: v_dual_fmac_f32 v13, v46, v49
	v_lshlrev_b64 v[50:51], 3, v[6:7]
	v_add_nc_u32_e32 v6, -8, v4
	s_delay_alu instid0(VALU_DEP_3) | instskip(NEXT) | instid1(VALU_DEP_2)
	v_fmac_f32_e32 v14, v38, v37
	v_lshlrev_b64 v[52:53], 3, v[6:7]
	s_delay_alu instid0(VALU_DEP_4) | instskip(SKIP_1) | instid1(VALU_DEP_4)
	v_add_co_u32 v50, vcc_lo, s8, v50
	v_add_co_ci_u32_e32 v51, vcc_lo, s9, v51, vcc_lo
	v_fmac_f32_e32 v14, v45, v42
	s_delay_alu instid0(VALU_DEP_4)
	v_add_co_u32 v52, vcc_lo, s8, v52
	v_add_co_ci_u32_e32 v53, vcc_lo, s9, v53, vcc_lo
	global_load_b64 v[50:51], v[50:51], off
	v_fmac_f32_e32 v14, v44, v43
	global_load_b64 v[52:53], v[52:53], off
	v_add_nc_u32_e32 v6, 5, v22
	s_delay_alu instid0(VALU_DEP_1) | instskip(NEXT) | instid1(VALU_DEP_1)
	v_lshlrev_b64 v[54:55], 3, v[6:7]
	v_add_co_u32 v54, vcc_lo, s10, v54
	s_delay_alu instid0(VALU_DEP_2)
	v_add_co_ci_u32_e32 v55, vcc_lo, s11, v55, vcc_lo
	global_load_b64 v[54:55], v[54:55], off
	v_add_nc_u32_e32 v6, -1, v4
	s_waitcnt vmcnt(2)
	v_fmac_f32_e32 v8, v50, v48
	v_fmac_f32_e32 v14, v51, v48
	s_delay_alu instid0(VALU_DEP_2) | instskip(SKIP_1) | instid1(VALU_DEP_2)
	v_fma_f32 v8, -v51, v49, v8
	s_waitcnt vmcnt(0)
	v_dual_fmac_f32 v14, v50, v49 :: v_dual_fmac_f32 v13, v53, v54
	v_fmac_f32_e32 v3, v52, v54
	v_lshlrev_b64 v[56:57], 3, v[6:7]
	s_delay_alu instid0(VALU_DEP_3) | instskip(NEXT) | instid1(VALU_DEP_3)
	v_fmac_f32_e32 v13, v52, v55
	v_fma_f32 v3, -v53, v55, v3
	v_add_nc_u32_e32 v6, -7, v4
	v_add_nc_u32_e32 v4, 0x70, v4
	s_delay_alu instid0(VALU_DEP_2) | instskip(SKIP_3) | instid1(VALU_DEP_3)
	v_lshlrev_b64 v[58:59], 3, v[6:7]
	v_add_nc_u32_e32 v6, 6, v22
	v_add_co_u32 v22, vcc_lo, s8, v56
	v_add_co_ci_u32_e32 v23, vcc_lo, s9, v57, vcc_lo
	v_lshlrev_b64 v[5:6], 3, v[6:7]
	v_add_co_u32 v56, vcc_lo, s8, v58
	global_load_b64 v[22:23], v[22:23], off
	v_add_co_ci_u32_e32 v57, vcc_lo, s9, v59, vcc_lo
	v_add_co_u32 v5, vcc_lo, s10, v5
	v_add_co_ci_u32_e32 v6, vcc_lo, s11, v6, vcc_lo
	global_load_b64 v[56:57], v[56:57], off
	global_load_b64 v[5:6], v[5:6], off
	v_cmp_ge_i32_e32 vcc_lo, v2, v15
	s_or_b32 s2, vcc_lo, s2
	s_waitcnt vmcnt(2)
	v_fmac_f32_e32 v8, v22, v54
	v_fmac_f32_e32 v14, v23, v54
	s_delay_alu instid0(VALU_DEP_2) | instskip(SKIP_1) | instid1(VALU_DEP_2)
	v_fma_f32 v8, -v23, v55, v8
	s_waitcnt vmcnt(0)
	v_dual_fmac_f32 v14, v22, v55 :: v_dual_fmac_f32 v13, v57, v5
	v_fmac_f32_e32 v3, v56, v5
	s_delay_alu instid0(VALU_DEP_3) | instskip(NEXT) | instid1(VALU_DEP_3)
	v_fmac_f32_e32 v8, v26, v5
	v_dual_fmac_f32 v14, v27, v5 :: v_dual_fmac_f32 v13, v56, v6
	s_delay_alu instid0(VALU_DEP_3) | instskip(NEXT) | instid1(VALU_DEP_3)
	v_fma_f32 v16, -v57, v6, v3
	v_fma_f32 v17, -v27, v6, v8
	s_delay_alu instid0(VALU_DEP_3)
	v_fmac_f32_e32 v14, v26, v6
	s_and_not1_b32 exec_lo, exec_lo, s2
	s_cbranch_execnz .LBB178_21
; %bb.22:
	s_or_b32 exec_lo, exec_lo, s2
.LBB178_23:
	s_delay_alu instid0(SALU_CYCLE_1)
	s_or_b32 exec_lo, exec_lo, s3
.LBB178_24:
	v_mbcnt_lo_u32_b32 v2, -1, 0
	s_delay_alu instid0(VALU_DEP_1) | instskip(SKIP_2) | instid1(VALU_DEP_3)
	v_xor_b32_e32 v3, 4, v2
	v_xor_b32_e32 v7, 2, v2
	;; [unrolled: 1-line block ×3, first 2 shown]
	v_cmp_gt_i32_e32 vcc_lo, 32, v3
	v_cndmask_b32_e32 v3, v2, v3, vcc_lo
	s_delay_alu instid0(VALU_DEP_4) | instskip(NEXT) | instid1(VALU_DEP_2)
	v_cmp_gt_i32_e32 vcc_lo, 32, v7
	v_lshlrev_b32_e32 v3, 2, v3
	ds_bpermute_b32 v6, v3, v17
	s_waitcnt lgkmcnt(0)
	v_add_f32_e32 v6, v17, v6
	ds_bpermute_b32 v4, v3, v16
	ds_bpermute_b32 v5, v3, v13
	;; [unrolled: 1-line block ×3, first 2 shown]
	s_waitcnt lgkmcnt(2)
	v_dual_add_f32 v4, v16, v4 :: v_dual_cndmask_b32 v7, v2, v7
	s_waitcnt lgkmcnt(0)
	v_add_f32_e32 v3, v14, v3
	v_cmp_gt_i32_e32 vcc_lo, 32, v15
	v_add_f32_e32 v5, v13, v5
	v_lshlrev_b32_e32 v7, 2, v7
	v_cndmask_b32_e32 v2, v2, v15, vcc_lo
	v_cmp_eq_u32_e32 vcc_lo, 7, v0
	ds_bpermute_b32 v14, v7, v6
	v_lshlrev_b32_e32 v15, 2, v2
	s_waitcnt lgkmcnt(0)
	v_add_f32_e32 v2, v6, v14
	ds_bpermute_b32 v8, v7, v4
	ds_bpermute_b32 v13, v7, v5
	;; [unrolled: 1-line block ×4, first 2 shown]
	s_waitcnt lgkmcnt(2)
	v_dual_add_f32 v4, v4, v8 :: v_dual_add_f32 v5, v5, v13
	s_waitcnt lgkmcnt(1)
	v_add_f32_e32 v3, v3, v7
	ds_bpermute_b32 v8, v15, v4
	ds_bpermute_b32 v13, v15, v5
	;; [unrolled: 1-line block ×3, first 2 shown]
	s_and_b32 exec_lo, exec_lo, vcc_lo
	s_cbranch_execz .LBB178_29
; %bb.25:
	s_load_b64 s[2:3], s[0:1], 0x38
	v_cmp_eq_f32_e32 vcc_lo, 0, v11
	v_cmp_eq_f32_e64 s0, 0, v12
	s_waitcnt lgkmcnt(0)
	v_dual_add_f32 v0, v4, v8 :: v_dual_add_f32 v3, v3, v7
	v_add_f32_e32 v4, v5, v13
	v_add_f32_e32 v2, v2, v6
	s_and_b32 s0, vcc_lo, s0
	s_delay_alu instid0(SALU_CYCLE_1) | instskip(NEXT) | instid1(SALU_CYCLE_1)
	s_and_saveexec_b32 s1, s0
	s_xor_b32 s0, exec_lo, s1
	s_cbranch_execz .LBB178_27
; %bb.26:
	v_mul_f32_e64 v5, v4, -v10
	v_mul_f32_e32 v6, v4, v9
	v_mul_f32_e64 v7, v3, -v10
	v_mul_f32_e32 v8, v3, v9
                                        ; implicit-def: $vgpr4
                                        ; implicit-def: $vgpr3
	s_delay_alu instid0(VALU_DEP_4) | instskip(NEXT) | instid1(VALU_DEP_4)
	v_fmac_f32_e32 v5, v9, v0
	v_dual_fmac_f32 v6, v10, v0 :: v_dual_lshlrev_b32 v11, 1, v1
	s_delay_alu instid0(VALU_DEP_4) | instskip(NEXT) | instid1(VALU_DEP_4)
	v_fmac_f32_e32 v7, v9, v2
	v_fmac_f32_e32 v8, v10, v2
                                        ; implicit-def: $vgpr9
                                        ; implicit-def: $vgpr10
                                        ; implicit-def: $vgpr2
	s_delay_alu instid0(VALU_DEP_3) | instskip(NEXT) | instid1(VALU_DEP_1)
	v_ashrrev_i32_e32 v12, 31, v11
	v_lshlrev_b64 v[11:12], 3, v[11:12]
	s_delay_alu instid0(VALU_DEP_1) | instskip(NEXT) | instid1(VALU_DEP_2)
	v_add_co_u32 v0, vcc_lo, s2, v11
	v_add_co_ci_u32_e32 v1, vcc_lo, s3, v12, vcc_lo
                                        ; implicit-def: $vgpr11
                                        ; implicit-def: $vgpr12
	global_store_b128 v[0:1], v[5:8], off
                                        ; implicit-def: $vgpr1
                                        ; implicit-def: $vgpr0
.LBB178_27:
	s_and_not1_saveexec_b32 s0, s0
	s_cbranch_execz .LBB178_29
; %bb.28:
	v_lshlrev_b32_e32 v5, 1, v1
	v_mul_f32_e64 v15, v4, -v10
	v_mul_f32_e32 v1, v4, v9
	v_mul_f32_e64 v4, v3, -v10
	v_mul_f32_e32 v3, v3, v9
	s_delay_alu instid0(VALU_DEP_4) | instskip(NEXT) | instid1(VALU_DEP_3)
	v_fmac_f32_e32 v15, v9, v0
	v_fmac_f32_e32 v4, v9, v2
	v_ashrrev_i32_e32 v6, 31, v5
	s_delay_alu instid0(VALU_DEP_4) | instskip(NEXT) | instid1(VALU_DEP_2)
	v_fmac_f32_e32 v3, v10, v2
	v_lshlrev_b64 v[5:6], 3, v[5:6]
	s_delay_alu instid0(VALU_DEP_1) | instskip(NEXT) | instid1(VALU_DEP_2)
	v_add_co_u32 v13, vcc_lo, s2, v5
	v_add_co_ci_u32_e32 v14, vcc_lo, s3, v6, vcc_lo
	global_load_b128 v[5:8], v[13:14], off
	s_waitcnt vmcnt(0)
	v_dual_fmac_f32 v4, v11, v7 :: v_dual_fmac_f32 v1, v10, v0
	v_fmac_f32_e32 v15, v11, v5
	v_fmac_f32_e32 v3, v12, v7
	s_delay_alu instid0(VALU_DEP_3) | instskip(NEXT) | instid1(VALU_DEP_4)
	v_fma_f32 v2, -v12, v8, v4
	v_fmac_f32_e32 v1, v12, v5
	s_delay_alu instid0(VALU_DEP_4) | instskip(NEXT) | instid1(VALU_DEP_4)
	v_fma_f32 v0, -v12, v6, v15
	v_fmac_f32_e32 v3, v11, v8
	s_delay_alu instid0(VALU_DEP_3)
	v_fmac_f32_e32 v1, v11, v6
	global_store_b128 v[13:14], v[0:3], off
.LBB178_29:
	s_nop 0
	s_sendmsg sendmsg(MSG_DEALLOC_VGPRS)
	s_endpgm
	.section	.rodata,"a",@progbits
	.p2align	6, 0x0
	.amdhsa_kernel _ZN9rocsparseL19gebsrmvn_2xn_kernelILj128ELj7ELj8E21rocsparse_complex_numIfEEEvi20rocsparse_direction_NS_24const_host_device_scalarIT2_EEPKiS8_PKS5_SA_S6_PS5_21rocsparse_index_base_b
		.amdhsa_group_segment_fixed_size 0
		.amdhsa_private_segment_fixed_size 0
		.amdhsa_kernarg_size 72
		.amdhsa_user_sgpr_count 15
		.amdhsa_user_sgpr_dispatch_ptr 0
		.amdhsa_user_sgpr_queue_ptr 0
		.amdhsa_user_sgpr_kernarg_segment_ptr 1
		.amdhsa_user_sgpr_dispatch_id 0
		.amdhsa_user_sgpr_private_segment_size 0
		.amdhsa_wavefront_size32 1
		.amdhsa_uses_dynamic_stack 0
		.amdhsa_enable_private_segment 0
		.amdhsa_system_sgpr_workgroup_id_x 1
		.amdhsa_system_sgpr_workgroup_id_y 0
		.amdhsa_system_sgpr_workgroup_id_z 0
		.amdhsa_system_sgpr_workgroup_info 0
		.amdhsa_system_vgpr_workitem_id 0
		.amdhsa_next_free_vgpr 60
		.amdhsa_next_free_sgpr 16
		.amdhsa_reserve_vcc 1
		.amdhsa_float_round_mode_32 0
		.amdhsa_float_round_mode_16_64 0
		.amdhsa_float_denorm_mode_32 3
		.amdhsa_float_denorm_mode_16_64 3
		.amdhsa_dx10_clamp 1
		.amdhsa_ieee_mode 1
		.amdhsa_fp16_overflow 0
		.amdhsa_workgroup_processor_mode 1
		.amdhsa_memory_ordered 1
		.amdhsa_forward_progress 0
		.amdhsa_shared_vgpr_count 0
		.amdhsa_exception_fp_ieee_invalid_op 0
		.amdhsa_exception_fp_denorm_src 0
		.amdhsa_exception_fp_ieee_div_zero 0
		.amdhsa_exception_fp_ieee_overflow 0
		.amdhsa_exception_fp_ieee_underflow 0
		.amdhsa_exception_fp_ieee_inexact 0
		.amdhsa_exception_int_div_zero 0
	.end_amdhsa_kernel
	.section	.text._ZN9rocsparseL19gebsrmvn_2xn_kernelILj128ELj7ELj8E21rocsparse_complex_numIfEEEvi20rocsparse_direction_NS_24const_host_device_scalarIT2_EEPKiS8_PKS5_SA_S6_PS5_21rocsparse_index_base_b,"axG",@progbits,_ZN9rocsparseL19gebsrmvn_2xn_kernelILj128ELj7ELj8E21rocsparse_complex_numIfEEEvi20rocsparse_direction_NS_24const_host_device_scalarIT2_EEPKiS8_PKS5_SA_S6_PS5_21rocsparse_index_base_b,comdat
.Lfunc_end178:
	.size	_ZN9rocsparseL19gebsrmvn_2xn_kernelILj128ELj7ELj8E21rocsparse_complex_numIfEEEvi20rocsparse_direction_NS_24const_host_device_scalarIT2_EEPKiS8_PKS5_SA_S6_PS5_21rocsparse_index_base_b, .Lfunc_end178-_ZN9rocsparseL19gebsrmvn_2xn_kernelILj128ELj7ELj8E21rocsparse_complex_numIfEEEvi20rocsparse_direction_NS_24const_host_device_scalarIT2_EEPKiS8_PKS5_SA_S6_PS5_21rocsparse_index_base_b
                                        ; -- End function
	.section	.AMDGPU.csdata,"",@progbits
; Kernel info:
; codeLenInByte = 3260
; NumSgprs: 18
; NumVgprs: 60
; ScratchSize: 0
; MemoryBound: 0
; FloatMode: 240
; IeeeMode: 1
; LDSByteSize: 0 bytes/workgroup (compile time only)
; SGPRBlocks: 2
; VGPRBlocks: 7
; NumSGPRsForWavesPerEU: 18
; NumVGPRsForWavesPerEU: 60
; Occupancy: 16
; WaveLimiterHint : 1
; COMPUTE_PGM_RSRC2:SCRATCH_EN: 0
; COMPUTE_PGM_RSRC2:USER_SGPR: 15
; COMPUTE_PGM_RSRC2:TRAP_HANDLER: 0
; COMPUTE_PGM_RSRC2:TGID_X_EN: 1
; COMPUTE_PGM_RSRC2:TGID_Y_EN: 0
; COMPUTE_PGM_RSRC2:TGID_Z_EN: 0
; COMPUTE_PGM_RSRC2:TIDIG_COMP_CNT: 0
	.section	.text._ZN9rocsparseL19gebsrmvn_2xn_kernelILj128ELj7ELj16E21rocsparse_complex_numIfEEEvi20rocsparse_direction_NS_24const_host_device_scalarIT2_EEPKiS8_PKS5_SA_S6_PS5_21rocsparse_index_base_b,"axG",@progbits,_ZN9rocsparseL19gebsrmvn_2xn_kernelILj128ELj7ELj16E21rocsparse_complex_numIfEEEvi20rocsparse_direction_NS_24const_host_device_scalarIT2_EEPKiS8_PKS5_SA_S6_PS5_21rocsparse_index_base_b,comdat
	.globl	_ZN9rocsparseL19gebsrmvn_2xn_kernelILj128ELj7ELj16E21rocsparse_complex_numIfEEEvi20rocsparse_direction_NS_24const_host_device_scalarIT2_EEPKiS8_PKS5_SA_S6_PS5_21rocsparse_index_base_b ; -- Begin function _ZN9rocsparseL19gebsrmvn_2xn_kernelILj128ELj7ELj16E21rocsparse_complex_numIfEEEvi20rocsparse_direction_NS_24const_host_device_scalarIT2_EEPKiS8_PKS5_SA_S6_PS5_21rocsparse_index_base_b
	.p2align	8
	.type	_ZN9rocsparseL19gebsrmvn_2xn_kernelILj128ELj7ELj16E21rocsparse_complex_numIfEEEvi20rocsparse_direction_NS_24const_host_device_scalarIT2_EEPKiS8_PKS5_SA_S6_PS5_21rocsparse_index_base_b,@function
_ZN9rocsparseL19gebsrmvn_2xn_kernelILj128ELj7ELj16E21rocsparse_complex_numIfEEEvi20rocsparse_direction_NS_24const_host_device_scalarIT2_EEPKiS8_PKS5_SA_S6_PS5_21rocsparse_index_base_b: ; @_ZN9rocsparseL19gebsrmvn_2xn_kernelILj128ELj7ELj16E21rocsparse_complex_numIfEEEvi20rocsparse_direction_NS_24const_host_device_scalarIT2_EEPKiS8_PKS5_SA_S6_PS5_21rocsparse_index_base_b
; %bb.0:
	s_clause 0x2
	s_load_b64 s[12:13], s[0:1], 0x40
	s_load_b64 s[4:5], s[0:1], 0x8
	;; [unrolled: 1-line block ×3, first 2 shown]
	s_waitcnt lgkmcnt(0)
	s_bitcmp1_b32 s13, 0
	v_mov_b32_e32 v9, s4
	s_cselect_b32 s6, -1, 0
	s_delay_alu instid0(SALU_CYCLE_1)
	s_and_b32 vcc_lo, exec_lo, s6
	s_xor_b32 s6, s6, -1
	s_cbranch_vccz .LBB179_15
; %bb.1:
	v_cndmask_b32_e64 v1, 0, 1, s6
	v_mov_b32_e32 v10, s5
	s_and_not1_b32 vcc_lo, exec_lo, s6
	s_cbranch_vccz .LBB179_16
.LBB179_2:
	s_delay_alu instid0(VALU_DEP_2)
	v_cmp_ne_u32_e32 vcc_lo, 1, v1
	v_mov_b32_e32 v11, s2
	s_cbranch_vccz .LBB179_17
.LBB179_3:
	v_cmp_ne_u32_e32 vcc_lo, 1, v1
	v_mov_b32_e32 v12, s3
	s_cbranch_vccnz .LBB179_5
.LBB179_4:
	v_dual_mov_b32 v1, s2 :: v_dual_mov_b32 v2, s3
	flat_load_b32 v12, v[1:2] offset:4
.LBB179_5:
	s_waitcnt vmcnt(0) lgkmcnt(0)
	v_cmp_eq_f32_e32 vcc_lo, 0, v9
	v_cmp_eq_f32_e64 s2, 0, v10
	s_delay_alu instid0(VALU_DEP_1)
	s_and_b32 s4, vcc_lo, s2
	s_mov_b32 s2, -1
	s_and_saveexec_b32 s3, s4
; %bb.6:
	v_cmp_neq_f32_e32 vcc_lo, 1.0, v11
	v_cmp_neq_f32_e64 s2, 0, v12
	s_delay_alu instid0(VALU_DEP_1) | instskip(NEXT) | instid1(SALU_CYCLE_1)
	s_or_b32 s2, vcc_lo, s2
	s_or_not1_b32 s2, s2, exec_lo
; %bb.7:
	s_or_b32 exec_lo, exec_lo, s3
	s_and_saveexec_b32 s3, s2
	s_cbranch_execz .LBB179_29
; %bb.8:
	s_load_b64 s[2:3], s[0:1], 0x0
	v_lshrrev_b32_e32 v1, 4, v0
	s_delay_alu instid0(VALU_DEP_1) | instskip(SKIP_1) | instid1(VALU_DEP_1)
	v_lshl_or_b32 v1, s15, 3, v1
	s_waitcnt lgkmcnt(0)
	v_cmp_gt_i32_e32 vcc_lo, s2, v1
	s_and_b32 exec_lo, exec_lo, vcc_lo
	s_cbranch_execz .LBB179_29
; %bb.9:
	s_load_b256 s[4:11], s[0:1], 0x10
	v_ashrrev_i32_e32 v2, 31, v1
	v_and_b32_e32 v0, 15, v0
	s_cmp_lg_u32 s3, 0
	s_delay_alu instid0(VALU_DEP_2) | instskip(SKIP_1) | instid1(VALU_DEP_1)
	v_lshlrev_b64 v[2:3], 2, v[1:2]
	s_waitcnt lgkmcnt(0)
	v_add_co_u32 v2, vcc_lo, s4, v2
	s_delay_alu instid0(VALU_DEP_2) | instskip(SKIP_4) | instid1(VALU_DEP_2)
	v_add_co_ci_u32_e32 v3, vcc_lo, s5, v3, vcc_lo
	global_load_b64 v[2:3], v[2:3], off
	s_waitcnt vmcnt(0)
	v_subrev_nc_u32_e32 v2, s12, v2
	v_subrev_nc_u32_e32 v15, s12, v3
	v_add_nc_u32_e32 v2, v2, v0
	s_delay_alu instid0(VALU_DEP_1)
	v_cmp_lt_i32_e64 s2, v2, v15
	s_cbranch_scc0 .LBB179_18
; %bb.10:
	v_dual_mov_b32 v13, 0 :: v_dual_mov_b32 v16, 0
	v_dual_mov_b32 v17, 0 :: v_dual_mov_b32 v14, 0
	s_mov_b32 s3, 0
	s_and_saveexec_b32 s4, s2
	s_cbranch_execz .LBB179_14
; %bb.11:
	v_mad_u64_u32 v[3:4], null, v2, 14, 12
	v_dual_mov_b32 v6, 0 :: v_dual_mov_b32 v7, v2
	v_dual_mov_b32 v13, 0 :: v_dual_mov_b32 v16, 0
	v_dual_mov_b32 v17, 0 :: v_dual_mov_b32 v14, 0
	s_mov_b32 s5, 0
.LBB179_12:                             ; =>This Inner Loop Header: Depth=1
	s_delay_alu instid0(VALU_DEP_3) | instskip(NEXT) | instid1(VALU_DEP_1)
	v_ashrrev_i32_e32 v8, 31, v7
	v_lshlrev_b64 v[4:5], 2, v[7:8]
	v_add_nc_u32_e32 v7, 16, v7
	s_delay_alu instid0(VALU_DEP_2) | instskip(NEXT) | instid1(VALU_DEP_3)
	v_add_co_u32 v4, vcc_lo, s6, v4
	v_add_co_ci_u32_e32 v5, vcc_lo, s7, v5, vcc_lo
	global_load_b32 v8, v[4:5], off
	v_dual_mov_b32 v4, v6 :: v_dual_add_nc_u32 v5, -12, v3
	s_delay_alu instid0(VALU_DEP_1) | instskip(SKIP_1) | instid1(VALU_DEP_3)
	v_lshlrev_b64 v[18:19], 3, v[5:6]
	v_add_nc_u32_e32 v5, -10, v3
	v_lshlrev_b64 v[20:21], 3, v[3:4]
	s_delay_alu instid0(VALU_DEP_2) | instskip(NEXT) | instid1(VALU_DEP_4)
	v_lshlrev_b64 v[4:5], 3, v[5:6]
	v_add_co_u32 v18, vcc_lo, s8, v18
	v_add_co_ci_u32_e32 v19, vcc_lo, s9, v19, vcc_lo
	s_delay_alu instid0(VALU_DEP_4)
	v_add_co_u32 v42, vcc_lo, s8, v20
	v_add_co_ci_u32_e32 v43, vcc_lo, s9, v21, vcc_lo
	v_add_co_u32 v4, vcc_lo, s8, v4
	v_add_co_ci_u32_e32 v5, vcc_lo, s9, v5, vcc_lo
	s_clause 0x1
	global_load_b128 v[18:21], v[18:19], off
	global_load_b128 v[22:25], v[4:5], off
	v_mov_b32_e32 v39, v6
	s_waitcnt vmcnt(2)
	v_subrev_nc_u32_e32 v4, s12, v8
	s_delay_alu instid0(VALU_DEP_1) | instskip(NEXT) | instid1(VALU_DEP_1)
	v_mul_lo_u32 v38, v4, 7
	v_lshlrev_b64 v[26:27], 3, v[38:39]
	s_delay_alu instid0(VALU_DEP_1) | instskip(NEXT) | instid1(VALU_DEP_2)
	v_add_co_u32 v26, vcc_lo, s10, v26
	v_add_co_ci_u32_e32 v27, vcc_lo, s11, v27, vcc_lo
	global_load_b64 v[46:47], v[26:27], off
	v_add_nc_u32_e32 v5, 1, v38
	s_delay_alu instid0(VALU_DEP_1) | instskip(NEXT) | instid1(VALU_DEP_1)
	v_lshlrev_b64 v[28:29], 3, v[5:6]
	v_add_co_u32 v28, vcc_lo, s10, v28
	s_delay_alu instid0(VALU_DEP_2)
	v_add_co_ci_u32_e32 v29, vcc_lo, s11, v29, vcc_lo
	global_load_b64 v[48:49], v[28:29], off
	s_waitcnt vmcnt(1)
	v_fmac_f32_e32 v16, v18, v46
	v_fmac_f32_e32 v17, v20, v46
	;; [unrolled: 1-line block ×3, first 2 shown]
	s_delay_alu instid0(VALU_DEP_3) | instskip(SKIP_1) | instid1(VALU_DEP_4)
	v_fma_f32 v8, -v19, v47, v16
	v_add_nc_u32_e32 v5, -8, v3
	v_fma_f32 v16, -v21, v47, v17
	s_delay_alu instid0(VALU_DEP_4)
	v_fmac_f32_e32 v14, v20, v47
	s_waitcnt vmcnt(0)
	v_fmac_f32_e32 v8, v22, v48
	v_lshlrev_b64 v[30:31], 3, v[5:6]
	v_dual_fmac_f32 v16, v24, v48 :: v_dual_add_nc_u32 v5, 2, v38
	v_fmac_f32_e32 v14, v25, v48
	s_delay_alu instid0(VALU_DEP_4) | instskip(NEXT) | instid1(VALU_DEP_3)
	v_fma_f32 v8, -v23, v49, v8
	v_lshlrev_b64 v[26:27], 3, v[5:6]
	v_add_co_u32 v28, vcc_lo, s8, v30
	v_add_co_ci_u32_e32 v29, vcc_lo, s9, v31, vcc_lo
	v_add_nc_u32_e32 v5, -6, v3
	s_delay_alu instid0(VALU_DEP_4) | instskip(SKIP_1) | instid1(VALU_DEP_3)
	v_add_co_u32 v32, vcc_lo, s10, v26
	v_add_co_ci_u32_e32 v33, vcc_lo, s11, v27, vcc_lo
	v_lshlrev_b64 v[30:31], 3, v[5:6]
	v_dual_fmac_f32 v14, v24, v49 :: v_dual_add_nc_u32 v5, 3, v38
	global_load_b128 v[26:29], v[28:29], off
	global_load_b64 v[50:51], v[32:33], off
	v_fma_f32 v16, -v25, v49, v16
	v_lshlrev_b64 v[34:35], 3, v[5:6]
	v_add_co_u32 v30, vcc_lo, s8, v30
	v_add_co_ci_u32_e32 v31, vcc_lo, s9, v31, vcc_lo
	s_delay_alu instid0(VALU_DEP_3) | instskip(NEXT) | instid1(VALU_DEP_4)
	v_add_co_u32 v34, vcc_lo, s10, v34
	v_add_co_ci_u32_e32 v35, vcc_lo, s11, v35, vcc_lo
	global_load_b64 v[52:53], v[34:35], off
	global_load_b128 v[30:33], v[30:31], off
	s_waitcnt vmcnt(2)
	v_dual_fmac_f32 v8, v26, v50 :: v_dual_add_nc_u32 v5, -4, v3
	s_delay_alu instid0(VALU_DEP_1) | instskip(SKIP_4) | instid1(VALU_DEP_4)
	v_lshlrev_b64 v[36:37], 3, v[5:6]
	v_fmac_f32_e32 v14, v29, v50
	v_add_nc_u32_e32 v5, 4, v38
	v_fmac_f32_e32 v16, v28, v50
	v_fma_f32 v8, -v27, v51, v8
	v_fmac_f32_e32 v14, v28, v51
	s_delay_alu instid0(VALU_DEP_4) | instskip(SKIP_3) | instid1(VALU_DEP_3)
	v_lshlrev_b64 v[39:40], 3, v[5:6]
	v_add_nc_u32_e32 v5, -2, v3
	v_add_co_u32 v34, vcc_lo, s8, v36
	v_add_co_ci_u32_e32 v35, vcc_lo, s9, v37, vcc_lo
	v_lshlrev_b64 v[44:45], 3, v[5:6]
	s_waitcnt vmcnt(0)
	v_dual_fmac_f32 v8, v30, v52 :: v_dual_add_nc_u32 v5, 5, v38
	v_add_co_u32 v39, vcc_lo, s10, v39
	v_add_co_ci_u32_e32 v40, vcc_lo, s11, v40, vcc_lo
	s_delay_alu instid0(VALU_DEP_3)
	v_lshlrev_b64 v[54:55], 3, v[5:6]
	global_load_b128 v[34:37], v[34:35], off
	v_fma_f32 v16, -v29, v51, v16
	global_load_b64 v[56:57], v[39:40], off
	v_add_nc_u32_e32 v5, 6, v38
	v_add_co_u32 v38, vcc_lo, s8, v44
	v_fmac_f32_e32 v16, v32, v52
	v_add_co_ci_u32_e32 v39, vcc_lo, s9, v45, vcc_lo
	v_add_co_u32 v44, vcc_lo, s10, v54
	v_add_co_ci_u32_e32 v45, vcc_lo, s11, v55, vcc_lo
	global_load_b128 v[38:41], v[38:39], off
	global_load_b64 v[54:55], v[44:45], off
	v_lshlrev_b64 v[4:5], 3, v[5:6]
	v_dual_fmac_f32 v13, v19, v46 :: v_dual_fmac_f32 v14, v33, v52
	v_fma_f32 v16, -v33, v53, v16
	v_fma_f32 v8, -v31, v53, v8
	v_add_nc_u32_e32 v3, 0xe0, v3
	v_add_co_u32 v4, vcc_lo, s10, v4
	v_add_co_ci_u32_e32 v5, vcc_lo, s11, v5, vcc_lo
	global_load_b128 v[42:45], v[42:43], off
	global_load_b64 v[4:5], v[4:5], off
	v_dual_fmac_f32 v13, v18, v47 :: v_dual_fmac_f32 v14, v32, v53
	v_cmp_ge_i32_e32 vcc_lo, v7, v15
	s_or_b32 s5, vcc_lo, s5
	s_waitcnt vmcnt(4)
	s_delay_alu instid0(VALU_DEP_2) | instskip(SKIP_3) | instid1(VALU_DEP_4)
	v_fmac_f32_e32 v14, v37, v56
	v_fmac_f32_e32 v13, v23, v48
	;; [unrolled: 1-line block ×5, first 2 shown]
	s_delay_alu instid0(VALU_DEP_4) | instskip(NEXT) | instid1(VALU_DEP_4)
	v_fmac_f32_e32 v13, v22, v49
	v_fma_f32 v16, -v37, v57, v16
	s_delay_alu instid0(VALU_DEP_4) | instskip(SKIP_3) | instid1(VALU_DEP_3)
	v_fma_f32 v8, -v35, v57, v8
	s_waitcnt vmcnt(2)
	v_fmac_f32_e32 v14, v41, v54
	v_fmac_f32_e32 v13, v27, v50
	;; [unrolled: 1-line block ×4, first 2 shown]
	s_delay_alu instid0(VALU_DEP_4) | instskip(NEXT) | instid1(VALU_DEP_4)
	v_fmac_f32_e32 v14, v40, v55
	v_fmac_f32_e32 v13, v26, v51
	s_delay_alu instid0(VALU_DEP_4) | instskip(NEXT) | instid1(VALU_DEP_4)
	v_fma_f32 v8, -v39, v55, v8
	v_fma_f32 v17, -v41, v55, v16
	s_delay_alu instid0(VALU_DEP_3) | instskip(SKIP_2) | instid1(VALU_DEP_3)
	v_fmac_f32_e32 v13, v31, v52
	s_waitcnt vmcnt(0)
	v_fmac_f32_e32 v14, v45, v4
	v_fmac_f32_e32 v17, v44, v4
	;; [unrolled: 1-line block ×4, first 2 shown]
	s_delay_alu instid0(VALU_DEP_4) | instskip(NEXT) | instid1(VALU_DEP_4)
	v_fmac_f32_e32 v14, v44, v5
	v_fma_f32 v17, -v45, v5, v17
	s_delay_alu instid0(VALU_DEP_4) | instskip(NEXT) | instid1(VALU_DEP_4)
	v_fma_f32 v16, -v43, v5, v8
	v_fmac_f32_e32 v13, v35, v56
	s_delay_alu instid0(VALU_DEP_1) | instskip(NEXT) | instid1(VALU_DEP_1)
	v_fmac_f32_e32 v13, v34, v57
	v_fmac_f32_e32 v13, v39, v54
	s_delay_alu instid0(VALU_DEP_1) | instskip(NEXT) | instid1(VALU_DEP_1)
	v_fmac_f32_e32 v13, v38, v55
	v_fmac_f32_e32 v13, v43, v4
	s_delay_alu instid0(VALU_DEP_1)
	v_fmac_f32_e32 v13, v42, v5
	s_and_not1_b32 exec_lo, exec_lo, s5
	s_cbranch_execnz .LBB179_12
; %bb.13:
	s_or_b32 exec_lo, exec_lo, s5
.LBB179_14:
	s_delay_alu instid0(SALU_CYCLE_1) | instskip(NEXT) | instid1(SALU_CYCLE_1)
	s_or_b32 exec_lo, exec_lo, s4
	s_and_not1_b32 vcc_lo, exec_lo, s3
	s_cbranch_vccz .LBB179_19
	s_branch .LBB179_24
.LBB179_15:
	v_dual_mov_b32 v1, s4 :: v_dual_mov_b32 v2, s5
	flat_load_b32 v9, v[1:2]
	v_cndmask_b32_e64 v1, 0, 1, s6
	v_mov_b32_e32 v10, s5
	s_and_not1_b32 vcc_lo, exec_lo, s6
	s_cbranch_vccnz .LBB179_2
.LBB179_16:
	v_dual_mov_b32 v2, s4 :: v_dual_mov_b32 v3, s5
	flat_load_b32 v10, v[2:3] offset:4
	v_cmp_ne_u32_e32 vcc_lo, 1, v1
	v_mov_b32_e32 v11, s2
	s_cbranch_vccnz .LBB179_3
.LBB179_17:
	v_dual_mov_b32 v2, s2 :: v_dual_mov_b32 v3, s3
	flat_load_b32 v11, v[2:3]
	v_cmp_ne_u32_e32 vcc_lo, 1, v1
	v_mov_b32_e32 v12, s3
	s_cbranch_vccz .LBB179_4
	s_branch .LBB179_5
.LBB179_18:
                                        ; implicit-def: $vgpr13
                                        ; implicit-def: $vgpr16
                                        ; implicit-def: $vgpr17
                                        ; implicit-def: $vgpr14
.LBB179_19:
	v_dual_mov_b32 v13, 0 :: v_dual_mov_b32 v16, 0
	v_dual_mov_b32 v17, 0 :: v_dual_mov_b32 v14, 0
	s_delay_alu instid0(VALU_DEP_3)
	s_and_saveexec_b32 s3, s2
	s_cbranch_execz .LBB179_23
; %bb.20:
	v_mad_u64_u32 v[4:5], null, v2, 14, 13
	v_dual_mov_b32 v7, 0 :: v_dual_mov_b32 v16, 0
	v_dual_mov_b32 v13, 0 :: v_dual_mov_b32 v14, 0
	v_mov_b32_e32 v17, 0
	s_mov_b32 s2, 0
.LBB179_21:                             ; =>This Inner Loop Header: Depth=1
	v_ashrrev_i32_e32 v3, 31, v2
	v_dual_mov_b32 v19, v7 :: v_dual_add_nc_u32 v18, -6, v4
	v_mov_b32_e32 v23, v7
	s_delay_alu instid0(VALU_DEP_3) | instskip(SKIP_1) | instid1(VALU_DEP_4)
	v_lshlrev_b64 v[5:6], 2, v[2:3]
	v_add_nc_u32_e32 v2, 16, v2
	v_lshlrev_b64 v[18:19], 3, v[18:19]
	s_delay_alu instid0(VALU_DEP_3) | instskip(NEXT) | instid1(VALU_DEP_4)
	v_add_co_u32 v5, vcc_lo, s6, v5
	v_add_co_ci_u32_e32 v6, vcc_lo, s7, v6, vcc_lo
	global_load_b32 v3, v[5:6], off
	v_add_nc_u32_e32 v6, -13, v4
	s_delay_alu instid0(VALU_DEP_1) | instskip(NEXT) | instid1(VALU_DEP_1)
	v_lshlrev_b64 v[20:21], 3, v[6:7]
	v_add_co_u32 v20, vcc_lo, s8, v20
	s_delay_alu instid0(VALU_DEP_2) | instskip(SKIP_4) | instid1(VALU_DEP_1)
	v_add_co_ci_u32_e32 v21, vcc_lo, s9, v21, vcc_lo
	v_add_co_u32 v24, vcc_lo, s8, v18
	v_add_co_ci_u32_e32 v25, vcc_lo, s9, v19, vcc_lo
	s_waitcnt vmcnt(0)
	v_subrev_nc_u32_e32 v3, s12, v3
	v_mul_lo_u32 v22, v3, 7
	v_mov_b32_e32 v5, v7
	s_delay_alu instid0(VALU_DEP_1) | instskip(NEXT) | instid1(VALU_DEP_3)
	v_lshlrev_b64 v[5:6], 3, v[4:5]
	v_lshlrev_b64 v[28:29], 3, v[22:23]
	s_delay_alu instid0(VALU_DEP_2) | instskip(NEXT) | instid1(VALU_DEP_3)
	v_add_co_u32 v5, vcc_lo, s8, v5
	v_add_co_ci_u32_e32 v6, vcc_lo, s9, v6, vcc_lo
	s_delay_alu instid0(VALU_DEP_3) | instskip(NEXT) | instid1(VALU_DEP_4)
	v_add_co_u32 v28, vcc_lo, s10, v28
	v_add_co_ci_u32_e32 v29, vcc_lo, s11, v29, vcc_lo
	s_clause 0x2
	global_load_b128 v[18:21], v[20:21], off
	global_load_b64 v[24:25], v[24:25], off
	global_load_b64 v[26:27], v[5:6], off
	v_add_nc_u32_e32 v6, 1, v22
	global_load_b64 v[28:29], v[28:29], off
	v_lshlrev_b64 v[30:31], 3, v[6:7]
	s_delay_alu instid0(VALU_DEP_1) | instskip(NEXT) | instid1(VALU_DEP_2)
	v_add_co_u32 v30, vcc_lo, s10, v30
	v_add_co_ci_u32_e32 v31, vcc_lo, s11, v31, vcc_lo
	global_load_b64 v[30:31], v[30:31], off
	s_waitcnt vmcnt(1)
	v_fmac_f32_e32 v14, v25, v28
	v_fmac_f32_e32 v16, v18, v28
	;; [unrolled: 1-line block ×4, first 2 shown]
	s_delay_alu instid0(VALU_DEP_4) | instskip(NEXT) | instid1(VALU_DEP_3)
	v_fmac_f32_e32 v14, v24, v29
	v_dual_fmac_f32 v13, v18, v29 :: v_dual_add_nc_u32 v6, -5, v4
	v_fma_f32 v3, -v19, v29, v16
	s_delay_alu instid0(VALU_DEP_4) | instskip(NEXT) | instid1(VALU_DEP_3)
	v_fma_f32 v8, -v25, v29, v17
	v_lshlrev_b64 v[32:33], 3, v[6:7]
	s_waitcnt vmcnt(0)
	s_delay_alu instid0(VALU_DEP_3) | instskip(NEXT) | instid1(VALU_DEP_1)
	v_dual_fmac_f32 v3, v20, v30 :: v_dual_add_nc_u32 v6, -11, v4
	v_lshlrev_b64 v[34:35], 3, v[6:7]
	v_add_nc_u32_e32 v6, 2, v22
	s_delay_alu instid0(VALU_DEP_4) | instskip(SKIP_1) | instid1(VALU_DEP_3)
	v_add_co_u32 v32, vcc_lo, s8, v32
	v_add_co_ci_u32_e32 v33, vcc_lo, s9, v33, vcc_lo
	v_lshlrev_b64 v[36:37], 3, v[6:7]
	v_add_co_u32 v34, vcc_lo, s8, v34
	v_add_co_ci_u32_e32 v35, vcc_lo, s9, v35, vcc_lo
	global_load_b64 v[32:33], v[32:33], off
	v_add_co_u32 v36, vcc_lo, s10, v36
	global_load_b64 v[34:35], v[34:35], off
	v_add_co_ci_u32_e32 v37, vcc_lo, s11, v37, vcc_lo
	v_dual_fmac_f32 v13, v21, v30 :: v_dual_add_nc_u32 v6, -4, v4
	v_fma_f32 v3, -v21, v31, v3
	global_load_b64 v[36:37], v[36:37], off
	v_lshlrev_b64 v[38:39], 3, v[6:7]
	v_dual_fmac_f32 v13, v20, v31 :: v_dual_add_nc_u32 v6, -10, v4
	s_delay_alu instid0(VALU_DEP_1) | instskip(SKIP_1) | instid1(VALU_DEP_4)
	v_lshlrev_b64 v[40:41], 3, v[6:7]
	v_add_nc_u32_e32 v6, 3, v22
	v_add_co_u32 v38, vcc_lo, s8, v38
	v_add_co_ci_u32_e32 v39, vcc_lo, s9, v39, vcc_lo
	s_delay_alu instid0(VALU_DEP_4)
	v_add_co_u32 v40, vcc_lo, s8, v40
	v_add_co_ci_u32_e32 v41, vcc_lo, s9, v41, vcc_lo
	s_clause 0x1
	global_load_b64 v[38:39], v[38:39], off
	global_load_b64 v[40:41], v[40:41], off
	s_waitcnt vmcnt(2)
	v_dual_fmac_f32 v8, v32, v30 :: v_dual_fmac_f32 v13, v35, v36
	v_fmac_f32_e32 v3, v34, v36
	v_lshlrev_b64 v[42:43], 3, v[6:7]
	v_add_nc_u32_e32 v6, -3, v4
	s_delay_alu instid0(VALU_DEP_4)
	v_fma_f32 v8, -v33, v31, v8
	v_fmac_f32_e32 v13, v34, v37
	v_fma_f32 v3, -v35, v37, v3
	v_add_co_u32 v42, vcc_lo, s10, v42
	v_add_co_ci_u32_e32 v43, vcc_lo, s11, v43, vcc_lo
	v_lshlrev_b64 v[44:45], 3, v[6:7]
	global_load_b64 v[42:43], v[42:43], off
	v_add_nc_u32_e32 v6, -9, v4
	v_add_co_u32 v44, vcc_lo, s8, v44
	v_add_co_ci_u32_e32 v45, vcc_lo, s9, v45, vcc_lo
	s_waitcnt vmcnt(2)
	v_fmac_f32_e32 v8, v38, v36
	global_load_b64 v[44:45], v[44:45], off
	v_fma_f32 v8, -v39, v37, v8
	s_waitcnt vmcnt(1)
	v_fmac_f32_e32 v3, v40, v42
	v_lshlrev_b64 v[46:47], 3, v[6:7]
	v_fmac_f32_e32 v13, v41, v42
	v_add_nc_u32_e32 v6, 4, v22
	s_delay_alu instid0(VALU_DEP_4) | instskip(NEXT) | instid1(VALU_DEP_3)
	v_fma_f32 v3, -v41, v43, v3
	v_fmac_f32_e32 v13, v40, v43
	s_delay_alu instid0(VALU_DEP_3) | instskip(SKIP_2) | instid1(VALU_DEP_3)
	v_lshlrev_b64 v[48:49], 3, v[6:7]
	v_add_co_u32 v46, vcc_lo, s8, v46
	v_add_co_ci_u32_e32 v47, vcc_lo, s9, v47, vcc_lo
	v_add_co_u32 v48, vcc_lo, s10, v48
	s_delay_alu instid0(VALU_DEP_4)
	v_add_co_ci_u32_e32 v49, vcc_lo, s11, v49, vcc_lo
	global_load_b64 v[46:47], v[46:47], off
	s_waitcnt vmcnt(1)
	v_fmac_f32_e32 v8, v44, v42
	global_load_b64 v[48:49], v[48:49], off
	v_fmac_f32_e32 v14, v33, v30
	v_fma_f32 v8, -v45, v43, v8
	s_waitcnt vmcnt(0)
	s_delay_alu instid0(VALU_DEP_2) | instskip(SKIP_2) | instid1(VALU_DEP_3)
	v_dual_fmac_f32 v3, v46, v48 :: v_dual_fmac_f32 v14, v32, v31
	v_fmac_f32_e32 v13, v47, v48
	v_add_nc_u32_e32 v6, -2, v4
	v_fma_f32 v3, -v47, v49, v3
	s_delay_alu instid0(VALU_DEP_3) | instskip(NEXT) | instid1(VALU_DEP_3)
	v_dual_fmac_f32 v14, v39, v36 :: v_dual_fmac_f32 v13, v46, v49
	v_lshlrev_b64 v[50:51], 3, v[6:7]
	v_add_nc_u32_e32 v6, -8, v4
	s_delay_alu instid0(VALU_DEP_3) | instskip(NEXT) | instid1(VALU_DEP_2)
	v_fmac_f32_e32 v14, v38, v37
	v_lshlrev_b64 v[52:53], 3, v[6:7]
	s_delay_alu instid0(VALU_DEP_4) | instskip(SKIP_1) | instid1(VALU_DEP_4)
	v_add_co_u32 v50, vcc_lo, s8, v50
	v_add_co_ci_u32_e32 v51, vcc_lo, s9, v51, vcc_lo
	v_fmac_f32_e32 v14, v45, v42
	s_delay_alu instid0(VALU_DEP_4)
	v_add_co_u32 v52, vcc_lo, s8, v52
	v_add_co_ci_u32_e32 v53, vcc_lo, s9, v53, vcc_lo
	global_load_b64 v[50:51], v[50:51], off
	v_fmac_f32_e32 v14, v44, v43
	global_load_b64 v[52:53], v[52:53], off
	v_add_nc_u32_e32 v6, 5, v22
	s_delay_alu instid0(VALU_DEP_1) | instskip(NEXT) | instid1(VALU_DEP_1)
	v_lshlrev_b64 v[54:55], 3, v[6:7]
	v_add_co_u32 v54, vcc_lo, s10, v54
	s_delay_alu instid0(VALU_DEP_2)
	v_add_co_ci_u32_e32 v55, vcc_lo, s11, v55, vcc_lo
	global_load_b64 v[54:55], v[54:55], off
	v_add_nc_u32_e32 v6, -1, v4
	s_waitcnt vmcnt(2)
	v_fmac_f32_e32 v8, v50, v48
	v_fmac_f32_e32 v14, v51, v48
	s_delay_alu instid0(VALU_DEP_2) | instskip(SKIP_1) | instid1(VALU_DEP_2)
	v_fma_f32 v8, -v51, v49, v8
	s_waitcnt vmcnt(0)
	v_dual_fmac_f32 v14, v50, v49 :: v_dual_fmac_f32 v13, v53, v54
	v_fmac_f32_e32 v3, v52, v54
	v_lshlrev_b64 v[56:57], 3, v[6:7]
	s_delay_alu instid0(VALU_DEP_3) | instskip(NEXT) | instid1(VALU_DEP_3)
	v_fmac_f32_e32 v13, v52, v55
	v_fma_f32 v3, -v53, v55, v3
	v_add_nc_u32_e32 v6, -7, v4
	v_add_nc_u32_e32 v4, 0xe0, v4
	s_delay_alu instid0(VALU_DEP_2) | instskip(SKIP_3) | instid1(VALU_DEP_3)
	v_lshlrev_b64 v[58:59], 3, v[6:7]
	v_add_nc_u32_e32 v6, 6, v22
	v_add_co_u32 v22, vcc_lo, s8, v56
	v_add_co_ci_u32_e32 v23, vcc_lo, s9, v57, vcc_lo
	v_lshlrev_b64 v[5:6], 3, v[6:7]
	v_add_co_u32 v56, vcc_lo, s8, v58
	global_load_b64 v[22:23], v[22:23], off
	v_add_co_ci_u32_e32 v57, vcc_lo, s9, v59, vcc_lo
	v_add_co_u32 v5, vcc_lo, s10, v5
	v_add_co_ci_u32_e32 v6, vcc_lo, s11, v6, vcc_lo
	global_load_b64 v[56:57], v[56:57], off
	global_load_b64 v[5:6], v[5:6], off
	v_cmp_ge_i32_e32 vcc_lo, v2, v15
	s_or_b32 s2, vcc_lo, s2
	s_waitcnt vmcnt(2)
	v_fmac_f32_e32 v8, v22, v54
	v_fmac_f32_e32 v14, v23, v54
	s_delay_alu instid0(VALU_DEP_2) | instskip(SKIP_1) | instid1(VALU_DEP_2)
	v_fma_f32 v8, -v23, v55, v8
	s_waitcnt vmcnt(0)
	v_dual_fmac_f32 v14, v22, v55 :: v_dual_fmac_f32 v13, v57, v5
	v_fmac_f32_e32 v3, v56, v5
	s_delay_alu instid0(VALU_DEP_3) | instskip(NEXT) | instid1(VALU_DEP_3)
	v_fmac_f32_e32 v8, v26, v5
	v_dual_fmac_f32 v14, v27, v5 :: v_dual_fmac_f32 v13, v56, v6
	s_delay_alu instid0(VALU_DEP_3) | instskip(NEXT) | instid1(VALU_DEP_3)
	v_fma_f32 v16, -v57, v6, v3
	v_fma_f32 v17, -v27, v6, v8
	s_delay_alu instid0(VALU_DEP_3)
	v_fmac_f32_e32 v14, v26, v6
	s_and_not1_b32 exec_lo, exec_lo, s2
	s_cbranch_execnz .LBB179_21
; %bb.22:
	s_or_b32 exec_lo, exec_lo, s2
.LBB179_23:
	s_delay_alu instid0(SALU_CYCLE_1)
	s_or_b32 exec_lo, exec_lo, s3
.LBB179_24:
	v_mbcnt_lo_u32_b32 v2, -1, 0
	s_delay_alu instid0(VALU_DEP_1) | instskip(SKIP_2) | instid1(VALU_DEP_3)
	v_xor_b32_e32 v3, 8, v2
	v_xor_b32_e32 v7, 4, v2
	;; [unrolled: 1-line block ×3, first 2 shown]
	v_cmp_gt_i32_e32 vcc_lo, 32, v3
	v_cndmask_b32_e32 v3, v2, v3, vcc_lo
	s_delay_alu instid0(VALU_DEP_4) | instskip(NEXT) | instid1(VALU_DEP_2)
	v_cmp_gt_i32_e32 vcc_lo, 32, v7
	v_lshlrev_b32_e32 v3, 2, v3
	ds_bpermute_b32 v6, v3, v17
	s_waitcnt lgkmcnt(0)
	v_add_f32_e32 v6, v17, v6
	ds_bpermute_b32 v4, v3, v16
	ds_bpermute_b32 v5, v3, v13
	;; [unrolled: 1-line block ×3, first 2 shown]
	s_waitcnt lgkmcnt(2)
	v_dual_add_f32 v4, v16, v4 :: v_dual_cndmask_b32 v7, v2, v7
	s_waitcnt lgkmcnt(0)
	v_add_f32_e32 v3, v14, v3
	v_add_f32_e32 v5, v13, v5
	v_cmp_gt_i32_e32 vcc_lo, 32, v15
	v_lshlrev_b32_e32 v7, 2, v7
	v_cndmask_b32_e32 v15, v2, v15, vcc_lo
	ds_bpermute_b32 v14, v7, v6
	s_waitcnt lgkmcnt(0)
	v_add_f32_e32 v6, v6, v14
	ds_bpermute_b32 v8, v7, v4
	ds_bpermute_b32 v13, v7, v5
	;; [unrolled: 1-line block ×3, first 2 shown]
	s_waitcnt lgkmcnt(2)
	v_dual_add_f32 v4, v4, v8 :: v_dual_lshlrev_b32 v15, 2, v15
	s_waitcnt lgkmcnt(0)
	v_add_f32_e32 v3, v3, v7
	ds_bpermute_b32 v7, v15, v4
	v_add_f32_e32 v5, v5, v13
	ds_bpermute_b32 v13, v15, v6
	ds_bpermute_b32 v14, v15, v3
	s_waitcnt lgkmcnt(2)
	v_add_f32_e32 v4, v4, v7
	ds_bpermute_b32 v8, v15, v5
	v_xor_b32_e32 v15, 1, v2
	s_waitcnt lgkmcnt(1)
	v_add_f32_e32 v3, v3, v14
	s_delay_alu instid0(VALU_DEP_2) | instskip(SKIP_2) | instid1(VALU_DEP_2)
	v_cmp_gt_i32_e32 vcc_lo, 32, v15
	v_cndmask_b32_e32 v2, v2, v15, vcc_lo
	v_cmp_eq_u32_e32 vcc_lo, 15, v0
	v_dual_add_f32 v2, v6, v13 :: v_dual_lshlrev_b32 v15, 2, v2
	s_waitcnt lgkmcnt(0)
	v_add_f32_e32 v5, v5, v8
	ds_bpermute_b32 v8, v15, v4
	ds_bpermute_b32 v6, v15, v2
	;; [unrolled: 1-line block ×4, first 2 shown]
	s_and_b32 exec_lo, exec_lo, vcc_lo
	s_cbranch_execz .LBB179_29
; %bb.25:
	s_load_b64 s[2:3], s[0:1], 0x38
	v_cmp_eq_f32_e32 vcc_lo, 0, v11
	v_cmp_eq_f32_e64 s0, 0, v12
	s_waitcnt lgkmcnt(0)
	v_dual_add_f32 v0, v4, v8 :: v_dual_add_f32 v3, v3, v7
	v_add_f32_e32 v4, v5, v13
	v_add_f32_e32 v2, v2, v6
	s_and_b32 s0, vcc_lo, s0
	s_delay_alu instid0(SALU_CYCLE_1) | instskip(NEXT) | instid1(SALU_CYCLE_1)
	s_and_saveexec_b32 s1, s0
	s_xor_b32 s0, exec_lo, s1
	s_cbranch_execz .LBB179_27
; %bb.26:
	v_mul_f32_e64 v5, v4, -v10
	v_mul_f32_e32 v6, v4, v9
	v_mul_f32_e64 v7, v3, -v10
	v_mul_f32_e32 v8, v3, v9
                                        ; implicit-def: $vgpr4
                                        ; implicit-def: $vgpr3
	s_delay_alu instid0(VALU_DEP_4) | instskip(NEXT) | instid1(VALU_DEP_4)
	v_fmac_f32_e32 v5, v9, v0
	v_dual_fmac_f32 v6, v10, v0 :: v_dual_lshlrev_b32 v11, 1, v1
	s_delay_alu instid0(VALU_DEP_4) | instskip(NEXT) | instid1(VALU_DEP_4)
	v_fmac_f32_e32 v7, v9, v2
	v_fmac_f32_e32 v8, v10, v2
                                        ; implicit-def: $vgpr9
                                        ; implicit-def: $vgpr10
                                        ; implicit-def: $vgpr2
	s_delay_alu instid0(VALU_DEP_3) | instskip(NEXT) | instid1(VALU_DEP_1)
	v_ashrrev_i32_e32 v12, 31, v11
	v_lshlrev_b64 v[11:12], 3, v[11:12]
	s_delay_alu instid0(VALU_DEP_1) | instskip(NEXT) | instid1(VALU_DEP_2)
	v_add_co_u32 v0, vcc_lo, s2, v11
	v_add_co_ci_u32_e32 v1, vcc_lo, s3, v12, vcc_lo
                                        ; implicit-def: $vgpr11
                                        ; implicit-def: $vgpr12
	global_store_b128 v[0:1], v[5:8], off
                                        ; implicit-def: $vgpr1
                                        ; implicit-def: $vgpr0
.LBB179_27:
	s_and_not1_saveexec_b32 s0, s0
	s_cbranch_execz .LBB179_29
; %bb.28:
	v_lshlrev_b32_e32 v5, 1, v1
	v_mul_f32_e64 v15, v4, -v10
	v_mul_f32_e32 v1, v4, v9
	v_mul_f32_e64 v4, v3, -v10
	v_mul_f32_e32 v3, v3, v9
	s_delay_alu instid0(VALU_DEP_4) | instskip(NEXT) | instid1(VALU_DEP_3)
	v_fmac_f32_e32 v15, v9, v0
	v_fmac_f32_e32 v4, v9, v2
	v_ashrrev_i32_e32 v6, 31, v5
	s_delay_alu instid0(VALU_DEP_4) | instskip(NEXT) | instid1(VALU_DEP_2)
	v_fmac_f32_e32 v3, v10, v2
	v_lshlrev_b64 v[5:6], 3, v[5:6]
	s_delay_alu instid0(VALU_DEP_1) | instskip(NEXT) | instid1(VALU_DEP_2)
	v_add_co_u32 v13, vcc_lo, s2, v5
	v_add_co_ci_u32_e32 v14, vcc_lo, s3, v6, vcc_lo
	global_load_b128 v[5:8], v[13:14], off
	s_waitcnt vmcnt(0)
	v_dual_fmac_f32 v4, v11, v7 :: v_dual_fmac_f32 v1, v10, v0
	v_fmac_f32_e32 v15, v11, v5
	v_fmac_f32_e32 v3, v12, v7
	s_delay_alu instid0(VALU_DEP_3) | instskip(NEXT) | instid1(VALU_DEP_4)
	v_fma_f32 v2, -v12, v8, v4
	v_fmac_f32_e32 v1, v12, v5
	s_delay_alu instid0(VALU_DEP_4) | instskip(NEXT) | instid1(VALU_DEP_4)
	v_fma_f32 v0, -v12, v6, v15
	v_fmac_f32_e32 v3, v11, v8
	s_delay_alu instid0(VALU_DEP_3)
	v_fmac_f32_e32 v1, v11, v6
	global_store_b128 v[13:14], v[0:3], off
.LBB179_29:
	s_nop 0
	s_sendmsg sendmsg(MSG_DEALLOC_VGPRS)
	s_endpgm
	.section	.rodata,"a",@progbits
	.p2align	6, 0x0
	.amdhsa_kernel _ZN9rocsparseL19gebsrmvn_2xn_kernelILj128ELj7ELj16E21rocsparse_complex_numIfEEEvi20rocsparse_direction_NS_24const_host_device_scalarIT2_EEPKiS8_PKS5_SA_S6_PS5_21rocsparse_index_base_b
		.amdhsa_group_segment_fixed_size 0
		.amdhsa_private_segment_fixed_size 0
		.amdhsa_kernarg_size 72
		.amdhsa_user_sgpr_count 15
		.amdhsa_user_sgpr_dispatch_ptr 0
		.amdhsa_user_sgpr_queue_ptr 0
		.amdhsa_user_sgpr_kernarg_segment_ptr 1
		.amdhsa_user_sgpr_dispatch_id 0
		.amdhsa_user_sgpr_private_segment_size 0
		.amdhsa_wavefront_size32 1
		.amdhsa_uses_dynamic_stack 0
		.amdhsa_enable_private_segment 0
		.amdhsa_system_sgpr_workgroup_id_x 1
		.amdhsa_system_sgpr_workgroup_id_y 0
		.amdhsa_system_sgpr_workgroup_id_z 0
		.amdhsa_system_sgpr_workgroup_info 0
		.amdhsa_system_vgpr_workitem_id 0
		.amdhsa_next_free_vgpr 60
		.amdhsa_next_free_sgpr 16
		.amdhsa_reserve_vcc 1
		.amdhsa_float_round_mode_32 0
		.amdhsa_float_round_mode_16_64 0
		.amdhsa_float_denorm_mode_32 3
		.amdhsa_float_denorm_mode_16_64 3
		.amdhsa_dx10_clamp 1
		.amdhsa_ieee_mode 1
		.amdhsa_fp16_overflow 0
		.amdhsa_workgroup_processor_mode 1
		.amdhsa_memory_ordered 1
		.amdhsa_forward_progress 0
		.amdhsa_shared_vgpr_count 0
		.amdhsa_exception_fp_ieee_invalid_op 0
		.amdhsa_exception_fp_denorm_src 0
		.amdhsa_exception_fp_ieee_div_zero 0
		.amdhsa_exception_fp_ieee_overflow 0
		.amdhsa_exception_fp_ieee_underflow 0
		.amdhsa_exception_fp_ieee_inexact 0
		.amdhsa_exception_int_div_zero 0
	.end_amdhsa_kernel
	.section	.text._ZN9rocsparseL19gebsrmvn_2xn_kernelILj128ELj7ELj16E21rocsparse_complex_numIfEEEvi20rocsparse_direction_NS_24const_host_device_scalarIT2_EEPKiS8_PKS5_SA_S6_PS5_21rocsparse_index_base_b,"axG",@progbits,_ZN9rocsparseL19gebsrmvn_2xn_kernelILj128ELj7ELj16E21rocsparse_complex_numIfEEEvi20rocsparse_direction_NS_24const_host_device_scalarIT2_EEPKiS8_PKS5_SA_S6_PS5_21rocsparse_index_base_b,comdat
.Lfunc_end179:
	.size	_ZN9rocsparseL19gebsrmvn_2xn_kernelILj128ELj7ELj16E21rocsparse_complex_numIfEEEvi20rocsparse_direction_NS_24const_host_device_scalarIT2_EEPKiS8_PKS5_SA_S6_PS5_21rocsparse_index_base_b, .Lfunc_end179-_ZN9rocsparseL19gebsrmvn_2xn_kernelILj128ELj7ELj16E21rocsparse_complex_numIfEEEvi20rocsparse_direction_NS_24const_host_device_scalarIT2_EEPKiS8_PKS5_SA_S6_PS5_21rocsparse_index_base_b
                                        ; -- End function
	.section	.AMDGPU.csdata,"",@progbits
; Kernel info:
; codeLenInByte = 3340
; NumSgprs: 18
; NumVgprs: 60
; ScratchSize: 0
; MemoryBound: 0
; FloatMode: 240
; IeeeMode: 1
; LDSByteSize: 0 bytes/workgroup (compile time only)
; SGPRBlocks: 2
; VGPRBlocks: 7
; NumSGPRsForWavesPerEU: 18
; NumVGPRsForWavesPerEU: 60
; Occupancy: 16
; WaveLimiterHint : 1
; COMPUTE_PGM_RSRC2:SCRATCH_EN: 0
; COMPUTE_PGM_RSRC2:USER_SGPR: 15
; COMPUTE_PGM_RSRC2:TRAP_HANDLER: 0
; COMPUTE_PGM_RSRC2:TGID_X_EN: 1
; COMPUTE_PGM_RSRC2:TGID_Y_EN: 0
; COMPUTE_PGM_RSRC2:TGID_Z_EN: 0
; COMPUTE_PGM_RSRC2:TIDIG_COMP_CNT: 0
	.section	.text._ZN9rocsparseL19gebsrmvn_2xn_kernelILj128ELj7ELj32E21rocsparse_complex_numIfEEEvi20rocsparse_direction_NS_24const_host_device_scalarIT2_EEPKiS8_PKS5_SA_S6_PS5_21rocsparse_index_base_b,"axG",@progbits,_ZN9rocsparseL19gebsrmvn_2xn_kernelILj128ELj7ELj32E21rocsparse_complex_numIfEEEvi20rocsparse_direction_NS_24const_host_device_scalarIT2_EEPKiS8_PKS5_SA_S6_PS5_21rocsparse_index_base_b,comdat
	.globl	_ZN9rocsparseL19gebsrmvn_2xn_kernelILj128ELj7ELj32E21rocsparse_complex_numIfEEEvi20rocsparse_direction_NS_24const_host_device_scalarIT2_EEPKiS8_PKS5_SA_S6_PS5_21rocsparse_index_base_b ; -- Begin function _ZN9rocsparseL19gebsrmvn_2xn_kernelILj128ELj7ELj32E21rocsparse_complex_numIfEEEvi20rocsparse_direction_NS_24const_host_device_scalarIT2_EEPKiS8_PKS5_SA_S6_PS5_21rocsparse_index_base_b
	.p2align	8
	.type	_ZN9rocsparseL19gebsrmvn_2xn_kernelILj128ELj7ELj32E21rocsparse_complex_numIfEEEvi20rocsparse_direction_NS_24const_host_device_scalarIT2_EEPKiS8_PKS5_SA_S6_PS5_21rocsparse_index_base_b,@function
_ZN9rocsparseL19gebsrmvn_2xn_kernelILj128ELj7ELj32E21rocsparse_complex_numIfEEEvi20rocsparse_direction_NS_24const_host_device_scalarIT2_EEPKiS8_PKS5_SA_S6_PS5_21rocsparse_index_base_b: ; @_ZN9rocsparseL19gebsrmvn_2xn_kernelILj128ELj7ELj32E21rocsparse_complex_numIfEEEvi20rocsparse_direction_NS_24const_host_device_scalarIT2_EEPKiS8_PKS5_SA_S6_PS5_21rocsparse_index_base_b
; %bb.0:
	s_clause 0x2
	s_load_b64 s[12:13], s[0:1], 0x40
	s_load_b64 s[4:5], s[0:1], 0x8
	;; [unrolled: 1-line block ×3, first 2 shown]
	s_waitcnt lgkmcnt(0)
	s_bitcmp1_b32 s13, 0
	v_mov_b32_e32 v9, s4
	s_cselect_b32 s6, -1, 0
	s_delay_alu instid0(SALU_CYCLE_1)
	s_and_b32 vcc_lo, exec_lo, s6
	s_xor_b32 s6, s6, -1
	s_cbranch_vccz .LBB180_15
; %bb.1:
	v_cndmask_b32_e64 v1, 0, 1, s6
	v_mov_b32_e32 v10, s5
	s_and_not1_b32 vcc_lo, exec_lo, s6
	s_cbranch_vccz .LBB180_16
.LBB180_2:
	s_delay_alu instid0(VALU_DEP_2)
	v_cmp_ne_u32_e32 vcc_lo, 1, v1
	v_mov_b32_e32 v11, s2
	s_cbranch_vccz .LBB180_17
.LBB180_3:
	v_cmp_ne_u32_e32 vcc_lo, 1, v1
	v_mov_b32_e32 v12, s3
	s_cbranch_vccnz .LBB180_5
.LBB180_4:
	v_dual_mov_b32 v1, s2 :: v_dual_mov_b32 v2, s3
	flat_load_b32 v12, v[1:2] offset:4
.LBB180_5:
	s_waitcnt vmcnt(0) lgkmcnt(0)
	v_cmp_eq_f32_e32 vcc_lo, 0, v9
	v_cmp_eq_f32_e64 s2, 0, v10
	s_delay_alu instid0(VALU_DEP_1)
	s_and_b32 s4, vcc_lo, s2
	s_mov_b32 s2, -1
	s_and_saveexec_b32 s3, s4
; %bb.6:
	v_cmp_neq_f32_e32 vcc_lo, 1.0, v11
	v_cmp_neq_f32_e64 s2, 0, v12
	s_delay_alu instid0(VALU_DEP_1) | instskip(NEXT) | instid1(SALU_CYCLE_1)
	s_or_b32 s2, vcc_lo, s2
	s_or_not1_b32 s2, s2, exec_lo
; %bb.7:
	s_or_b32 exec_lo, exec_lo, s3
	s_and_saveexec_b32 s3, s2
	s_cbranch_execz .LBB180_29
; %bb.8:
	s_load_b64 s[2:3], s[0:1], 0x0
	v_lshrrev_b32_e32 v1, 5, v0
	s_delay_alu instid0(VALU_DEP_1) | instskip(SKIP_1) | instid1(VALU_DEP_1)
	v_lshl_or_b32 v1, s15, 2, v1
	s_waitcnt lgkmcnt(0)
	v_cmp_gt_i32_e32 vcc_lo, s2, v1
	s_and_b32 exec_lo, exec_lo, vcc_lo
	s_cbranch_execz .LBB180_29
; %bb.9:
	s_load_b256 s[4:11], s[0:1], 0x10
	v_ashrrev_i32_e32 v2, 31, v1
	v_and_b32_e32 v0, 31, v0
	s_cmp_lg_u32 s3, 0
	s_delay_alu instid0(VALU_DEP_2) | instskip(SKIP_1) | instid1(VALU_DEP_1)
	v_lshlrev_b64 v[2:3], 2, v[1:2]
	s_waitcnt lgkmcnt(0)
	v_add_co_u32 v2, vcc_lo, s4, v2
	s_delay_alu instid0(VALU_DEP_2) | instskip(SKIP_4) | instid1(VALU_DEP_2)
	v_add_co_ci_u32_e32 v3, vcc_lo, s5, v3, vcc_lo
	global_load_b64 v[2:3], v[2:3], off
	s_waitcnt vmcnt(0)
	v_subrev_nc_u32_e32 v2, s12, v2
	v_subrev_nc_u32_e32 v15, s12, v3
	v_add_nc_u32_e32 v2, v2, v0
	s_delay_alu instid0(VALU_DEP_1)
	v_cmp_lt_i32_e64 s2, v2, v15
	s_cbranch_scc0 .LBB180_18
; %bb.10:
	v_dual_mov_b32 v13, 0 :: v_dual_mov_b32 v16, 0
	v_dual_mov_b32 v17, 0 :: v_dual_mov_b32 v14, 0
	s_mov_b32 s3, 0
	s_and_saveexec_b32 s4, s2
	s_cbranch_execz .LBB180_14
; %bb.11:
	v_mad_u64_u32 v[3:4], null, v2, 14, 12
	v_dual_mov_b32 v6, 0 :: v_dual_mov_b32 v7, v2
	v_dual_mov_b32 v13, 0 :: v_dual_mov_b32 v16, 0
	v_dual_mov_b32 v17, 0 :: v_dual_mov_b32 v14, 0
	s_mov_b32 s5, 0
.LBB180_12:                             ; =>This Inner Loop Header: Depth=1
	s_delay_alu instid0(VALU_DEP_3) | instskip(NEXT) | instid1(VALU_DEP_1)
	v_ashrrev_i32_e32 v8, 31, v7
	v_lshlrev_b64 v[4:5], 2, v[7:8]
	v_add_nc_u32_e32 v7, 32, v7
	s_delay_alu instid0(VALU_DEP_2) | instskip(NEXT) | instid1(VALU_DEP_3)
	v_add_co_u32 v4, vcc_lo, s6, v4
	v_add_co_ci_u32_e32 v5, vcc_lo, s7, v5, vcc_lo
	global_load_b32 v8, v[4:5], off
	v_dual_mov_b32 v4, v6 :: v_dual_add_nc_u32 v5, -12, v3
	s_delay_alu instid0(VALU_DEP_1) | instskip(SKIP_1) | instid1(VALU_DEP_3)
	v_lshlrev_b64 v[18:19], 3, v[5:6]
	v_add_nc_u32_e32 v5, -10, v3
	v_lshlrev_b64 v[20:21], 3, v[3:4]
	s_delay_alu instid0(VALU_DEP_2) | instskip(NEXT) | instid1(VALU_DEP_4)
	v_lshlrev_b64 v[4:5], 3, v[5:6]
	v_add_co_u32 v18, vcc_lo, s8, v18
	v_add_co_ci_u32_e32 v19, vcc_lo, s9, v19, vcc_lo
	s_delay_alu instid0(VALU_DEP_4)
	v_add_co_u32 v42, vcc_lo, s8, v20
	v_add_co_ci_u32_e32 v43, vcc_lo, s9, v21, vcc_lo
	v_add_co_u32 v4, vcc_lo, s8, v4
	v_add_co_ci_u32_e32 v5, vcc_lo, s9, v5, vcc_lo
	s_clause 0x1
	global_load_b128 v[18:21], v[18:19], off
	global_load_b128 v[22:25], v[4:5], off
	v_mov_b32_e32 v39, v6
	s_waitcnt vmcnt(2)
	v_subrev_nc_u32_e32 v4, s12, v8
	s_delay_alu instid0(VALU_DEP_1) | instskip(NEXT) | instid1(VALU_DEP_1)
	v_mul_lo_u32 v38, v4, 7
	v_lshlrev_b64 v[26:27], 3, v[38:39]
	s_delay_alu instid0(VALU_DEP_1) | instskip(NEXT) | instid1(VALU_DEP_2)
	v_add_co_u32 v26, vcc_lo, s10, v26
	v_add_co_ci_u32_e32 v27, vcc_lo, s11, v27, vcc_lo
	global_load_b64 v[46:47], v[26:27], off
	v_add_nc_u32_e32 v5, 1, v38
	s_delay_alu instid0(VALU_DEP_1) | instskip(NEXT) | instid1(VALU_DEP_1)
	v_lshlrev_b64 v[28:29], 3, v[5:6]
	v_add_co_u32 v28, vcc_lo, s10, v28
	s_delay_alu instid0(VALU_DEP_2)
	v_add_co_ci_u32_e32 v29, vcc_lo, s11, v29, vcc_lo
	global_load_b64 v[48:49], v[28:29], off
	s_waitcnt vmcnt(1)
	v_fmac_f32_e32 v16, v18, v46
	v_fmac_f32_e32 v17, v20, v46
	;; [unrolled: 1-line block ×3, first 2 shown]
	s_delay_alu instid0(VALU_DEP_3) | instskip(SKIP_1) | instid1(VALU_DEP_4)
	v_fma_f32 v8, -v19, v47, v16
	v_add_nc_u32_e32 v5, -8, v3
	v_fma_f32 v16, -v21, v47, v17
	s_delay_alu instid0(VALU_DEP_4)
	v_fmac_f32_e32 v14, v20, v47
	s_waitcnt vmcnt(0)
	v_fmac_f32_e32 v8, v22, v48
	v_lshlrev_b64 v[30:31], 3, v[5:6]
	v_dual_fmac_f32 v16, v24, v48 :: v_dual_add_nc_u32 v5, 2, v38
	v_fmac_f32_e32 v14, v25, v48
	s_delay_alu instid0(VALU_DEP_4) | instskip(NEXT) | instid1(VALU_DEP_3)
	v_fma_f32 v8, -v23, v49, v8
	v_lshlrev_b64 v[26:27], 3, v[5:6]
	v_add_co_u32 v28, vcc_lo, s8, v30
	v_add_co_ci_u32_e32 v29, vcc_lo, s9, v31, vcc_lo
	v_add_nc_u32_e32 v5, -6, v3
	s_delay_alu instid0(VALU_DEP_4) | instskip(SKIP_1) | instid1(VALU_DEP_3)
	v_add_co_u32 v32, vcc_lo, s10, v26
	v_add_co_ci_u32_e32 v33, vcc_lo, s11, v27, vcc_lo
	v_lshlrev_b64 v[30:31], 3, v[5:6]
	v_dual_fmac_f32 v14, v24, v49 :: v_dual_add_nc_u32 v5, 3, v38
	global_load_b128 v[26:29], v[28:29], off
	global_load_b64 v[50:51], v[32:33], off
	v_fma_f32 v16, -v25, v49, v16
	v_lshlrev_b64 v[34:35], 3, v[5:6]
	v_add_co_u32 v30, vcc_lo, s8, v30
	v_add_co_ci_u32_e32 v31, vcc_lo, s9, v31, vcc_lo
	s_delay_alu instid0(VALU_DEP_3) | instskip(NEXT) | instid1(VALU_DEP_4)
	v_add_co_u32 v34, vcc_lo, s10, v34
	v_add_co_ci_u32_e32 v35, vcc_lo, s11, v35, vcc_lo
	global_load_b64 v[52:53], v[34:35], off
	global_load_b128 v[30:33], v[30:31], off
	s_waitcnt vmcnt(2)
	v_dual_fmac_f32 v8, v26, v50 :: v_dual_add_nc_u32 v5, -4, v3
	s_delay_alu instid0(VALU_DEP_1) | instskip(SKIP_4) | instid1(VALU_DEP_4)
	v_lshlrev_b64 v[36:37], 3, v[5:6]
	v_fmac_f32_e32 v14, v29, v50
	v_add_nc_u32_e32 v5, 4, v38
	v_fmac_f32_e32 v16, v28, v50
	v_fma_f32 v8, -v27, v51, v8
	v_fmac_f32_e32 v14, v28, v51
	s_delay_alu instid0(VALU_DEP_4) | instskip(SKIP_3) | instid1(VALU_DEP_3)
	v_lshlrev_b64 v[39:40], 3, v[5:6]
	v_add_nc_u32_e32 v5, -2, v3
	v_add_co_u32 v34, vcc_lo, s8, v36
	v_add_co_ci_u32_e32 v35, vcc_lo, s9, v37, vcc_lo
	v_lshlrev_b64 v[44:45], 3, v[5:6]
	s_waitcnt vmcnt(0)
	v_dual_fmac_f32 v8, v30, v52 :: v_dual_add_nc_u32 v5, 5, v38
	v_add_co_u32 v39, vcc_lo, s10, v39
	v_add_co_ci_u32_e32 v40, vcc_lo, s11, v40, vcc_lo
	s_delay_alu instid0(VALU_DEP_3)
	v_lshlrev_b64 v[54:55], 3, v[5:6]
	global_load_b128 v[34:37], v[34:35], off
	v_fma_f32 v16, -v29, v51, v16
	global_load_b64 v[56:57], v[39:40], off
	v_add_nc_u32_e32 v5, 6, v38
	v_add_co_u32 v38, vcc_lo, s8, v44
	v_fmac_f32_e32 v16, v32, v52
	v_add_co_ci_u32_e32 v39, vcc_lo, s9, v45, vcc_lo
	v_add_co_u32 v44, vcc_lo, s10, v54
	v_add_co_ci_u32_e32 v45, vcc_lo, s11, v55, vcc_lo
	global_load_b128 v[38:41], v[38:39], off
	global_load_b64 v[54:55], v[44:45], off
	v_lshlrev_b64 v[4:5], 3, v[5:6]
	v_dual_fmac_f32 v13, v19, v46 :: v_dual_fmac_f32 v14, v33, v52
	v_fma_f32 v16, -v33, v53, v16
	v_fma_f32 v8, -v31, v53, v8
	v_add_nc_u32_e32 v3, 0x1c0, v3
	v_add_co_u32 v4, vcc_lo, s10, v4
	v_add_co_ci_u32_e32 v5, vcc_lo, s11, v5, vcc_lo
	global_load_b128 v[42:45], v[42:43], off
	global_load_b64 v[4:5], v[4:5], off
	v_dual_fmac_f32 v13, v18, v47 :: v_dual_fmac_f32 v14, v32, v53
	v_cmp_ge_i32_e32 vcc_lo, v7, v15
	s_or_b32 s5, vcc_lo, s5
	s_waitcnt vmcnt(4)
	s_delay_alu instid0(VALU_DEP_2) | instskip(SKIP_3) | instid1(VALU_DEP_4)
	v_fmac_f32_e32 v14, v37, v56
	v_fmac_f32_e32 v13, v23, v48
	v_fmac_f32_e32 v16, v36, v56
	v_fmac_f32_e32 v8, v34, v56
	v_fmac_f32_e32 v14, v36, v57
	s_delay_alu instid0(VALU_DEP_4) | instskip(NEXT) | instid1(VALU_DEP_4)
	v_fmac_f32_e32 v13, v22, v49
	v_fma_f32 v16, -v37, v57, v16
	s_delay_alu instid0(VALU_DEP_4) | instskip(SKIP_3) | instid1(VALU_DEP_3)
	v_fma_f32 v8, -v35, v57, v8
	s_waitcnt vmcnt(2)
	v_fmac_f32_e32 v14, v41, v54
	v_fmac_f32_e32 v13, v27, v50
	;; [unrolled: 1-line block ×4, first 2 shown]
	s_delay_alu instid0(VALU_DEP_4) | instskip(NEXT) | instid1(VALU_DEP_4)
	v_fmac_f32_e32 v14, v40, v55
	v_fmac_f32_e32 v13, v26, v51
	s_delay_alu instid0(VALU_DEP_4) | instskip(NEXT) | instid1(VALU_DEP_4)
	v_fma_f32 v8, -v39, v55, v8
	v_fma_f32 v17, -v41, v55, v16
	s_delay_alu instid0(VALU_DEP_3) | instskip(SKIP_2) | instid1(VALU_DEP_3)
	v_fmac_f32_e32 v13, v31, v52
	s_waitcnt vmcnt(0)
	v_fmac_f32_e32 v14, v45, v4
	v_fmac_f32_e32 v17, v44, v4
	;; [unrolled: 1-line block ×4, first 2 shown]
	s_delay_alu instid0(VALU_DEP_4) | instskip(NEXT) | instid1(VALU_DEP_4)
	v_fmac_f32_e32 v14, v44, v5
	v_fma_f32 v17, -v45, v5, v17
	s_delay_alu instid0(VALU_DEP_4) | instskip(NEXT) | instid1(VALU_DEP_4)
	v_fma_f32 v16, -v43, v5, v8
	v_fmac_f32_e32 v13, v35, v56
	s_delay_alu instid0(VALU_DEP_1) | instskip(NEXT) | instid1(VALU_DEP_1)
	v_fmac_f32_e32 v13, v34, v57
	v_fmac_f32_e32 v13, v39, v54
	s_delay_alu instid0(VALU_DEP_1) | instskip(NEXT) | instid1(VALU_DEP_1)
	v_fmac_f32_e32 v13, v38, v55
	v_fmac_f32_e32 v13, v43, v4
	s_delay_alu instid0(VALU_DEP_1)
	v_fmac_f32_e32 v13, v42, v5
	s_and_not1_b32 exec_lo, exec_lo, s5
	s_cbranch_execnz .LBB180_12
; %bb.13:
	s_or_b32 exec_lo, exec_lo, s5
.LBB180_14:
	s_delay_alu instid0(SALU_CYCLE_1) | instskip(NEXT) | instid1(SALU_CYCLE_1)
	s_or_b32 exec_lo, exec_lo, s4
	s_and_not1_b32 vcc_lo, exec_lo, s3
	s_cbranch_vccz .LBB180_19
	s_branch .LBB180_24
.LBB180_15:
	v_dual_mov_b32 v1, s4 :: v_dual_mov_b32 v2, s5
	flat_load_b32 v9, v[1:2]
	v_cndmask_b32_e64 v1, 0, 1, s6
	v_mov_b32_e32 v10, s5
	s_and_not1_b32 vcc_lo, exec_lo, s6
	s_cbranch_vccnz .LBB180_2
.LBB180_16:
	v_dual_mov_b32 v2, s4 :: v_dual_mov_b32 v3, s5
	flat_load_b32 v10, v[2:3] offset:4
	v_cmp_ne_u32_e32 vcc_lo, 1, v1
	v_mov_b32_e32 v11, s2
	s_cbranch_vccnz .LBB180_3
.LBB180_17:
	v_dual_mov_b32 v2, s2 :: v_dual_mov_b32 v3, s3
	flat_load_b32 v11, v[2:3]
	v_cmp_ne_u32_e32 vcc_lo, 1, v1
	v_mov_b32_e32 v12, s3
	s_cbranch_vccz .LBB180_4
	s_branch .LBB180_5
.LBB180_18:
                                        ; implicit-def: $vgpr13
                                        ; implicit-def: $vgpr16
                                        ; implicit-def: $vgpr17
                                        ; implicit-def: $vgpr14
.LBB180_19:
	v_dual_mov_b32 v13, 0 :: v_dual_mov_b32 v16, 0
	v_dual_mov_b32 v17, 0 :: v_dual_mov_b32 v14, 0
	s_delay_alu instid0(VALU_DEP_3)
	s_and_saveexec_b32 s3, s2
	s_cbranch_execz .LBB180_23
; %bb.20:
	v_mad_u64_u32 v[4:5], null, v2, 14, 13
	v_dual_mov_b32 v7, 0 :: v_dual_mov_b32 v16, 0
	v_dual_mov_b32 v13, 0 :: v_dual_mov_b32 v14, 0
	v_mov_b32_e32 v17, 0
	s_mov_b32 s2, 0
.LBB180_21:                             ; =>This Inner Loop Header: Depth=1
	v_ashrrev_i32_e32 v3, 31, v2
	v_dual_mov_b32 v19, v7 :: v_dual_add_nc_u32 v18, -6, v4
	v_mov_b32_e32 v23, v7
	s_delay_alu instid0(VALU_DEP_3) | instskip(SKIP_1) | instid1(VALU_DEP_4)
	v_lshlrev_b64 v[5:6], 2, v[2:3]
	v_add_nc_u32_e32 v2, 32, v2
	v_lshlrev_b64 v[18:19], 3, v[18:19]
	s_delay_alu instid0(VALU_DEP_3) | instskip(NEXT) | instid1(VALU_DEP_4)
	v_add_co_u32 v5, vcc_lo, s6, v5
	v_add_co_ci_u32_e32 v6, vcc_lo, s7, v6, vcc_lo
	global_load_b32 v3, v[5:6], off
	v_add_nc_u32_e32 v6, -13, v4
	s_delay_alu instid0(VALU_DEP_1) | instskip(NEXT) | instid1(VALU_DEP_1)
	v_lshlrev_b64 v[20:21], 3, v[6:7]
	v_add_co_u32 v20, vcc_lo, s8, v20
	s_delay_alu instid0(VALU_DEP_2) | instskip(SKIP_4) | instid1(VALU_DEP_1)
	v_add_co_ci_u32_e32 v21, vcc_lo, s9, v21, vcc_lo
	v_add_co_u32 v24, vcc_lo, s8, v18
	v_add_co_ci_u32_e32 v25, vcc_lo, s9, v19, vcc_lo
	s_waitcnt vmcnt(0)
	v_subrev_nc_u32_e32 v3, s12, v3
	v_mul_lo_u32 v22, v3, 7
	v_mov_b32_e32 v5, v7
	s_delay_alu instid0(VALU_DEP_1) | instskip(NEXT) | instid1(VALU_DEP_3)
	v_lshlrev_b64 v[5:6], 3, v[4:5]
	v_lshlrev_b64 v[28:29], 3, v[22:23]
	s_delay_alu instid0(VALU_DEP_2) | instskip(NEXT) | instid1(VALU_DEP_3)
	v_add_co_u32 v5, vcc_lo, s8, v5
	v_add_co_ci_u32_e32 v6, vcc_lo, s9, v6, vcc_lo
	s_delay_alu instid0(VALU_DEP_3) | instskip(NEXT) | instid1(VALU_DEP_4)
	v_add_co_u32 v28, vcc_lo, s10, v28
	v_add_co_ci_u32_e32 v29, vcc_lo, s11, v29, vcc_lo
	s_clause 0x2
	global_load_b128 v[18:21], v[20:21], off
	global_load_b64 v[24:25], v[24:25], off
	global_load_b64 v[26:27], v[5:6], off
	v_add_nc_u32_e32 v6, 1, v22
	global_load_b64 v[28:29], v[28:29], off
	v_lshlrev_b64 v[30:31], 3, v[6:7]
	s_delay_alu instid0(VALU_DEP_1) | instskip(NEXT) | instid1(VALU_DEP_2)
	v_add_co_u32 v30, vcc_lo, s10, v30
	v_add_co_ci_u32_e32 v31, vcc_lo, s11, v31, vcc_lo
	global_load_b64 v[30:31], v[30:31], off
	s_waitcnt vmcnt(1)
	v_fmac_f32_e32 v14, v25, v28
	v_fmac_f32_e32 v16, v18, v28
	;; [unrolled: 1-line block ×4, first 2 shown]
	s_delay_alu instid0(VALU_DEP_4) | instskip(NEXT) | instid1(VALU_DEP_3)
	v_fmac_f32_e32 v14, v24, v29
	v_dual_fmac_f32 v13, v18, v29 :: v_dual_add_nc_u32 v6, -5, v4
	v_fma_f32 v3, -v19, v29, v16
	s_delay_alu instid0(VALU_DEP_4) | instskip(NEXT) | instid1(VALU_DEP_3)
	v_fma_f32 v8, -v25, v29, v17
	v_lshlrev_b64 v[32:33], 3, v[6:7]
	s_waitcnt vmcnt(0)
	s_delay_alu instid0(VALU_DEP_3) | instskip(NEXT) | instid1(VALU_DEP_1)
	v_dual_fmac_f32 v3, v20, v30 :: v_dual_add_nc_u32 v6, -11, v4
	v_lshlrev_b64 v[34:35], 3, v[6:7]
	v_add_nc_u32_e32 v6, 2, v22
	s_delay_alu instid0(VALU_DEP_4) | instskip(SKIP_1) | instid1(VALU_DEP_3)
	v_add_co_u32 v32, vcc_lo, s8, v32
	v_add_co_ci_u32_e32 v33, vcc_lo, s9, v33, vcc_lo
	v_lshlrev_b64 v[36:37], 3, v[6:7]
	v_add_co_u32 v34, vcc_lo, s8, v34
	v_add_co_ci_u32_e32 v35, vcc_lo, s9, v35, vcc_lo
	global_load_b64 v[32:33], v[32:33], off
	v_add_co_u32 v36, vcc_lo, s10, v36
	global_load_b64 v[34:35], v[34:35], off
	v_add_co_ci_u32_e32 v37, vcc_lo, s11, v37, vcc_lo
	v_dual_fmac_f32 v13, v21, v30 :: v_dual_add_nc_u32 v6, -4, v4
	v_fma_f32 v3, -v21, v31, v3
	global_load_b64 v[36:37], v[36:37], off
	v_lshlrev_b64 v[38:39], 3, v[6:7]
	v_dual_fmac_f32 v13, v20, v31 :: v_dual_add_nc_u32 v6, -10, v4
	s_delay_alu instid0(VALU_DEP_1) | instskip(SKIP_1) | instid1(VALU_DEP_4)
	v_lshlrev_b64 v[40:41], 3, v[6:7]
	v_add_nc_u32_e32 v6, 3, v22
	v_add_co_u32 v38, vcc_lo, s8, v38
	v_add_co_ci_u32_e32 v39, vcc_lo, s9, v39, vcc_lo
	s_delay_alu instid0(VALU_DEP_4)
	v_add_co_u32 v40, vcc_lo, s8, v40
	v_add_co_ci_u32_e32 v41, vcc_lo, s9, v41, vcc_lo
	s_clause 0x1
	global_load_b64 v[38:39], v[38:39], off
	global_load_b64 v[40:41], v[40:41], off
	s_waitcnt vmcnt(2)
	v_dual_fmac_f32 v8, v32, v30 :: v_dual_fmac_f32 v13, v35, v36
	v_fmac_f32_e32 v3, v34, v36
	v_lshlrev_b64 v[42:43], 3, v[6:7]
	v_add_nc_u32_e32 v6, -3, v4
	s_delay_alu instid0(VALU_DEP_4)
	v_fma_f32 v8, -v33, v31, v8
	v_fmac_f32_e32 v13, v34, v37
	v_fma_f32 v3, -v35, v37, v3
	v_add_co_u32 v42, vcc_lo, s10, v42
	v_add_co_ci_u32_e32 v43, vcc_lo, s11, v43, vcc_lo
	v_lshlrev_b64 v[44:45], 3, v[6:7]
	global_load_b64 v[42:43], v[42:43], off
	v_add_nc_u32_e32 v6, -9, v4
	v_add_co_u32 v44, vcc_lo, s8, v44
	v_add_co_ci_u32_e32 v45, vcc_lo, s9, v45, vcc_lo
	s_waitcnt vmcnt(2)
	v_fmac_f32_e32 v8, v38, v36
	global_load_b64 v[44:45], v[44:45], off
	v_fma_f32 v8, -v39, v37, v8
	s_waitcnt vmcnt(1)
	v_fmac_f32_e32 v3, v40, v42
	v_lshlrev_b64 v[46:47], 3, v[6:7]
	v_fmac_f32_e32 v13, v41, v42
	v_add_nc_u32_e32 v6, 4, v22
	s_delay_alu instid0(VALU_DEP_4) | instskip(NEXT) | instid1(VALU_DEP_3)
	v_fma_f32 v3, -v41, v43, v3
	v_fmac_f32_e32 v13, v40, v43
	s_delay_alu instid0(VALU_DEP_3) | instskip(SKIP_2) | instid1(VALU_DEP_3)
	v_lshlrev_b64 v[48:49], 3, v[6:7]
	v_add_co_u32 v46, vcc_lo, s8, v46
	v_add_co_ci_u32_e32 v47, vcc_lo, s9, v47, vcc_lo
	v_add_co_u32 v48, vcc_lo, s10, v48
	s_delay_alu instid0(VALU_DEP_4)
	v_add_co_ci_u32_e32 v49, vcc_lo, s11, v49, vcc_lo
	global_load_b64 v[46:47], v[46:47], off
	s_waitcnt vmcnt(1)
	v_fmac_f32_e32 v8, v44, v42
	global_load_b64 v[48:49], v[48:49], off
	v_fmac_f32_e32 v14, v33, v30
	v_fma_f32 v8, -v45, v43, v8
	s_waitcnt vmcnt(0)
	s_delay_alu instid0(VALU_DEP_2) | instskip(SKIP_2) | instid1(VALU_DEP_3)
	v_dual_fmac_f32 v3, v46, v48 :: v_dual_fmac_f32 v14, v32, v31
	v_fmac_f32_e32 v13, v47, v48
	v_add_nc_u32_e32 v6, -2, v4
	v_fma_f32 v3, -v47, v49, v3
	s_delay_alu instid0(VALU_DEP_3) | instskip(NEXT) | instid1(VALU_DEP_3)
	v_dual_fmac_f32 v14, v39, v36 :: v_dual_fmac_f32 v13, v46, v49
	v_lshlrev_b64 v[50:51], 3, v[6:7]
	v_add_nc_u32_e32 v6, -8, v4
	s_delay_alu instid0(VALU_DEP_3) | instskip(NEXT) | instid1(VALU_DEP_2)
	v_fmac_f32_e32 v14, v38, v37
	v_lshlrev_b64 v[52:53], 3, v[6:7]
	s_delay_alu instid0(VALU_DEP_4) | instskip(SKIP_1) | instid1(VALU_DEP_4)
	v_add_co_u32 v50, vcc_lo, s8, v50
	v_add_co_ci_u32_e32 v51, vcc_lo, s9, v51, vcc_lo
	v_fmac_f32_e32 v14, v45, v42
	s_delay_alu instid0(VALU_DEP_4)
	v_add_co_u32 v52, vcc_lo, s8, v52
	v_add_co_ci_u32_e32 v53, vcc_lo, s9, v53, vcc_lo
	global_load_b64 v[50:51], v[50:51], off
	v_fmac_f32_e32 v14, v44, v43
	global_load_b64 v[52:53], v[52:53], off
	v_add_nc_u32_e32 v6, 5, v22
	s_delay_alu instid0(VALU_DEP_1) | instskip(NEXT) | instid1(VALU_DEP_1)
	v_lshlrev_b64 v[54:55], 3, v[6:7]
	v_add_co_u32 v54, vcc_lo, s10, v54
	s_delay_alu instid0(VALU_DEP_2)
	v_add_co_ci_u32_e32 v55, vcc_lo, s11, v55, vcc_lo
	global_load_b64 v[54:55], v[54:55], off
	v_add_nc_u32_e32 v6, -1, v4
	s_waitcnt vmcnt(2)
	v_fmac_f32_e32 v8, v50, v48
	v_fmac_f32_e32 v14, v51, v48
	s_delay_alu instid0(VALU_DEP_2) | instskip(SKIP_1) | instid1(VALU_DEP_2)
	v_fma_f32 v8, -v51, v49, v8
	s_waitcnt vmcnt(0)
	v_dual_fmac_f32 v14, v50, v49 :: v_dual_fmac_f32 v13, v53, v54
	v_fmac_f32_e32 v3, v52, v54
	v_lshlrev_b64 v[56:57], 3, v[6:7]
	s_delay_alu instid0(VALU_DEP_3) | instskip(NEXT) | instid1(VALU_DEP_3)
	v_fmac_f32_e32 v13, v52, v55
	v_fma_f32 v3, -v53, v55, v3
	v_add_nc_u32_e32 v6, -7, v4
	v_add_nc_u32_e32 v4, 0x1c0, v4
	s_delay_alu instid0(VALU_DEP_2) | instskip(SKIP_3) | instid1(VALU_DEP_3)
	v_lshlrev_b64 v[58:59], 3, v[6:7]
	v_add_nc_u32_e32 v6, 6, v22
	v_add_co_u32 v22, vcc_lo, s8, v56
	v_add_co_ci_u32_e32 v23, vcc_lo, s9, v57, vcc_lo
	v_lshlrev_b64 v[5:6], 3, v[6:7]
	v_add_co_u32 v56, vcc_lo, s8, v58
	global_load_b64 v[22:23], v[22:23], off
	v_add_co_ci_u32_e32 v57, vcc_lo, s9, v59, vcc_lo
	v_add_co_u32 v5, vcc_lo, s10, v5
	v_add_co_ci_u32_e32 v6, vcc_lo, s11, v6, vcc_lo
	global_load_b64 v[56:57], v[56:57], off
	global_load_b64 v[5:6], v[5:6], off
	v_cmp_ge_i32_e32 vcc_lo, v2, v15
	s_or_b32 s2, vcc_lo, s2
	s_waitcnt vmcnt(2)
	v_fmac_f32_e32 v8, v22, v54
	v_fmac_f32_e32 v14, v23, v54
	s_delay_alu instid0(VALU_DEP_2) | instskip(SKIP_1) | instid1(VALU_DEP_2)
	v_fma_f32 v8, -v23, v55, v8
	s_waitcnt vmcnt(0)
	v_dual_fmac_f32 v14, v22, v55 :: v_dual_fmac_f32 v13, v57, v5
	v_fmac_f32_e32 v3, v56, v5
	s_delay_alu instid0(VALU_DEP_3) | instskip(NEXT) | instid1(VALU_DEP_3)
	v_fmac_f32_e32 v8, v26, v5
	v_dual_fmac_f32 v14, v27, v5 :: v_dual_fmac_f32 v13, v56, v6
	s_delay_alu instid0(VALU_DEP_3) | instskip(NEXT) | instid1(VALU_DEP_3)
	v_fma_f32 v16, -v57, v6, v3
	v_fma_f32 v17, -v27, v6, v8
	s_delay_alu instid0(VALU_DEP_3)
	v_fmac_f32_e32 v14, v26, v6
	s_and_not1_b32 exec_lo, exec_lo, s2
	s_cbranch_execnz .LBB180_21
; %bb.22:
	s_or_b32 exec_lo, exec_lo, s2
.LBB180_23:
	s_delay_alu instid0(SALU_CYCLE_1)
	s_or_b32 exec_lo, exec_lo, s3
.LBB180_24:
	v_mbcnt_lo_u32_b32 v2, -1, 0
	s_delay_alu instid0(VALU_DEP_1) | instskip(SKIP_2) | instid1(VALU_DEP_3)
	v_xor_b32_e32 v3, 16, v2
	v_xor_b32_e32 v7, 8, v2
	v_xor_b32_e32 v15, 4, v2
	v_cmp_gt_i32_e32 vcc_lo, 32, v3
	v_cndmask_b32_e32 v3, v2, v3, vcc_lo
	s_delay_alu instid0(VALU_DEP_4) | instskip(NEXT) | instid1(VALU_DEP_2)
	v_cmp_gt_i32_e32 vcc_lo, 32, v7
	v_lshlrev_b32_e32 v3, 2, v3
	ds_bpermute_b32 v6, v3, v17
	s_waitcnt lgkmcnt(0)
	v_add_f32_e32 v6, v17, v6
	ds_bpermute_b32 v4, v3, v16
	ds_bpermute_b32 v5, v3, v13
	ds_bpermute_b32 v3, v3, v14
	s_waitcnt lgkmcnt(2)
	v_dual_add_f32 v4, v16, v4 :: v_dual_cndmask_b32 v7, v2, v7
	s_waitcnt lgkmcnt(0)
	v_add_f32_e32 v3, v14, v3
	v_cmp_gt_i32_e32 vcc_lo, 32, v15
	s_delay_alu instid0(VALU_DEP_3)
	v_lshlrev_b32_e32 v7, 2, v7
	v_cndmask_b32_e32 v15, v2, v15, vcc_lo
	ds_bpermute_b32 v14, v7, v6
	s_waitcnt lgkmcnt(0)
	v_add_f32_e32 v6, v6, v14
	ds_bpermute_b32 v8, v7, v4
	s_waitcnt lgkmcnt(0)
	v_dual_add_f32 v4, v4, v8 :: v_dual_lshlrev_b32 v15, 2, v15
	v_add_f32_e32 v5, v13, v5
	ds_bpermute_b32 v13, v7, v5
	ds_bpermute_b32 v7, v7, v3
	s_waitcnt lgkmcnt(0)
	v_add_f32_e32 v3, v3, v7
	ds_bpermute_b32 v7, v15, v4
	s_waitcnt lgkmcnt(0)
	v_dual_add_f32 v4, v4, v7 :: v_dual_add_f32 v5, v5, v13
	ds_bpermute_b32 v13, v15, v6
	s_waitcnt lgkmcnt(0)
	v_add_f32_e32 v6, v6, v13
	ds_bpermute_b32 v8, v15, v5
	ds_bpermute_b32 v14, v15, v3
	v_xor_b32_e32 v15, 2, v2
	s_delay_alu instid0(VALU_DEP_1) | instskip(SKIP_1) | instid1(VALU_DEP_1)
	v_cmp_gt_i32_e32 vcc_lo, 32, v15
	v_cndmask_b32_e32 v15, v2, v15, vcc_lo
	v_lshlrev_b32_e32 v15, 2, v15
	s_waitcnt lgkmcnt(0)
	v_add_f32_e32 v3, v3, v14
	ds_bpermute_b32 v7, v15, v4
	v_add_f32_e32 v5, v5, v8
	ds_bpermute_b32 v13, v15, v6
	ds_bpermute_b32 v14, v15, v3
	s_waitcnt lgkmcnt(2)
	v_add_f32_e32 v4, v4, v7
	ds_bpermute_b32 v8, v15, v5
	v_xor_b32_e32 v15, 1, v2
	s_waitcnt lgkmcnt(1)
	v_add_f32_e32 v3, v3, v14
	s_delay_alu instid0(VALU_DEP_2) | instskip(SKIP_2) | instid1(VALU_DEP_2)
	v_cmp_gt_i32_e32 vcc_lo, 32, v15
	v_cndmask_b32_e32 v2, v2, v15, vcc_lo
	v_cmp_eq_u32_e32 vcc_lo, 31, v0
	v_dual_add_f32 v2, v6, v13 :: v_dual_lshlrev_b32 v15, 2, v2
	s_waitcnt lgkmcnt(0)
	v_add_f32_e32 v5, v5, v8
	ds_bpermute_b32 v8, v15, v4
	ds_bpermute_b32 v6, v15, v2
	;; [unrolled: 1-line block ×4, first 2 shown]
	s_and_b32 exec_lo, exec_lo, vcc_lo
	s_cbranch_execz .LBB180_29
; %bb.25:
	s_load_b64 s[2:3], s[0:1], 0x38
	v_cmp_eq_f32_e32 vcc_lo, 0, v11
	v_cmp_eq_f32_e64 s0, 0, v12
	s_waitcnt lgkmcnt(0)
	v_dual_add_f32 v0, v4, v8 :: v_dual_add_f32 v3, v3, v7
	v_add_f32_e32 v4, v5, v13
	v_add_f32_e32 v2, v2, v6
	s_and_b32 s0, vcc_lo, s0
	s_delay_alu instid0(SALU_CYCLE_1) | instskip(NEXT) | instid1(SALU_CYCLE_1)
	s_and_saveexec_b32 s1, s0
	s_xor_b32 s0, exec_lo, s1
	s_cbranch_execz .LBB180_27
; %bb.26:
	v_mul_f32_e64 v5, v4, -v10
	v_mul_f32_e32 v6, v4, v9
	v_mul_f32_e64 v7, v3, -v10
	v_mul_f32_e32 v8, v3, v9
                                        ; implicit-def: $vgpr4
                                        ; implicit-def: $vgpr3
	s_delay_alu instid0(VALU_DEP_4) | instskip(NEXT) | instid1(VALU_DEP_4)
	v_fmac_f32_e32 v5, v9, v0
	v_dual_fmac_f32 v6, v10, v0 :: v_dual_lshlrev_b32 v11, 1, v1
	s_delay_alu instid0(VALU_DEP_4) | instskip(NEXT) | instid1(VALU_DEP_4)
	v_fmac_f32_e32 v7, v9, v2
	v_fmac_f32_e32 v8, v10, v2
                                        ; implicit-def: $vgpr9
                                        ; implicit-def: $vgpr10
                                        ; implicit-def: $vgpr2
	s_delay_alu instid0(VALU_DEP_3) | instskip(NEXT) | instid1(VALU_DEP_1)
	v_ashrrev_i32_e32 v12, 31, v11
	v_lshlrev_b64 v[11:12], 3, v[11:12]
	s_delay_alu instid0(VALU_DEP_1) | instskip(NEXT) | instid1(VALU_DEP_2)
	v_add_co_u32 v0, vcc_lo, s2, v11
	v_add_co_ci_u32_e32 v1, vcc_lo, s3, v12, vcc_lo
                                        ; implicit-def: $vgpr11
                                        ; implicit-def: $vgpr12
	global_store_b128 v[0:1], v[5:8], off
                                        ; implicit-def: $vgpr1
                                        ; implicit-def: $vgpr0
.LBB180_27:
	s_and_not1_saveexec_b32 s0, s0
	s_cbranch_execz .LBB180_29
; %bb.28:
	v_lshlrev_b32_e32 v5, 1, v1
	v_mul_f32_e64 v15, v4, -v10
	v_mul_f32_e32 v1, v4, v9
	v_mul_f32_e64 v4, v3, -v10
	v_mul_f32_e32 v3, v3, v9
	s_delay_alu instid0(VALU_DEP_4) | instskip(NEXT) | instid1(VALU_DEP_3)
	v_fmac_f32_e32 v15, v9, v0
	v_fmac_f32_e32 v4, v9, v2
	v_ashrrev_i32_e32 v6, 31, v5
	s_delay_alu instid0(VALU_DEP_4) | instskip(NEXT) | instid1(VALU_DEP_2)
	v_fmac_f32_e32 v3, v10, v2
	v_lshlrev_b64 v[5:6], 3, v[5:6]
	s_delay_alu instid0(VALU_DEP_1) | instskip(NEXT) | instid1(VALU_DEP_2)
	v_add_co_u32 v13, vcc_lo, s2, v5
	v_add_co_ci_u32_e32 v14, vcc_lo, s3, v6, vcc_lo
	global_load_b128 v[5:8], v[13:14], off
	s_waitcnt vmcnt(0)
	v_dual_fmac_f32 v4, v11, v7 :: v_dual_fmac_f32 v1, v10, v0
	v_fmac_f32_e32 v15, v11, v5
	v_fmac_f32_e32 v3, v12, v7
	s_delay_alu instid0(VALU_DEP_3) | instskip(NEXT) | instid1(VALU_DEP_4)
	v_fma_f32 v2, -v12, v8, v4
	v_fmac_f32_e32 v1, v12, v5
	s_delay_alu instid0(VALU_DEP_4) | instskip(NEXT) | instid1(VALU_DEP_4)
	v_fma_f32 v0, -v12, v6, v15
	v_fmac_f32_e32 v3, v11, v8
	s_delay_alu instid0(VALU_DEP_3)
	v_fmac_f32_e32 v1, v11, v6
	global_store_b128 v[13:14], v[0:3], off
.LBB180_29:
	s_nop 0
	s_sendmsg sendmsg(MSG_DEALLOC_VGPRS)
	s_endpgm
	.section	.rodata,"a",@progbits
	.p2align	6, 0x0
	.amdhsa_kernel _ZN9rocsparseL19gebsrmvn_2xn_kernelILj128ELj7ELj32E21rocsparse_complex_numIfEEEvi20rocsparse_direction_NS_24const_host_device_scalarIT2_EEPKiS8_PKS5_SA_S6_PS5_21rocsparse_index_base_b
		.amdhsa_group_segment_fixed_size 0
		.amdhsa_private_segment_fixed_size 0
		.amdhsa_kernarg_size 72
		.amdhsa_user_sgpr_count 15
		.amdhsa_user_sgpr_dispatch_ptr 0
		.amdhsa_user_sgpr_queue_ptr 0
		.amdhsa_user_sgpr_kernarg_segment_ptr 1
		.amdhsa_user_sgpr_dispatch_id 0
		.amdhsa_user_sgpr_private_segment_size 0
		.amdhsa_wavefront_size32 1
		.amdhsa_uses_dynamic_stack 0
		.amdhsa_enable_private_segment 0
		.amdhsa_system_sgpr_workgroup_id_x 1
		.amdhsa_system_sgpr_workgroup_id_y 0
		.amdhsa_system_sgpr_workgroup_id_z 0
		.amdhsa_system_sgpr_workgroup_info 0
		.amdhsa_system_vgpr_workitem_id 0
		.amdhsa_next_free_vgpr 60
		.amdhsa_next_free_sgpr 16
		.amdhsa_reserve_vcc 1
		.amdhsa_float_round_mode_32 0
		.amdhsa_float_round_mode_16_64 0
		.amdhsa_float_denorm_mode_32 3
		.amdhsa_float_denorm_mode_16_64 3
		.amdhsa_dx10_clamp 1
		.amdhsa_ieee_mode 1
		.amdhsa_fp16_overflow 0
		.amdhsa_workgroup_processor_mode 1
		.amdhsa_memory_ordered 1
		.amdhsa_forward_progress 0
		.amdhsa_shared_vgpr_count 0
		.amdhsa_exception_fp_ieee_invalid_op 0
		.amdhsa_exception_fp_denorm_src 0
		.amdhsa_exception_fp_ieee_div_zero 0
		.amdhsa_exception_fp_ieee_overflow 0
		.amdhsa_exception_fp_ieee_underflow 0
		.amdhsa_exception_fp_ieee_inexact 0
		.amdhsa_exception_int_div_zero 0
	.end_amdhsa_kernel
	.section	.text._ZN9rocsparseL19gebsrmvn_2xn_kernelILj128ELj7ELj32E21rocsparse_complex_numIfEEEvi20rocsparse_direction_NS_24const_host_device_scalarIT2_EEPKiS8_PKS5_SA_S6_PS5_21rocsparse_index_base_b,"axG",@progbits,_ZN9rocsparseL19gebsrmvn_2xn_kernelILj128ELj7ELj32E21rocsparse_complex_numIfEEEvi20rocsparse_direction_NS_24const_host_device_scalarIT2_EEPKiS8_PKS5_SA_S6_PS5_21rocsparse_index_base_b,comdat
.Lfunc_end180:
	.size	_ZN9rocsparseL19gebsrmvn_2xn_kernelILj128ELj7ELj32E21rocsparse_complex_numIfEEEvi20rocsparse_direction_NS_24const_host_device_scalarIT2_EEPKiS8_PKS5_SA_S6_PS5_21rocsparse_index_base_b, .Lfunc_end180-_ZN9rocsparseL19gebsrmvn_2xn_kernelILj128ELj7ELj32E21rocsparse_complex_numIfEEEvi20rocsparse_direction_NS_24const_host_device_scalarIT2_EEPKiS8_PKS5_SA_S6_PS5_21rocsparse_index_base_b
                                        ; -- End function
	.section	.AMDGPU.csdata,"",@progbits
; Kernel info:
; codeLenInByte = 3424
; NumSgprs: 18
; NumVgprs: 60
; ScratchSize: 0
; MemoryBound: 0
; FloatMode: 240
; IeeeMode: 1
; LDSByteSize: 0 bytes/workgroup (compile time only)
; SGPRBlocks: 2
; VGPRBlocks: 7
; NumSGPRsForWavesPerEU: 18
; NumVGPRsForWavesPerEU: 60
; Occupancy: 16
; WaveLimiterHint : 1
; COMPUTE_PGM_RSRC2:SCRATCH_EN: 0
; COMPUTE_PGM_RSRC2:USER_SGPR: 15
; COMPUTE_PGM_RSRC2:TRAP_HANDLER: 0
; COMPUTE_PGM_RSRC2:TGID_X_EN: 1
; COMPUTE_PGM_RSRC2:TGID_Y_EN: 0
; COMPUTE_PGM_RSRC2:TGID_Z_EN: 0
; COMPUTE_PGM_RSRC2:TIDIG_COMP_CNT: 0
	.section	.text._ZN9rocsparseL19gebsrmvn_2xn_kernelILj128ELj7ELj64E21rocsparse_complex_numIfEEEvi20rocsparse_direction_NS_24const_host_device_scalarIT2_EEPKiS8_PKS5_SA_S6_PS5_21rocsparse_index_base_b,"axG",@progbits,_ZN9rocsparseL19gebsrmvn_2xn_kernelILj128ELj7ELj64E21rocsparse_complex_numIfEEEvi20rocsparse_direction_NS_24const_host_device_scalarIT2_EEPKiS8_PKS5_SA_S6_PS5_21rocsparse_index_base_b,comdat
	.globl	_ZN9rocsparseL19gebsrmvn_2xn_kernelILj128ELj7ELj64E21rocsparse_complex_numIfEEEvi20rocsparse_direction_NS_24const_host_device_scalarIT2_EEPKiS8_PKS5_SA_S6_PS5_21rocsparse_index_base_b ; -- Begin function _ZN9rocsparseL19gebsrmvn_2xn_kernelILj128ELj7ELj64E21rocsparse_complex_numIfEEEvi20rocsparse_direction_NS_24const_host_device_scalarIT2_EEPKiS8_PKS5_SA_S6_PS5_21rocsparse_index_base_b
	.p2align	8
	.type	_ZN9rocsparseL19gebsrmvn_2xn_kernelILj128ELj7ELj64E21rocsparse_complex_numIfEEEvi20rocsparse_direction_NS_24const_host_device_scalarIT2_EEPKiS8_PKS5_SA_S6_PS5_21rocsparse_index_base_b,@function
_ZN9rocsparseL19gebsrmvn_2xn_kernelILj128ELj7ELj64E21rocsparse_complex_numIfEEEvi20rocsparse_direction_NS_24const_host_device_scalarIT2_EEPKiS8_PKS5_SA_S6_PS5_21rocsparse_index_base_b: ; @_ZN9rocsparseL19gebsrmvn_2xn_kernelILj128ELj7ELj64E21rocsparse_complex_numIfEEEvi20rocsparse_direction_NS_24const_host_device_scalarIT2_EEPKiS8_PKS5_SA_S6_PS5_21rocsparse_index_base_b
; %bb.0:
	s_clause 0x2
	s_load_b64 s[12:13], s[0:1], 0x40
	s_load_b64 s[4:5], s[0:1], 0x8
	;; [unrolled: 1-line block ×3, first 2 shown]
	s_waitcnt lgkmcnt(0)
	s_bitcmp1_b32 s13, 0
	v_mov_b32_e32 v9, s4
	s_cselect_b32 s6, -1, 0
	s_delay_alu instid0(SALU_CYCLE_1)
	s_and_b32 vcc_lo, exec_lo, s6
	s_xor_b32 s6, s6, -1
	s_cbranch_vccz .LBB181_15
; %bb.1:
	v_cndmask_b32_e64 v1, 0, 1, s6
	v_mov_b32_e32 v10, s5
	s_and_not1_b32 vcc_lo, exec_lo, s6
	s_cbranch_vccz .LBB181_16
.LBB181_2:
	s_delay_alu instid0(VALU_DEP_2)
	v_cmp_ne_u32_e32 vcc_lo, 1, v1
	v_mov_b32_e32 v11, s2
	s_cbranch_vccz .LBB181_17
.LBB181_3:
	v_cmp_ne_u32_e32 vcc_lo, 1, v1
	v_mov_b32_e32 v12, s3
	s_cbranch_vccnz .LBB181_5
.LBB181_4:
	v_dual_mov_b32 v1, s2 :: v_dual_mov_b32 v2, s3
	flat_load_b32 v12, v[1:2] offset:4
.LBB181_5:
	s_waitcnt vmcnt(0) lgkmcnt(0)
	v_cmp_eq_f32_e32 vcc_lo, 0, v9
	v_cmp_eq_f32_e64 s2, 0, v10
	s_delay_alu instid0(VALU_DEP_1)
	s_and_b32 s4, vcc_lo, s2
	s_mov_b32 s2, -1
	s_and_saveexec_b32 s3, s4
; %bb.6:
	v_cmp_neq_f32_e32 vcc_lo, 1.0, v11
	v_cmp_neq_f32_e64 s2, 0, v12
	s_delay_alu instid0(VALU_DEP_1) | instskip(NEXT) | instid1(SALU_CYCLE_1)
	s_or_b32 s2, vcc_lo, s2
	s_or_not1_b32 s2, s2, exec_lo
; %bb.7:
	s_or_b32 exec_lo, exec_lo, s3
	s_and_saveexec_b32 s3, s2
	s_cbranch_execz .LBB181_29
; %bb.8:
	s_load_b64 s[2:3], s[0:1], 0x0
	v_lshrrev_b32_e32 v1, 6, v0
	s_delay_alu instid0(VALU_DEP_1) | instskip(SKIP_1) | instid1(VALU_DEP_1)
	v_lshl_or_b32 v1, s15, 1, v1
	s_waitcnt lgkmcnt(0)
	v_cmp_gt_i32_e32 vcc_lo, s2, v1
	s_and_b32 exec_lo, exec_lo, vcc_lo
	s_cbranch_execz .LBB181_29
; %bb.9:
	s_load_b256 s[4:11], s[0:1], 0x10
	v_ashrrev_i32_e32 v2, 31, v1
	v_and_b32_e32 v0, 63, v0
	s_cmp_lg_u32 s3, 0
	s_delay_alu instid0(VALU_DEP_2) | instskip(SKIP_1) | instid1(VALU_DEP_1)
	v_lshlrev_b64 v[2:3], 2, v[1:2]
	s_waitcnt lgkmcnt(0)
	v_add_co_u32 v2, vcc_lo, s4, v2
	s_delay_alu instid0(VALU_DEP_2) | instskip(SKIP_4) | instid1(VALU_DEP_2)
	v_add_co_ci_u32_e32 v3, vcc_lo, s5, v3, vcc_lo
	global_load_b64 v[2:3], v[2:3], off
	s_waitcnt vmcnt(0)
	v_subrev_nc_u32_e32 v2, s12, v2
	v_subrev_nc_u32_e32 v15, s12, v3
	v_add_nc_u32_e32 v2, v2, v0
	s_delay_alu instid0(VALU_DEP_1)
	v_cmp_lt_i32_e64 s2, v2, v15
	s_cbranch_scc0 .LBB181_18
; %bb.10:
	v_dual_mov_b32 v13, 0 :: v_dual_mov_b32 v16, 0
	v_dual_mov_b32 v17, 0 :: v_dual_mov_b32 v14, 0
	s_mov_b32 s3, 0
	s_and_saveexec_b32 s4, s2
	s_cbranch_execz .LBB181_14
; %bb.11:
	v_mad_u64_u32 v[3:4], null, v2, 14, 12
	v_dual_mov_b32 v6, 0 :: v_dual_mov_b32 v7, v2
	v_dual_mov_b32 v13, 0 :: v_dual_mov_b32 v16, 0
	;; [unrolled: 1-line block ×3, first 2 shown]
	s_mov_b32 s5, 0
.LBB181_12:                             ; =>This Inner Loop Header: Depth=1
	s_delay_alu instid0(VALU_DEP_3) | instskip(NEXT) | instid1(VALU_DEP_1)
	v_ashrrev_i32_e32 v8, 31, v7
	v_lshlrev_b64 v[4:5], 2, v[7:8]
	v_add_nc_u32_e32 v7, 64, v7
	s_delay_alu instid0(VALU_DEP_2) | instskip(NEXT) | instid1(VALU_DEP_3)
	v_add_co_u32 v4, vcc_lo, s6, v4
	v_add_co_ci_u32_e32 v5, vcc_lo, s7, v5, vcc_lo
	global_load_b32 v8, v[4:5], off
	v_dual_mov_b32 v4, v6 :: v_dual_add_nc_u32 v5, -12, v3
	s_delay_alu instid0(VALU_DEP_1) | instskip(SKIP_1) | instid1(VALU_DEP_3)
	v_lshlrev_b64 v[18:19], 3, v[5:6]
	v_add_nc_u32_e32 v5, -10, v3
	v_lshlrev_b64 v[20:21], 3, v[3:4]
	s_delay_alu instid0(VALU_DEP_2) | instskip(NEXT) | instid1(VALU_DEP_4)
	v_lshlrev_b64 v[4:5], 3, v[5:6]
	v_add_co_u32 v18, vcc_lo, s8, v18
	v_add_co_ci_u32_e32 v19, vcc_lo, s9, v19, vcc_lo
	s_delay_alu instid0(VALU_DEP_4)
	v_add_co_u32 v42, vcc_lo, s8, v20
	v_add_co_ci_u32_e32 v43, vcc_lo, s9, v21, vcc_lo
	v_add_co_u32 v4, vcc_lo, s8, v4
	v_add_co_ci_u32_e32 v5, vcc_lo, s9, v5, vcc_lo
	s_clause 0x1
	global_load_b128 v[18:21], v[18:19], off
	global_load_b128 v[22:25], v[4:5], off
	v_mov_b32_e32 v39, v6
	s_waitcnt vmcnt(2)
	v_subrev_nc_u32_e32 v4, s12, v8
	s_delay_alu instid0(VALU_DEP_1) | instskip(NEXT) | instid1(VALU_DEP_1)
	v_mul_lo_u32 v38, v4, 7
	v_lshlrev_b64 v[26:27], 3, v[38:39]
	s_delay_alu instid0(VALU_DEP_1) | instskip(NEXT) | instid1(VALU_DEP_2)
	v_add_co_u32 v26, vcc_lo, s10, v26
	v_add_co_ci_u32_e32 v27, vcc_lo, s11, v27, vcc_lo
	global_load_b64 v[46:47], v[26:27], off
	v_add_nc_u32_e32 v5, 1, v38
	s_delay_alu instid0(VALU_DEP_1) | instskip(NEXT) | instid1(VALU_DEP_1)
	v_lshlrev_b64 v[28:29], 3, v[5:6]
	v_add_co_u32 v28, vcc_lo, s10, v28
	s_delay_alu instid0(VALU_DEP_2)
	v_add_co_ci_u32_e32 v29, vcc_lo, s11, v29, vcc_lo
	global_load_b64 v[48:49], v[28:29], off
	s_waitcnt vmcnt(1)
	v_fmac_f32_e32 v16, v18, v46
	v_fmac_f32_e32 v17, v20, v46
	;; [unrolled: 1-line block ×3, first 2 shown]
	s_delay_alu instid0(VALU_DEP_3) | instskip(SKIP_1) | instid1(VALU_DEP_4)
	v_fma_f32 v8, -v19, v47, v16
	v_add_nc_u32_e32 v5, -8, v3
	v_fma_f32 v16, -v21, v47, v17
	s_delay_alu instid0(VALU_DEP_4)
	v_fmac_f32_e32 v14, v20, v47
	s_waitcnt vmcnt(0)
	v_fmac_f32_e32 v8, v22, v48
	v_lshlrev_b64 v[30:31], 3, v[5:6]
	v_dual_fmac_f32 v16, v24, v48 :: v_dual_add_nc_u32 v5, 2, v38
	v_fmac_f32_e32 v14, v25, v48
	s_delay_alu instid0(VALU_DEP_4) | instskip(NEXT) | instid1(VALU_DEP_3)
	v_fma_f32 v8, -v23, v49, v8
	v_lshlrev_b64 v[26:27], 3, v[5:6]
	v_add_co_u32 v28, vcc_lo, s8, v30
	v_add_co_ci_u32_e32 v29, vcc_lo, s9, v31, vcc_lo
	v_add_nc_u32_e32 v5, -6, v3
	s_delay_alu instid0(VALU_DEP_4) | instskip(SKIP_1) | instid1(VALU_DEP_3)
	v_add_co_u32 v32, vcc_lo, s10, v26
	v_add_co_ci_u32_e32 v33, vcc_lo, s11, v27, vcc_lo
	v_lshlrev_b64 v[30:31], 3, v[5:6]
	v_dual_fmac_f32 v14, v24, v49 :: v_dual_add_nc_u32 v5, 3, v38
	global_load_b128 v[26:29], v[28:29], off
	global_load_b64 v[50:51], v[32:33], off
	v_fma_f32 v16, -v25, v49, v16
	v_lshlrev_b64 v[34:35], 3, v[5:6]
	v_add_co_u32 v30, vcc_lo, s8, v30
	v_add_co_ci_u32_e32 v31, vcc_lo, s9, v31, vcc_lo
	s_delay_alu instid0(VALU_DEP_3) | instskip(NEXT) | instid1(VALU_DEP_4)
	v_add_co_u32 v34, vcc_lo, s10, v34
	v_add_co_ci_u32_e32 v35, vcc_lo, s11, v35, vcc_lo
	global_load_b64 v[52:53], v[34:35], off
	global_load_b128 v[30:33], v[30:31], off
	s_waitcnt vmcnt(2)
	v_dual_fmac_f32 v8, v26, v50 :: v_dual_add_nc_u32 v5, -4, v3
	s_delay_alu instid0(VALU_DEP_1) | instskip(SKIP_4) | instid1(VALU_DEP_4)
	v_lshlrev_b64 v[36:37], 3, v[5:6]
	v_fmac_f32_e32 v14, v29, v50
	v_add_nc_u32_e32 v5, 4, v38
	v_fmac_f32_e32 v16, v28, v50
	v_fma_f32 v8, -v27, v51, v8
	v_fmac_f32_e32 v14, v28, v51
	s_delay_alu instid0(VALU_DEP_4) | instskip(SKIP_3) | instid1(VALU_DEP_3)
	v_lshlrev_b64 v[39:40], 3, v[5:6]
	v_add_nc_u32_e32 v5, -2, v3
	v_add_co_u32 v34, vcc_lo, s8, v36
	v_add_co_ci_u32_e32 v35, vcc_lo, s9, v37, vcc_lo
	v_lshlrev_b64 v[44:45], 3, v[5:6]
	s_waitcnt vmcnt(0)
	v_dual_fmac_f32 v8, v30, v52 :: v_dual_add_nc_u32 v5, 5, v38
	v_add_co_u32 v39, vcc_lo, s10, v39
	v_add_co_ci_u32_e32 v40, vcc_lo, s11, v40, vcc_lo
	s_delay_alu instid0(VALU_DEP_3)
	v_lshlrev_b64 v[54:55], 3, v[5:6]
	global_load_b128 v[34:37], v[34:35], off
	v_fma_f32 v16, -v29, v51, v16
	global_load_b64 v[56:57], v[39:40], off
	v_add_nc_u32_e32 v5, 6, v38
	v_add_co_u32 v38, vcc_lo, s8, v44
	v_fmac_f32_e32 v16, v32, v52
	v_add_co_ci_u32_e32 v39, vcc_lo, s9, v45, vcc_lo
	v_add_co_u32 v44, vcc_lo, s10, v54
	v_add_co_ci_u32_e32 v45, vcc_lo, s11, v55, vcc_lo
	global_load_b128 v[38:41], v[38:39], off
	global_load_b64 v[54:55], v[44:45], off
	v_lshlrev_b64 v[4:5], 3, v[5:6]
	v_dual_fmac_f32 v13, v19, v46 :: v_dual_fmac_f32 v14, v33, v52
	v_fma_f32 v16, -v33, v53, v16
	v_fma_f32 v8, -v31, v53, v8
	v_add_nc_u32_e32 v3, 0x380, v3
	v_add_co_u32 v4, vcc_lo, s10, v4
	v_add_co_ci_u32_e32 v5, vcc_lo, s11, v5, vcc_lo
	global_load_b128 v[42:45], v[42:43], off
	global_load_b64 v[4:5], v[4:5], off
	v_dual_fmac_f32 v13, v18, v47 :: v_dual_fmac_f32 v14, v32, v53
	v_cmp_ge_i32_e32 vcc_lo, v7, v15
	s_or_b32 s5, vcc_lo, s5
	s_waitcnt vmcnt(4)
	s_delay_alu instid0(VALU_DEP_2) | instskip(SKIP_3) | instid1(VALU_DEP_4)
	v_fmac_f32_e32 v14, v37, v56
	v_fmac_f32_e32 v13, v23, v48
	;; [unrolled: 1-line block ×5, first 2 shown]
	s_delay_alu instid0(VALU_DEP_4) | instskip(NEXT) | instid1(VALU_DEP_4)
	v_fmac_f32_e32 v13, v22, v49
	v_fma_f32 v16, -v37, v57, v16
	s_delay_alu instid0(VALU_DEP_4) | instskip(SKIP_3) | instid1(VALU_DEP_3)
	v_fma_f32 v8, -v35, v57, v8
	s_waitcnt vmcnt(2)
	v_fmac_f32_e32 v14, v41, v54
	v_fmac_f32_e32 v13, v27, v50
	;; [unrolled: 1-line block ×4, first 2 shown]
	s_delay_alu instid0(VALU_DEP_4) | instskip(NEXT) | instid1(VALU_DEP_4)
	v_fmac_f32_e32 v14, v40, v55
	v_fmac_f32_e32 v13, v26, v51
	s_delay_alu instid0(VALU_DEP_4) | instskip(NEXT) | instid1(VALU_DEP_4)
	v_fma_f32 v8, -v39, v55, v8
	v_fma_f32 v17, -v41, v55, v16
	s_delay_alu instid0(VALU_DEP_3) | instskip(SKIP_2) | instid1(VALU_DEP_3)
	v_fmac_f32_e32 v13, v31, v52
	s_waitcnt vmcnt(0)
	v_fmac_f32_e32 v14, v45, v4
	v_fmac_f32_e32 v17, v44, v4
	;; [unrolled: 1-line block ×4, first 2 shown]
	s_delay_alu instid0(VALU_DEP_4) | instskip(NEXT) | instid1(VALU_DEP_4)
	v_fmac_f32_e32 v14, v44, v5
	v_fma_f32 v17, -v45, v5, v17
	s_delay_alu instid0(VALU_DEP_4) | instskip(NEXT) | instid1(VALU_DEP_4)
	v_fma_f32 v16, -v43, v5, v8
	v_fmac_f32_e32 v13, v35, v56
	s_delay_alu instid0(VALU_DEP_1) | instskip(NEXT) | instid1(VALU_DEP_1)
	v_fmac_f32_e32 v13, v34, v57
	v_fmac_f32_e32 v13, v39, v54
	s_delay_alu instid0(VALU_DEP_1) | instskip(NEXT) | instid1(VALU_DEP_1)
	v_fmac_f32_e32 v13, v38, v55
	v_fmac_f32_e32 v13, v43, v4
	s_delay_alu instid0(VALU_DEP_1)
	v_fmac_f32_e32 v13, v42, v5
	s_and_not1_b32 exec_lo, exec_lo, s5
	s_cbranch_execnz .LBB181_12
; %bb.13:
	s_or_b32 exec_lo, exec_lo, s5
.LBB181_14:
	s_delay_alu instid0(SALU_CYCLE_1) | instskip(NEXT) | instid1(SALU_CYCLE_1)
	s_or_b32 exec_lo, exec_lo, s4
	s_and_not1_b32 vcc_lo, exec_lo, s3
	s_cbranch_vccz .LBB181_19
	s_branch .LBB181_24
.LBB181_15:
	v_dual_mov_b32 v1, s4 :: v_dual_mov_b32 v2, s5
	flat_load_b32 v9, v[1:2]
	v_cndmask_b32_e64 v1, 0, 1, s6
	v_mov_b32_e32 v10, s5
	s_and_not1_b32 vcc_lo, exec_lo, s6
	s_cbranch_vccnz .LBB181_2
.LBB181_16:
	v_dual_mov_b32 v2, s4 :: v_dual_mov_b32 v3, s5
	flat_load_b32 v10, v[2:3] offset:4
	v_cmp_ne_u32_e32 vcc_lo, 1, v1
	v_mov_b32_e32 v11, s2
	s_cbranch_vccnz .LBB181_3
.LBB181_17:
	v_dual_mov_b32 v2, s2 :: v_dual_mov_b32 v3, s3
	flat_load_b32 v11, v[2:3]
	v_cmp_ne_u32_e32 vcc_lo, 1, v1
	v_mov_b32_e32 v12, s3
	s_cbranch_vccz .LBB181_4
	s_branch .LBB181_5
.LBB181_18:
                                        ; implicit-def: $vgpr13
                                        ; implicit-def: $vgpr16
                                        ; implicit-def: $vgpr17
                                        ; implicit-def: $vgpr14
.LBB181_19:
	v_dual_mov_b32 v13, 0 :: v_dual_mov_b32 v16, 0
	v_dual_mov_b32 v17, 0 :: v_dual_mov_b32 v14, 0
	s_delay_alu instid0(VALU_DEP_3)
	s_and_saveexec_b32 s3, s2
	s_cbranch_execz .LBB181_23
; %bb.20:
	v_mad_u64_u32 v[4:5], null, v2, 14, 13
	v_dual_mov_b32 v7, 0 :: v_dual_mov_b32 v16, 0
	v_dual_mov_b32 v13, 0 :: v_dual_mov_b32 v14, 0
	v_mov_b32_e32 v17, 0
	s_mov_b32 s2, 0
.LBB181_21:                             ; =>This Inner Loop Header: Depth=1
	v_ashrrev_i32_e32 v3, 31, v2
	v_dual_mov_b32 v19, v7 :: v_dual_add_nc_u32 v18, -6, v4
	v_mov_b32_e32 v23, v7
	s_delay_alu instid0(VALU_DEP_3) | instskip(SKIP_1) | instid1(VALU_DEP_4)
	v_lshlrev_b64 v[5:6], 2, v[2:3]
	v_add_nc_u32_e32 v2, 64, v2
	v_lshlrev_b64 v[18:19], 3, v[18:19]
	s_delay_alu instid0(VALU_DEP_3) | instskip(NEXT) | instid1(VALU_DEP_4)
	v_add_co_u32 v5, vcc_lo, s6, v5
	v_add_co_ci_u32_e32 v6, vcc_lo, s7, v6, vcc_lo
	global_load_b32 v3, v[5:6], off
	v_add_nc_u32_e32 v6, -13, v4
	s_delay_alu instid0(VALU_DEP_1) | instskip(NEXT) | instid1(VALU_DEP_1)
	v_lshlrev_b64 v[20:21], 3, v[6:7]
	v_add_co_u32 v20, vcc_lo, s8, v20
	s_delay_alu instid0(VALU_DEP_2) | instskip(SKIP_4) | instid1(VALU_DEP_1)
	v_add_co_ci_u32_e32 v21, vcc_lo, s9, v21, vcc_lo
	v_add_co_u32 v24, vcc_lo, s8, v18
	v_add_co_ci_u32_e32 v25, vcc_lo, s9, v19, vcc_lo
	s_waitcnt vmcnt(0)
	v_subrev_nc_u32_e32 v3, s12, v3
	v_mul_lo_u32 v22, v3, 7
	v_mov_b32_e32 v5, v7
	s_delay_alu instid0(VALU_DEP_1) | instskip(NEXT) | instid1(VALU_DEP_3)
	v_lshlrev_b64 v[5:6], 3, v[4:5]
	v_lshlrev_b64 v[28:29], 3, v[22:23]
	s_delay_alu instid0(VALU_DEP_2) | instskip(NEXT) | instid1(VALU_DEP_3)
	v_add_co_u32 v5, vcc_lo, s8, v5
	v_add_co_ci_u32_e32 v6, vcc_lo, s9, v6, vcc_lo
	s_delay_alu instid0(VALU_DEP_3) | instskip(NEXT) | instid1(VALU_DEP_4)
	v_add_co_u32 v28, vcc_lo, s10, v28
	v_add_co_ci_u32_e32 v29, vcc_lo, s11, v29, vcc_lo
	s_clause 0x2
	global_load_b128 v[18:21], v[20:21], off
	global_load_b64 v[24:25], v[24:25], off
	global_load_b64 v[26:27], v[5:6], off
	v_add_nc_u32_e32 v6, 1, v22
	global_load_b64 v[28:29], v[28:29], off
	v_lshlrev_b64 v[30:31], 3, v[6:7]
	s_delay_alu instid0(VALU_DEP_1) | instskip(NEXT) | instid1(VALU_DEP_2)
	v_add_co_u32 v30, vcc_lo, s10, v30
	v_add_co_ci_u32_e32 v31, vcc_lo, s11, v31, vcc_lo
	global_load_b64 v[30:31], v[30:31], off
	s_waitcnt vmcnt(1)
	v_fmac_f32_e32 v14, v25, v28
	v_fmac_f32_e32 v16, v18, v28
	;; [unrolled: 1-line block ×4, first 2 shown]
	s_delay_alu instid0(VALU_DEP_4) | instskip(NEXT) | instid1(VALU_DEP_3)
	v_fmac_f32_e32 v14, v24, v29
	v_dual_fmac_f32 v13, v18, v29 :: v_dual_add_nc_u32 v6, -5, v4
	v_fma_f32 v3, -v19, v29, v16
	s_delay_alu instid0(VALU_DEP_4) | instskip(NEXT) | instid1(VALU_DEP_3)
	v_fma_f32 v8, -v25, v29, v17
	v_lshlrev_b64 v[32:33], 3, v[6:7]
	s_waitcnt vmcnt(0)
	s_delay_alu instid0(VALU_DEP_3) | instskip(NEXT) | instid1(VALU_DEP_1)
	v_dual_fmac_f32 v3, v20, v30 :: v_dual_add_nc_u32 v6, -11, v4
	v_lshlrev_b64 v[34:35], 3, v[6:7]
	v_add_nc_u32_e32 v6, 2, v22
	s_delay_alu instid0(VALU_DEP_4) | instskip(SKIP_1) | instid1(VALU_DEP_3)
	v_add_co_u32 v32, vcc_lo, s8, v32
	v_add_co_ci_u32_e32 v33, vcc_lo, s9, v33, vcc_lo
	v_lshlrev_b64 v[36:37], 3, v[6:7]
	v_add_co_u32 v34, vcc_lo, s8, v34
	v_add_co_ci_u32_e32 v35, vcc_lo, s9, v35, vcc_lo
	global_load_b64 v[32:33], v[32:33], off
	v_add_co_u32 v36, vcc_lo, s10, v36
	global_load_b64 v[34:35], v[34:35], off
	v_add_co_ci_u32_e32 v37, vcc_lo, s11, v37, vcc_lo
	v_dual_fmac_f32 v13, v21, v30 :: v_dual_add_nc_u32 v6, -4, v4
	v_fma_f32 v3, -v21, v31, v3
	global_load_b64 v[36:37], v[36:37], off
	v_lshlrev_b64 v[38:39], 3, v[6:7]
	v_dual_fmac_f32 v13, v20, v31 :: v_dual_add_nc_u32 v6, -10, v4
	s_delay_alu instid0(VALU_DEP_1) | instskip(SKIP_1) | instid1(VALU_DEP_4)
	v_lshlrev_b64 v[40:41], 3, v[6:7]
	v_add_nc_u32_e32 v6, 3, v22
	v_add_co_u32 v38, vcc_lo, s8, v38
	v_add_co_ci_u32_e32 v39, vcc_lo, s9, v39, vcc_lo
	s_delay_alu instid0(VALU_DEP_4)
	v_add_co_u32 v40, vcc_lo, s8, v40
	v_add_co_ci_u32_e32 v41, vcc_lo, s9, v41, vcc_lo
	s_clause 0x1
	global_load_b64 v[38:39], v[38:39], off
	global_load_b64 v[40:41], v[40:41], off
	s_waitcnt vmcnt(2)
	v_dual_fmac_f32 v8, v32, v30 :: v_dual_fmac_f32 v13, v35, v36
	v_fmac_f32_e32 v3, v34, v36
	v_lshlrev_b64 v[42:43], 3, v[6:7]
	v_add_nc_u32_e32 v6, -3, v4
	s_delay_alu instid0(VALU_DEP_4)
	v_fma_f32 v8, -v33, v31, v8
	v_fmac_f32_e32 v13, v34, v37
	v_fma_f32 v3, -v35, v37, v3
	v_add_co_u32 v42, vcc_lo, s10, v42
	v_add_co_ci_u32_e32 v43, vcc_lo, s11, v43, vcc_lo
	v_lshlrev_b64 v[44:45], 3, v[6:7]
	global_load_b64 v[42:43], v[42:43], off
	v_add_nc_u32_e32 v6, -9, v4
	v_add_co_u32 v44, vcc_lo, s8, v44
	v_add_co_ci_u32_e32 v45, vcc_lo, s9, v45, vcc_lo
	s_waitcnt vmcnt(2)
	v_fmac_f32_e32 v8, v38, v36
	global_load_b64 v[44:45], v[44:45], off
	v_fma_f32 v8, -v39, v37, v8
	s_waitcnt vmcnt(1)
	v_fmac_f32_e32 v3, v40, v42
	v_lshlrev_b64 v[46:47], 3, v[6:7]
	v_fmac_f32_e32 v13, v41, v42
	v_add_nc_u32_e32 v6, 4, v22
	s_delay_alu instid0(VALU_DEP_4) | instskip(NEXT) | instid1(VALU_DEP_3)
	v_fma_f32 v3, -v41, v43, v3
	v_fmac_f32_e32 v13, v40, v43
	s_delay_alu instid0(VALU_DEP_3) | instskip(SKIP_2) | instid1(VALU_DEP_3)
	v_lshlrev_b64 v[48:49], 3, v[6:7]
	v_add_co_u32 v46, vcc_lo, s8, v46
	v_add_co_ci_u32_e32 v47, vcc_lo, s9, v47, vcc_lo
	v_add_co_u32 v48, vcc_lo, s10, v48
	s_delay_alu instid0(VALU_DEP_4)
	v_add_co_ci_u32_e32 v49, vcc_lo, s11, v49, vcc_lo
	global_load_b64 v[46:47], v[46:47], off
	s_waitcnt vmcnt(1)
	v_fmac_f32_e32 v8, v44, v42
	global_load_b64 v[48:49], v[48:49], off
	v_fmac_f32_e32 v14, v33, v30
	v_fma_f32 v8, -v45, v43, v8
	s_waitcnt vmcnt(0)
	s_delay_alu instid0(VALU_DEP_2) | instskip(SKIP_2) | instid1(VALU_DEP_3)
	v_dual_fmac_f32 v3, v46, v48 :: v_dual_fmac_f32 v14, v32, v31
	v_fmac_f32_e32 v13, v47, v48
	v_add_nc_u32_e32 v6, -2, v4
	v_fma_f32 v3, -v47, v49, v3
	s_delay_alu instid0(VALU_DEP_3) | instskip(NEXT) | instid1(VALU_DEP_3)
	v_dual_fmac_f32 v14, v39, v36 :: v_dual_fmac_f32 v13, v46, v49
	v_lshlrev_b64 v[50:51], 3, v[6:7]
	v_add_nc_u32_e32 v6, -8, v4
	s_delay_alu instid0(VALU_DEP_3) | instskip(NEXT) | instid1(VALU_DEP_2)
	v_fmac_f32_e32 v14, v38, v37
	v_lshlrev_b64 v[52:53], 3, v[6:7]
	s_delay_alu instid0(VALU_DEP_4) | instskip(SKIP_1) | instid1(VALU_DEP_4)
	v_add_co_u32 v50, vcc_lo, s8, v50
	v_add_co_ci_u32_e32 v51, vcc_lo, s9, v51, vcc_lo
	v_fmac_f32_e32 v14, v45, v42
	s_delay_alu instid0(VALU_DEP_4)
	v_add_co_u32 v52, vcc_lo, s8, v52
	v_add_co_ci_u32_e32 v53, vcc_lo, s9, v53, vcc_lo
	global_load_b64 v[50:51], v[50:51], off
	v_fmac_f32_e32 v14, v44, v43
	global_load_b64 v[52:53], v[52:53], off
	v_add_nc_u32_e32 v6, 5, v22
	s_delay_alu instid0(VALU_DEP_1) | instskip(NEXT) | instid1(VALU_DEP_1)
	v_lshlrev_b64 v[54:55], 3, v[6:7]
	v_add_co_u32 v54, vcc_lo, s10, v54
	s_delay_alu instid0(VALU_DEP_2)
	v_add_co_ci_u32_e32 v55, vcc_lo, s11, v55, vcc_lo
	global_load_b64 v[54:55], v[54:55], off
	v_add_nc_u32_e32 v6, -1, v4
	s_waitcnt vmcnt(2)
	v_fmac_f32_e32 v8, v50, v48
	v_fmac_f32_e32 v14, v51, v48
	s_delay_alu instid0(VALU_DEP_2) | instskip(SKIP_1) | instid1(VALU_DEP_2)
	v_fma_f32 v8, -v51, v49, v8
	s_waitcnt vmcnt(0)
	v_dual_fmac_f32 v14, v50, v49 :: v_dual_fmac_f32 v13, v53, v54
	v_fmac_f32_e32 v3, v52, v54
	v_lshlrev_b64 v[56:57], 3, v[6:7]
	s_delay_alu instid0(VALU_DEP_3) | instskip(NEXT) | instid1(VALU_DEP_3)
	v_fmac_f32_e32 v13, v52, v55
	v_fma_f32 v3, -v53, v55, v3
	v_add_nc_u32_e32 v6, -7, v4
	v_add_nc_u32_e32 v4, 0x380, v4
	s_delay_alu instid0(VALU_DEP_2) | instskip(SKIP_3) | instid1(VALU_DEP_3)
	v_lshlrev_b64 v[58:59], 3, v[6:7]
	v_add_nc_u32_e32 v6, 6, v22
	v_add_co_u32 v22, vcc_lo, s8, v56
	v_add_co_ci_u32_e32 v23, vcc_lo, s9, v57, vcc_lo
	v_lshlrev_b64 v[5:6], 3, v[6:7]
	v_add_co_u32 v56, vcc_lo, s8, v58
	global_load_b64 v[22:23], v[22:23], off
	v_add_co_ci_u32_e32 v57, vcc_lo, s9, v59, vcc_lo
	v_add_co_u32 v5, vcc_lo, s10, v5
	v_add_co_ci_u32_e32 v6, vcc_lo, s11, v6, vcc_lo
	global_load_b64 v[56:57], v[56:57], off
	global_load_b64 v[5:6], v[5:6], off
	v_cmp_ge_i32_e32 vcc_lo, v2, v15
	s_or_b32 s2, vcc_lo, s2
	s_waitcnt vmcnt(2)
	v_fmac_f32_e32 v8, v22, v54
	v_fmac_f32_e32 v14, v23, v54
	s_delay_alu instid0(VALU_DEP_2) | instskip(SKIP_1) | instid1(VALU_DEP_2)
	v_fma_f32 v8, -v23, v55, v8
	s_waitcnt vmcnt(0)
	v_dual_fmac_f32 v14, v22, v55 :: v_dual_fmac_f32 v13, v57, v5
	v_fmac_f32_e32 v3, v56, v5
	s_delay_alu instid0(VALU_DEP_3) | instskip(NEXT) | instid1(VALU_DEP_3)
	v_fmac_f32_e32 v8, v26, v5
	v_dual_fmac_f32 v14, v27, v5 :: v_dual_fmac_f32 v13, v56, v6
	s_delay_alu instid0(VALU_DEP_3) | instskip(NEXT) | instid1(VALU_DEP_3)
	v_fma_f32 v16, -v57, v6, v3
	v_fma_f32 v17, -v27, v6, v8
	s_delay_alu instid0(VALU_DEP_3)
	v_fmac_f32_e32 v14, v26, v6
	s_and_not1_b32 exec_lo, exec_lo, s2
	s_cbranch_execnz .LBB181_21
; %bb.22:
	s_or_b32 exec_lo, exec_lo, s2
.LBB181_23:
	s_delay_alu instid0(SALU_CYCLE_1)
	s_or_b32 exec_lo, exec_lo, s3
.LBB181_24:
	v_mbcnt_lo_u32_b32 v2, -1, 0
	s_delay_alu instid0(VALU_DEP_1) | instskip(SKIP_2) | instid1(VALU_DEP_3)
	v_or_b32_e32 v3, 32, v2
	v_xor_b32_e32 v7, 16, v2
	v_xor_b32_e32 v15, 8, v2
	v_cmp_gt_i32_e32 vcc_lo, 32, v3
	v_cndmask_b32_e32 v3, v2, v3, vcc_lo
	s_delay_alu instid0(VALU_DEP_4) | instskip(NEXT) | instid1(VALU_DEP_2)
	v_cmp_gt_i32_e32 vcc_lo, 32, v7
	v_lshlrev_b32_e32 v3, 2, v3
	ds_bpermute_b32 v6, v3, v17
	s_waitcnt lgkmcnt(0)
	v_add_f32_e32 v6, v17, v6
	ds_bpermute_b32 v4, v3, v16
	ds_bpermute_b32 v5, v3, v13
	;; [unrolled: 1-line block ×3, first 2 shown]
	s_waitcnt lgkmcnt(2)
	v_dual_add_f32 v4, v16, v4 :: v_dual_cndmask_b32 v7, v2, v7
	s_waitcnt lgkmcnt(0)
	v_add_f32_e32 v3, v14, v3
	v_cmp_gt_i32_e32 vcc_lo, 32, v15
	s_delay_alu instid0(VALU_DEP_3)
	v_lshlrev_b32_e32 v7, 2, v7
	v_cndmask_b32_e32 v15, v2, v15, vcc_lo
	ds_bpermute_b32 v14, v7, v6
	s_waitcnt lgkmcnt(0)
	v_add_f32_e32 v6, v6, v14
	ds_bpermute_b32 v8, v7, v4
	s_waitcnt lgkmcnt(0)
	v_dual_add_f32 v4, v4, v8 :: v_dual_lshlrev_b32 v15, 2, v15
	v_add_f32_e32 v5, v13, v5
	ds_bpermute_b32 v13, v7, v5
	ds_bpermute_b32 v7, v7, v3
	s_waitcnt lgkmcnt(0)
	v_add_f32_e32 v3, v3, v7
	ds_bpermute_b32 v7, v15, v4
	s_waitcnt lgkmcnt(0)
	v_dual_add_f32 v4, v4, v7 :: v_dual_add_f32 v5, v5, v13
	ds_bpermute_b32 v13, v15, v6
	s_waitcnt lgkmcnt(0)
	v_add_f32_e32 v6, v6, v13
	ds_bpermute_b32 v8, v15, v5
	ds_bpermute_b32 v14, v15, v3
	v_xor_b32_e32 v15, 4, v2
	s_delay_alu instid0(VALU_DEP_1) | instskip(SKIP_1) | instid1(VALU_DEP_1)
	v_cmp_gt_i32_e32 vcc_lo, 32, v15
	v_cndmask_b32_e32 v15, v2, v15, vcc_lo
	v_lshlrev_b32_e32 v15, 2, v15
	ds_bpermute_b32 v7, v15, v4
	ds_bpermute_b32 v13, v15, v6
	s_waitcnt lgkmcnt(1)
	v_dual_add_f32 v4, v4, v7 :: v_dual_add_f32 v5, v5, v8
	s_waitcnt lgkmcnt(0)
	v_dual_add_f32 v6, v6, v13 :: v_dual_add_f32 v3, v3, v14
	ds_bpermute_b32 v8, v15, v5
	ds_bpermute_b32 v14, v15, v3
	v_xor_b32_e32 v15, 2, v2
	s_delay_alu instid0(VALU_DEP_1) | instskip(SKIP_1) | instid1(VALU_DEP_1)
	v_cmp_gt_i32_e32 vcc_lo, 32, v15
	v_cndmask_b32_e32 v15, v2, v15, vcc_lo
	v_lshlrev_b32_e32 v15, 2, v15
	s_waitcnt lgkmcnt(1)
	v_add_f32_e32 v5, v5, v8
	ds_bpermute_b32 v7, v15, v4
	ds_bpermute_b32 v13, v15, v6
	;; [unrolled: 1-line block ×3, first 2 shown]
	s_waitcnt lgkmcnt(2)
	v_dual_add_f32 v4, v4, v7 :: v_dual_add_f32 v3, v3, v14
	s_waitcnt lgkmcnt(0)
	v_add_f32_e32 v5, v5, v8
	ds_bpermute_b32 v14, v15, v3
	v_xor_b32_e32 v15, 1, v2
	s_delay_alu instid0(VALU_DEP_1) | instskip(SKIP_2) | instid1(VALU_DEP_2)
	v_cmp_gt_i32_e32 vcc_lo, 32, v15
	v_cndmask_b32_e32 v2, v2, v15, vcc_lo
	v_cmp_eq_u32_e32 vcc_lo, 63, v0
	v_dual_add_f32 v2, v6, v13 :: v_dual_lshlrev_b32 v15, 2, v2
	s_waitcnt lgkmcnt(0)
	v_add_f32_e32 v3, v3, v14
	ds_bpermute_b32 v8, v15, v4
	ds_bpermute_b32 v13, v15, v5
	;; [unrolled: 1-line block ×4, first 2 shown]
	s_and_b32 exec_lo, exec_lo, vcc_lo
	s_cbranch_execz .LBB181_29
; %bb.25:
	s_load_b64 s[2:3], s[0:1], 0x38
	v_cmp_eq_f32_e32 vcc_lo, 0, v11
	v_cmp_eq_f32_e64 s0, 0, v12
	s_waitcnt lgkmcnt(0)
	v_dual_add_f32 v0, v4, v8 :: v_dual_add_f32 v3, v3, v7
	v_add_f32_e32 v4, v5, v13
	v_add_f32_e32 v2, v2, v6
	s_and_b32 s0, vcc_lo, s0
	s_delay_alu instid0(SALU_CYCLE_1) | instskip(NEXT) | instid1(SALU_CYCLE_1)
	s_and_saveexec_b32 s1, s0
	s_xor_b32 s0, exec_lo, s1
	s_cbranch_execz .LBB181_27
; %bb.26:
	v_mul_f32_e64 v5, v4, -v10
	v_mul_f32_e32 v6, v4, v9
	v_mul_f32_e64 v7, v3, -v10
	v_mul_f32_e32 v8, v3, v9
                                        ; implicit-def: $vgpr4
                                        ; implicit-def: $vgpr3
	s_delay_alu instid0(VALU_DEP_4) | instskip(NEXT) | instid1(VALU_DEP_4)
	v_fmac_f32_e32 v5, v9, v0
	v_dual_fmac_f32 v6, v10, v0 :: v_dual_lshlrev_b32 v11, 1, v1
	s_delay_alu instid0(VALU_DEP_4) | instskip(NEXT) | instid1(VALU_DEP_4)
	v_fmac_f32_e32 v7, v9, v2
	v_fmac_f32_e32 v8, v10, v2
                                        ; implicit-def: $vgpr9
                                        ; implicit-def: $vgpr10
                                        ; implicit-def: $vgpr2
	s_delay_alu instid0(VALU_DEP_3) | instskip(NEXT) | instid1(VALU_DEP_1)
	v_ashrrev_i32_e32 v12, 31, v11
	v_lshlrev_b64 v[11:12], 3, v[11:12]
	s_delay_alu instid0(VALU_DEP_1) | instskip(NEXT) | instid1(VALU_DEP_2)
	v_add_co_u32 v0, vcc_lo, s2, v11
	v_add_co_ci_u32_e32 v1, vcc_lo, s3, v12, vcc_lo
                                        ; implicit-def: $vgpr11
                                        ; implicit-def: $vgpr12
	global_store_b128 v[0:1], v[5:8], off
                                        ; implicit-def: $vgpr1
                                        ; implicit-def: $vgpr0
.LBB181_27:
	s_and_not1_saveexec_b32 s0, s0
	s_cbranch_execz .LBB181_29
; %bb.28:
	v_lshlrev_b32_e32 v5, 1, v1
	v_mul_f32_e64 v15, v4, -v10
	v_mul_f32_e32 v1, v4, v9
	v_mul_f32_e64 v4, v3, -v10
	v_mul_f32_e32 v3, v3, v9
	s_delay_alu instid0(VALU_DEP_4) | instskip(NEXT) | instid1(VALU_DEP_3)
	v_fmac_f32_e32 v15, v9, v0
	v_fmac_f32_e32 v4, v9, v2
	v_ashrrev_i32_e32 v6, 31, v5
	s_delay_alu instid0(VALU_DEP_4) | instskip(NEXT) | instid1(VALU_DEP_2)
	v_fmac_f32_e32 v3, v10, v2
	v_lshlrev_b64 v[5:6], 3, v[5:6]
	s_delay_alu instid0(VALU_DEP_1) | instskip(NEXT) | instid1(VALU_DEP_2)
	v_add_co_u32 v13, vcc_lo, s2, v5
	v_add_co_ci_u32_e32 v14, vcc_lo, s3, v6, vcc_lo
	global_load_b128 v[5:8], v[13:14], off
	s_waitcnt vmcnt(0)
	v_dual_fmac_f32 v4, v11, v7 :: v_dual_fmac_f32 v1, v10, v0
	v_fmac_f32_e32 v15, v11, v5
	v_fmac_f32_e32 v3, v12, v7
	s_delay_alu instid0(VALU_DEP_3) | instskip(NEXT) | instid1(VALU_DEP_4)
	v_fma_f32 v2, -v12, v8, v4
	v_fmac_f32_e32 v1, v12, v5
	s_delay_alu instid0(VALU_DEP_4) | instskip(NEXT) | instid1(VALU_DEP_4)
	v_fma_f32 v0, -v12, v6, v15
	v_fmac_f32_e32 v3, v11, v8
	s_delay_alu instid0(VALU_DEP_3)
	v_fmac_f32_e32 v1, v11, v6
	global_store_b128 v[13:14], v[0:3], off
.LBB181_29:
	s_nop 0
	s_sendmsg sendmsg(MSG_DEALLOC_VGPRS)
	s_endpgm
	.section	.rodata,"a",@progbits
	.p2align	6, 0x0
	.amdhsa_kernel _ZN9rocsparseL19gebsrmvn_2xn_kernelILj128ELj7ELj64E21rocsparse_complex_numIfEEEvi20rocsparse_direction_NS_24const_host_device_scalarIT2_EEPKiS8_PKS5_SA_S6_PS5_21rocsparse_index_base_b
		.amdhsa_group_segment_fixed_size 0
		.amdhsa_private_segment_fixed_size 0
		.amdhsa_kernarg_size 72
		.amdhsa_user_sgpr_count 15
		.amdhsa_user_sgpr_dispatch_ptr 0
		.amdhsa_user_sgpr_queue_ptr 0
		.amdhsa_user_sgpr_kernarg_segment_ptr 1
		.amdhsa_user_sgpr_dispatch_id 0
		.amdhsa_user_sgpr_private_segment_size 0
		.amdhsa_wavefront_size32 1
		.amdhsa_uses_dynamic_stack 0
		.amdhsa_enable_private_segment 0
		.amdhsa_system_sgpr_workgroup_id_x 1
		.amdhsa_system_sgpr_workgroup_id_y 0
		.amdhsa_system_sgpr_workgroup_id_z 0
		.amdhsa_system_sgpr_workgroup_info 0
		.amdhsa_system_vgpr_workitem_id 0
		.amdhsa_next_free_vgpr 60
		.amdhsa_next_free_sgpr 16
		.amdhsa_reserve_vcc 1
		.amdhsa_float_round_mode_32 0
		.amdhsa_float_round_mode_16_64 0
		.amdhsa_float_denorm_mode_32 3
		.amdhsa_float_denorm_mode_16_64 3
		.amdhsa_dx10_clamp 1
		.amdhsa_ieee_mode 1
		.amdhsa_fp16_overflow 0
		.amdhsa_workgroup_processor_mode 1
		.amdhsa_memory_ordered 1
		.amdhsa_forward_progress 0
		.amdhsa_shared_vgpr_count 0
		.amdhsa_exception_fp_ieee_invalid_op 0
		.amdhsa_exception_fp_denorm_src 0
		.amdhsa_exception_fp_ieee_div_zero 0
		.amdhsa_exception_fp_ieee_overflow 0
		.amdhsa_exception_fp_ieee_underflow 0
		.amdhsa_exception_fp_ieee_inexact 0
		.amdhsa_exception_int_div_zero 0
	.end_amdhsa_kernel
	.section	.text._ZN9rocsparseL19gebsrmvn_2xn_kernelILj128ELj7ELj64E21rocsparse_complex_numIfEEEvi20rocsparse_direction_NS_24const_host_device_scalarIT2_EEPKiS8_PKS5_SA_S6_PS5_21rocsparse_index_base_b,"axG",@progbits,_ZN9rocsparseL19gebsrmvn_2xn_kernelILj128ELj7ELj64E21rocsparse_complex_numIfEEEvi20rocsparse_direction_NS_24const_host_device_scalarIT2_EEPKiS8_PKS5_SA_S6_PS5_21rocsparse_index_base_b,comdat
.Lfunc_end181:
	.size	_ZN9rocsparseL19gebsrmvn_2xn_kernelILj128ELj7ELj64E21rocsparse_complex_numIfEEEvi20rocsparse_direction_NS_24const_host_device_scalarIT2_EEPKiS8_PKS5_SA_S6_PS5_21rocsparse_index_base_b, .Lfunc_end181-_ZN9rocsparseL19gebsrmvn_2xn_kernelILj128ELj7ELj64E21rocsparse_complex_numIfEEEvi20rocsparse_direction_NS_24const_host_device_scalarIT2_EEPKiS8_PKS5_SA_S6_PS5_21rocsparse_index_base_b
                                        ; -- End function
	.section	.AMDGPU.csdata,"",@progbits
; Kernel info:
; codeLenInByte = 3500
; NumSgprs: 18
; NumVgprs: 60
; ScratchSize: 0
; MemoryBound: 0
; FloatMode: 240
; IeeeMode: 1
; LDSByteSize: 0 bytes/workgroup (compile time only)
; SGPRBlocks: 2
; VGPRBlocks: 7
; NumSGPRsForWavesPerEU: 18
; NumVGPRsForWavesPerEU: 60
; Occupancy: 16
; WaveLimiterHint : 1
; COMPUTE_PGM_RSRC2:SCRATCH_EN: 0
; COMPUTE_PGM_RSRC2:USER_SGPR: 15
; COMPUTE_PGM_RSRC2:TRAP_HANDLER: 0
; COMPUTE_PGM_RSRC2:TGID_X_EN: 1
; COMPUTE_PGM_RSRC2:TGID_Y_EN: 0
; COMPUTE_PGM_RSRC2:TGID_Z_EN: 0
; COMPUTE_PGM_RSRC2:TIDIG_COMP_CNT: 0
	.section	.text._ZN9rocsparseL19gebsrmvn_2xn_kernelILj128ELj8ELj4E21rocsparse_complex_numIfEEEvi20rocsparse_direction_NS_24const_host_device_scalarIT2_EEPKiS8_PKS5_SA_S6_PS5_21rocsparse_index_base_b,"axG",@progbits,_ZN9rocsparseL19gebsrmvn_2xn_kernelILj128ELj8ELj4E21rocsparse_complex_numIfEEEvi20rocsparse_direction_NS_24const_host_device_scalarIT2_EEPKiS8_PKS5_SA_S6_PS5_21rocsparse_index_base_b,comdat
	.globl	_ZN9rocsparseL19gebsrmvn_2xn_kernelILj128ELj8ELj4E21rocsparse_complex_numIfEEEvi20rocsparse_direction_NS_24const_host_device_scalarIT2_EEPKiS8_PKS5_SA_S6_PS5_21rocsparse_index_base_b ; -- Begin function _ZN9rocsparseL19gebsrmvn_2xn_kernelILj128ELj8ELj4E21rocsparse_complex_numIfEEEvi20rocsparse_direction_NS_24const_host_device_scalarIT2_EEPKiS8_PKS5_SA_S6_PS5_21rocsparse_index_base_b
	.p2align	8
	.type	_ZN9rocsparseL19gebsrmvn_2xn_kernelILj128ELj8ELj4E21rocsparse_complex_numIfEEEvi20rocsparse_direction_NS_24const_host_device_scalarIT2_EEPKiS8_PKS5_SA_S6_PS5_21rocsparse_index_base_b,@function
_ZN9rocsparseL19gebsrmvn_2xn_kernelILj128ELj8ELj4E21rocsparse_complex_numIfEEEvi20rocsparse_direction_NS_24const_host_device_scalarIT2_EEPKiS8_PKS5_SA_S6_PS5_21rocsparse_index_base_b: ; @_ZN9rocsparseL19gebsrmvn_2xn_kernelILj128ELj8ELj4E21rocsparse_complex_numIfEEEvi20rocsparse_direction_NS_24const_host_device_scalarIT2_EEPKiS8_PKS5_SA_S6_PS5_21rocsparse_index_base_b
; %bb.0:
	s_clause 0x2
	s_load_b64 s[12:13], s[0:1], 0x40
	s_load_b64 s[4:5], s[0:1], 0x8
	;; [unrolled: 1-line block ×3, first 2 shown]
	s_waitcnt lgkmcnt(0)
	s_bitcmp1_b32 s13, 0
	v_mov_b32_e32 v7, s4
	s_cselect_b32 s6, -1, 0
	s_delay_alu instid0(SALU_CYCLE_1)
	s_and_b32 vcc_lo, exec_lo, s6
	s_xor_b32 s6, s6, -1
	s_cbranch_vccz .LBB182_15
; %bb.1:
	v_cndmask_b32_e64 v1, 0, 1, s6
	v_mov_b32_e32 v8, s5
	s_and_not1_b32 vcc_lo, exec_lo, s6
	s_cbranch_vccz .LBB182_16
.LBB182_2:
	s_delay_alu instid0(VALU_DEP_2)
	v_cmp_ne_u32_e32 vcc_lo, 1, v1
	v_mov_b32_e32 v9, s2
	s_cbranch_vccz .LBB182_17
.LBB182_3:
	v_cmp_ne_u32_e32 vcc_lo, 1, v1
	v_mov_b32_e32 v10, s3
	s_cbranch_vccnz .LBB182_5
.LBB182_4:
	v_dual_mov_b32 v1, s2 :: v_dual_mov_b32 v2, s3
	flat_load_b32 v10, v[1:2] offset:4
.LBB182_5:
	s_waitcnt vmcnt(0) lgkmcnt(0)
	v_cmp_eq_f32_e32 vcc_lo, 0, v7
	v_cmp_eq_f32_e64 s2, 0, v8
	s_delay_alu instid0(VALU_DEP_1)
	s_and_b32 s4, vcc_lo, s2
	s_mov_b32 s2, -1
	s_and_saveexec_b32 s3, s4
; %bb.6:
	v_cmp_neq_f32_e32 vcc_lo, 1.0, v9
	v_cmp_neq_f32_e64 s2, 0, v10
	s_delay_alu instid0(VALU_DEP_1) | instskip(NEXT) | instid1(SALU_CYCLE_1)
	s_or_b32 s2, vcc_lo, s2
	s_or_not1_b32 s2, s2, exec_lo
; %bb.7:
	s_or_b32 exec_lo, exec_lo, s3
	s_and_saveexec_b32 s3, s2
	s_cbranch_execz .LBB182_29
; %bb.8:
	s_load_b64 s[2:3], s[0:1], 0x0
	v_lshrrev_b32_e32 v1, 2, v0
	s_delay_alu instid0(VALU_DEP_1) | instskip(SKIP_1) | instid1(VALU_DEP_1)
	v_lshl_or_b32 v1, s15, 5, v1
	s_waitcnt lgkmcnt(0)
	v_cmp_gt_i32_e32 vcc_lo, s2, v1
	s_and_b32 exec_lo, exec_lo, vcc_lo
	s_cbranch_execz .LBB182_29
; %bb.9:
	s_load_b256 s[4:11], s[0:1], 0x10
	v_ashrrev_i32_e32 v2, 31, v1
	v_and_b32_e32 v0, 3, v0
	s_cmp_lg_u32 s3, 0
	s_delay_alu instid0(VALU_DEP_2) | instskip(SKIP_1) | instid1(VALU_DEP_1)
	v_lshlrev_b64 v[2:3], 2, v[1:2]
	s_waitcnt lgkmcnt(0)
	v_add_co_u32 v2, vcc_lo, s4, v2
	s_delay_alu instid0(VALU_DEP_2) | instskip(SKIP_4) | instid1(VALU_DEP_2)
	v_add_co_ci_u32_e32 v3, vcc_lo, s5, v3, vcc_lo
	global_load_b64 v[2:3], v[2:3], off
	s_waitcnt vmcnt(0)
	v_subrev_nc_u32_e32 v2, s12, v2
	v_subrev_nc_u32_e32 v13, s12, v3
	v_add_nc_u32_e32 v2, v2, v0
	s_delay_alu instid0(VALU_DEP_1)
	v_cmp_lt_i32_e64 s2, v2, v13
	s_cbranch_scc0 .LBB182_18
; %bb.10:
	v_dual_mov_b32 v11, 0 :: v_dual_mov_b32 v14, 0
	v_dual_mov_b32 v15, 0 :: v_dual_mov_b32 v12, 0
	s_mov_b32 s3, 0
	s_and_saveexec_b32 s4, s2
	s_cbranch_execz .LBB182_14
; %bb.11:
	v_dual_mov_b32 v4, 0 :: v_dual_lshlrev_b32 v3, 4, v2
	v_mov_b32_e32 v5, v2
	s_mov_b32 s5, 0
	s_delay_alu instid0(VALU_DEP_2)
	v_mov_b32_e32 v14, v4
	v_mov_b32_e32 v11, v4
	;; [unrolled: 1-line block ×4, first 2 shown]
.LBB182_12:                             ; =>This Inner Loop Header: Depth=1
	v_ashrrev_i32_e32 v6, 31, v5
	s_delay_alu instid0(VALU_DEP_1) | instskip(SKIP_1) | instid1(VALU_DEP_2)
	v_lshlrev_b64 v[16:17], 2, v[5:6]
	v_add_nc_u32_e32 v5, 4, v5
	v_add_co_u32 v16, vcc_lo, s6, v16
	s_delay_alu instid0(VALU_DEP_3) | instskip(SKIP_3) | instid1(VALU_DEP_2)
	v_add_co_ci_u32_e32 v17, vcc_lo, s7, v17, vcc_lo
	global_load_b32 v6, v[16:17], off
	v_lshlrev_b64 v[16:17], 3, v[3:4]
	v_add_nc_u32_e32 v3, 64, v3
	v_add_co_u32 v60, vcc_lo, s8, v16
	s_delay_alu instid0(VALU_DEP_3) | instskip(SKIP_3) | instid1(VALU_DEP_1)
	v_add_co_ci_u32_e32 v61, vcc_lo, s9, v17, vcc_lo
	global_load_b128 v[16:19], v[60:61], off offset:16
	s_waitcnt vmcnt(1)
	v_subrev_nc_u32_e32 v6, s12, v6
	v_dual_mov_b32 v21, v4 :: v_dual_lshlrev_b32 v20, 3, v6
	s_delay_alu instid0(VALU_DEP_1) | instskip(NEXT) | instid1(VALU_DEP_1)
	v_lshlrev_b64 v[20:21], 3, v[20:21]
	v_add_co_u32 v52, vcc_lo, s10, v20
	s_delay_alu instid0(VALU_DEP_2)
	v_add_co_ci_u32_e32 v53, vcc_lo, s11, v21, vcc_lo
	global_load_b128 v[20:23], v[60:61], off
	s_clause 0x1
	global_load_b128 v[24:27], v[52:53], off
	global_load_b128 v[28:31], v[52:53], off offset:16
	s_clause 0x3
	global_load_b128 v[32:35], v[60:61], off offset:32
	global_load_b128 v[36:39], v[60:61], off offset:48
	global_load_b128 v[40:43], v[60:61], off offset:80
	global_load_b128 v[44:47], v[60:61], off offset:64
	s_clause 0x1
	global_load_b128 v[48:51], v[52:53], off offset:32
	global_load_b128 v[52:55], v[52:53], off offset:48
	s_clause 0x1
	global_load_b128 v[56:59], v[60:61], off offset:96
	global_load_b128 v[60:63], v[60:61], off offset:112
	v_cmp_ge_i32_e32 vcc_lo, v5, v13
	s_or_b32 s5, vcc_lo, s5
	s_waitcnt vmcnt(9)
	v_fmac_f32_e32 v12, v23, v24
	s_delay_alu instid0(VALU_DEP_1) | instskip(NEXT) | instid1(VALU_DEP_1)
	v_dual_fmac_f32 v11, v21, v24 :: v_dual_fmac_f32 v12, v22, v25
	v_fmac_f32_e32 v11, v20, v25
	s_delay_alu instid0(VALU_DEP_1) | instskip(NEXT) | instid1(VALU_DEP_1)
	v_dual_fmac_f32 v14, v20, v24 :: v_dual_fmac_f32 v11, v17, v26
	v_fma_f32 v6, -v21, v25, v14
	v_fmac_f32_e32 v15, v22, v24
	s_delay_alu instid0(VALU_DEP_3) | instskip(NEXT) | instid1(VALU_DEP_3)
	v_fmac_f32_e32 v11, v16, v27
	v_fmac_f32_e32 v6, v16, v26
	s_delay_alu instid0(VALU_DEP_3) | instskip(SKIP_1) | instid1(VALU_DEP_3)
	v_fma_f32 v14, -v23, v25, v15
	s_waitcnt vmcnt(7)
	v_dual_fmac_f32 v12, v19, v26 :: v_dual_fmac_f32 v11, v33, v28
	s_delay_alu instid0(VALU_DEP_3) | instskip(NEXT) | instid1(VALU_DEP_3)
	v_fma_f32 v6, -v17, v27, v6
	v_fmac_f32_e32 v14, v18, v26
	s_delay_alu instid0(VALU_DEP_3) | instskip(NEXT) | instid1(VALU_DEP_3)
	v_dual_fmac_f32 v12, v18, v27 :: v_dual_fmac_f32 v11, v32, v29
	v_fmac_f32_e32 v6, v32, v28
	s_delay_alu instid0(VALU_DEP_3) | instskip(SKIP_1) | instid1(VALU_DEP_3)
	v_fma_f32 v14, -v19, v27, v14
	s_waitcnt vmcnt(6)
	v_fmac_f32_e32 v11, v37, v30
	s_delay_alu instid0(VALU_DEP_3) | instskip(NEXT) | instid1(VALU_DEP_2)
	v_fma_f32 v6, -v33, v29, v6
	v_dual_fmac_f32 v14, v34, v28 :: v_dual_fmac_f32 v11, v36, v31
	s_delay_alu instid0(VALU_DEP_2) | instskip(NEXT) | instid1(VALU_DEP_2)
	v_fmac_f32_e32 v6, v36, v30
	v_fma_f32 v14, -v35, v29, v14
	s_waitcnt vmcnt(3)
	s_delay_alu instid0(VALU_DEP_3) | instskip(SKIP_2) | instid1(VALU_DEP_3)
	v_fmac_f32_e32 v11, v45, v48
	v_fmac_f32_e32 v12, v35, v28
	v_fma_f32 v6, -v37, v31, v6
	v_fmac_f32_e32 v11, v44, v49
	s_delay_alu instid0(VALU_DEP_3) | instskip(NEXT) | instid1(VALU_DEP_2)
	v_fmac_f32_e32 v12, v34, v29
	v_dual_fmac_f32 v6, v44, v48 :: v_dual_fmac_f32 v11, v41, v50
	v_fmac_f32_e32 v14, v38, v30
	s_delay_alu instid0(VALU_DEP_2) | instskip(NEXT) | instid1(VALU_DEP_3)
	v_fma_f32 v6, -v45, v49, v6
	v_dual_fmac_f32 v11, v40, v51 :: v_dual_fmac_f32 v12, v39, v30
	s_delay_alu instid0(VALU_DEP_3) | instskip(SKIP_1) | instid1(VALU_DEP_2)
	v_fma_f32 v14, -v39, v31, v14
	s_waitcnt vmcnt(1)
	v_dual_fmac_f32 v6, v40, v50 :: v_dual_fmac_f32 v11, v57, v52
	s_delay_alu instid0(VALU_DEP_3) | instskip(NEXT) | instid1(VALU_DEP_3)
	v_fmac_f32_e32 v12, v38, v31
	v_fmac_f32_e32 v14, v46, v48
	s_delay_alu instid0(VALU_DEP_3) | instskip(NEXT) | instid1(VALU_DEP_3)
	v_fma_f32 v6, -v41, v51, v6
	v_dual_fmac_f32 v11, v56, v53 :: v_dual_fmac_f32 v12, v47, v48
	s_delay_alu instid0(VALU_DEP_3) | instskip(SKIP_1) | instid1(VALU_DEP_2)
	v_fma_f32 v14, -v47, v49, v14
	s_waitcnt vmcnt(0)
	v_dual_fmac_f32 v11, v61, v54 :: v_dual_fmac_f32 v12, v46, v49
	s_delay_alu instid0(VALU_DEP_1) | instskip(NEXT) | instid1(VALU_DEP_2)
	v_dual_fmac_f32 v14, v42, v50 :: v_dual_fmac_f32 v11, v60, v55
	v_fmac_f32_e32 v12, v43, v50
	s_delay_alu instid0(VALU_DEP_2) | instskip(NEXT) | instid1(VALU_DEP_2)
	v_fma_f32 v14, -v43, v51, v14
	v_fmac_f32_e32 v12, v42, v51
	s_delay_alu instid0(VALU_DEP_2) | instskip(NEXT) | instid1(VALU_DEP_2)
	v_fmac_f32_e32 v14, v58, v52
	v_fmac_f32_e32 v12, v59, v52
	s_delay_alu instid0(VALU_DEP_2) | instskip(SKIP_1) | instid1(VALU_DEP_3)
	v_fma_f32 v15, -v59, v53, v14
	v_fmac_f32_e32 v6, v56, v52
	v_fmac_f32_e32 v12, v58, v53
	s_delay_alu instid0(VALU_DEP_3) | instskip(NEXT) | instid1(VALU_DEP_3)
	v_fmac_f32_e32 v15, v62, v54
	v_fma_f32 v6, -v57, v53, v6
	s_delay_alu instid0(VALU_DEP_3) | instskip(NEXT) | instid1(VALU_DEP_3)
	v_fmac_f32_e32 v12, v63, v54
	v_fma_f32 v15, -v63, v55, v15
	s_delay_alu instid0(VALU_DEP_3) | instskip(NEXT) | instid1(VALU_DEP_3)
	v_fmac_f32_e32 v6, v60, v54
	v_fmac_f32_e32 v12, v62, v55
	s_delay_alu instid0(VALU_DEP_2)
	v_fma_f32 v14, -v61, v55, v6
	s_and_not1_b32 exec_lo, exec_lo, s5
	s_cbranch_execnz .LBB182_12
; %bb.13:
	s_or_b32 exec_lo, exec_lo, s5
.LBB182_14:
	s_delay_alu instid0(SALU_CYCLE_1) | instskip(NEXT) | instid1(SALU_CYCLE_1)
	s_or_b32 exec_lo, exec_lo, s4
	s_and_not1_b32 vcc_lo, exec_lo, s3
	s_cbranch_vccz .LBB182_19
	s_branch .LBB182_24
.LBB182_15:
	v_dual_mov_b32 v1, s4 :: v_dual_mov_b32 v2, s5
	flat_load_b32 v7, v[1:2]
	v_cndmask_b32_e64 v1, 0, 1, s6
	v_mov_b32_e32 v8, s5
	s_and_not1_b32 vcc_lo, exec_lo, s6
	s_cbranch_vccnz .LBB182_2
.LBB182_16:
	v_dual_mov_b32 v2, s4 :: v_dual_mov_b32 v3, s5
	flat_load_b32 v8, v[2:3] offset:4
	v_cmp_ne_u32_e32 vcc_lo, 1, v1
	v_mov_b32_e32 v9, s2
	s_cbranch_vccnz .LBB182_3
.LBB182_17:
	v_dual_mov_b32 v2, s2 :: v_dual_mov_b32 v3, s3
	flat_load_b32 v9, v[2:3]
	v_cmp_ne_u32_e32 vcc_lo, 1, v1
	v_mov_b32_e32 v10, s3
	s_cbranch_vccz .LBB182_4
	s_branch .LBB182_5
.LBB182_18:
                                        ; implicit-def: $vgpr11
                                        ; implicit-def: $vgpr14
                                        ; implicit-def: $vgpr15
                                        ; implicit-def: $vgpr12
.LBB182_19:
	v_dual_mov_b32 v11, 0 :: v_dual_mov_b32 v14, 0
	v_dual_mov_b32 v15, 0 :: v_dual_mov_b32 v12, 0
	s_delay_alu instid0(VALU_DEP_3)
	s_and_saveexec_b32 s3, s2
	s_cbranch_execz .LBB182_23
; %bb.20:
	v_dual_mov_b32 v5, 0 :: v_dual_lshlrev_b32 v4, 4, v2
	s_mov_b32 s2, 0
	s_delay_alu instid0(VALU_DEP_1)
	v_mov_b32_e32 v11, v5
	v_mov_b32_e32 v14, v5
	;; [unrolled: 1-line block ×4, first 2 shown]
.LBB182_21:                             ; =>This Inner Loop Header: Depth=1
	v_ashrrev_i32_e32 v3, 31, v2
	s_delay_alu instid0(VALU_DEP_1) | instskip(SKIP_1) | instid1(VALU_DEP_2)
	v_lshlrev_b64 v[16:17], 2, v[2:3]
	v_add_nc_u32_e32 v2, 4, v2
	v_add_co_u32 v16, vcc_lo, s6, v16
	s_delay_alu instid0(VALU_DEP_3) | instskip(SKIP_2) | instid1(VALU_DEP_1)
	v_add_co_ci_u32_e32 v17, vcc_lo, s7, v17, vcc_lo
	global_load_b32 v3, v[16:17], off
	v_lshlrev_b64 v[16:17], 3, v[4:5]
	v_add_co_u32 v52, vcc_lo, s8, v16
	s_delay_alu instid0(VALU_DEP_2)
	v_add_co_ci_u32_e32 v53, vcc_lo, s9, v17, vcc_lo
	s_clause 0x2
	global_load_b128 v[16:19], v[52:53], off offset:16
	global_load_b128 v[20:23], v[52:53], off
	global_load_b128 v[24:27], v[52:53], off offset:80
	s_waitcnt vmcnt(3)
	v_subrev_nc_u32_e32 v3, s12, v3
	s_delay_alu instid0(VALU_DEP_1) | instskip(NEXT) | instid1(VALU_DEP_1)
	v_dual_mov_b32 v29, v5 :: v_dual_lshlrev_b32 v28, 3, v3
	v_lshlrev_b64 v[28:29], 3, v[28:29]
	s_delay_alu instid0(VALU_DEP_1) | instskip(NEXT) | instid1(VALU_DEP_2)
	v_add_co_u32 v60, vcc_lo, s10, v28
	v_add_co_ci_u32_e32 v61, vcc_lo, s11, v29, vcc_lo
	global_load_b128 v[28:31], v[52:53], off offset:64
	s_clause 0x1
	global_load_b128 v[32:35], v[60:61], off
	global_load_b128 v[36:39], v[60:61], off offset:16
	s_clause 0x3
	global_load_b128 v[40:43], v[52:53], off offset:48
	global_load_b128 v[44:47], v[52:53], off offset:32
	global_load_b128 v[48:51], v[52:53], off offset:112
	global_load_b128 v[52:55], v[52:53], off offset:96
	s_clause 0x1
	global_load_b128 v[56:59], v[60:61], off offset:32
	global_load_b128 v[60:63], v[60:61], off offset:48
	v_cmp_ge_i32_e32 vcc_lo, v2, v13
	s_or_b32 s2, vcc_lo, s2
	s_waitcnt vmcnt(7)
	v_fmac_f32_e32 v15, v28, v32
	v_fmac_f32_e32 v14, v20, v32
	;; [unrolled: 1-line block ×4, first 2 shown]
	s_delay_alu instid0(VALU_DEP_4) | instskip(NEXT) | instid1(VALU_DEP_4)
	v_fma_f32 v6, -v29, v33, v15
	v_fma_f32 v3, -v21, v33, v14
	s_delay_alu instid0(VALU_DEP_4) | instskip(NEXT) | instid1(VALU_DEP_3)
	v_fmac_f32_e32 v12, v28, v33
	v_dual_fmac_f32 v11, v20, v33 :: v_dual_fmac_f32 v6, v30, v34
	s_delay_alu instid0(VALU_DEP_3) | instskip(NEXT) | instid1(VALU_DEP_3)
	v_fmac_f32_e32 v3, v22, v34
	v_fmac_f32_e32 v12, v31, v34
	s_delay_alu instid0(VALU_DEP_3) | instskip(NEXT) | instid1(VALU_DEP_4)
	v_fmac_f32_e32 v11, v23, v34
	v_fma_f32 v6, -v31, v35, v6
	s_delay_alu instid0(VALU_DEP_4) | instskip(NEXT) | instid1(VALU_DEP_4)
	v_fma_f32 v3, -v23, v35, v3
	v_fmac_f32_e32 v12, v30, v35
	s_waitcnt vmcnt(6)
	s_delay_alu instid0(VALU_DEP_3) | instskip(NEXT) | instid1(VALU_DEP_2)
	v_dual_fmac_f32 v11, v22, v35 :: v_dual_fmac_f32 v6, v24, v36
	v_fmac_f32_e32 v12, v25, v36
	s_delay_alu instid0(VALU_DEP_2) | instskip(NEXT) | instid1(VALU_DEP_3)
	v_fmac_f32_e32 v11, v17, v36
	v_fma_f32 v6, -v25, v37, v6
	v_fmac_f32_e32 v3, v16, v36
	s_delay_alu instid0(VALU_DEP_4) | instskip(NEXT) | instid1(VALU_DEP_3)
	v_fmac_f32_e32 v12, v24, v37
	v_dual_fmac_f32 v11, v16, v37 :: v_dual_fmac_f32 v6, v26, v38
	s_delay_alu instid0(VALU_DEP_3) | instskip(NEXT) | instid1(VALU_DEP_3)
	v_fma_f32 v3, -v17, v37, v3
	v_fmac_f32_e32 v12, v27, v38
	s_delay_alu instid0(VALU_DEP_3) | instskip(NEXT) | instid1(VALU_DEP_4)
	v_fmac_f32_e32 v11, v19, v38
	v_fma_f32 v6, -v27, v39, v6
	s_delay_alu instid0(VALU_DEP_4) | instskip(NEXT) | instid1(VALU_DEP_4)
	v_fmac_f32_e32 v3, v18, v38
	v_fmac_f32_e32 v12, v26, v39
	s_waitcnt vmcnt(1)
	s_delay_alu instid0(VALU_DEP_3) | instskip(NEXT) | instid1(VALU_DEP_3)
	v_dual_fmac_f32 v11, v18, v39 :: v_dual_fmac_f32 v6, v52, v56
	v_fma_f32 v3, -v19, v39, v3
	s_delay_alu instid0(VALU_DEP_3) | instskip(NEXT) | instid1(VALU_DEP_3)
	v_fmac_f32_e32 v12, v53, v56
	v_fmac_f32_e32 v11, v45, v56
	s_delay_alu instid0(VALU_DEP_4) | instskip(NEXT) | instid1(VALU_DEP_4)
	v_fma_f32 v6, -v53, v57, v6
	v_fmac_f32_e32 v3, v44, v56
	s_delay_alu instid0(VALU_DEP_4) | instskip(NEXT) | instid1(VALU_DEP_3)
	v_fmac_f32_e32 v12, v52, v57
	v_dual_fmac_f32 v11, v44, v57 :: v_dual_fmac_f32 v6, v54, v58
	s_delay_alu instid0(VALU_DEP_3) | instskip(NEXT) | instid1(VALU_DEP_3)
	v_fma_f32 v3, -v45, v57, v3
	v_fmac_f32_e32 v12, v55, v58
	s_delay_alu instid0(VALU_DEP_3) | instskip(NEXT) | instid1(VALU_DEP_4)
	v_fmac_f32_e32 v11, v47, v58
	v_fma_f32 v6, -v55, v59, v6
	s_delay_alu instid0(VALU_DEP_4) | instskip(NEXT) | instid1(VALU_DEP_4)
	v_fmac_f32_e32 v3, v46, v58
	v_fmac_f32_e32 v12, v54, v59
	s_delay_alu instid0(VALU_DEP_4) | instskip(NEXT) | instid1(VALU_DEP_3)
	v_fmac_f32_e32 v11, v46, v59
	v_fma_f32 v3, -v47, v59, v3
	s_waitcnt vmcnt(0)
	s_delay_alu instid0(VALU_DEP_3) | instskip(NEXT) | instid1(VALU_DEP_3)
	v_fmac_f32_e32 v12, v49, v60
	v_fmac_f32_e32 v11, v41, v60
	s_delay_alu instid0(VALU_DEP_3) | instskip(NEXT) | instid1(VALU_DEP_3)
	v_fmac_f32_e32 v3, v40, v60
	v_fmac_f32_e32 v12, v48, v61
	s_delay_alu instid0(VALU_DEP_3) | instskip(NEXT) | instid1(VALU_DEP_3)
	v_dual_fmac_f32 v11, v40, v61 :: v_dual_add_nc_u32 v4, 64, v4
	v_fma_f32 v3, -v41, v61, v3
	s_delay_alu instid0(VALU_DEP_2) | instskip(NEXT) | instid1(VALU_DEP_4)
	v_dual_fmac_f32 v6, v48, v60 :: v_dual_fmac_f32 v11, v43, v62
	v_fmac_f32_e32 v12, v51, v62
	s_delay_alu instid0(VALU_DEP_3) | instskip(NEXT) | instid1(VALU_DEP_3)
	v_fmac_f32_e32 v3, v42, v62
	v_fma_f32 v6, -v49, v61, v6
	s_delay_alu instid0(VALU_DEP_4) | instskip(NEXT) | instid1(VALU_DEP_4)
	v_fmac_f32_e32 v11, v42, v63
	v_fmac_f32_e32 v12, v50, v63
	s_delay_alu instid0(VALU_DEP_4) | instskip(NEXT) | instid1(VALU_DEP_4)
	v_fma_f32 v14, -v43, v63, v3
	v_fmac_f32_e32 v6, v50, v62
	s_delay_alu instid0(VALU_DEP_1)
	v_fma_f32 v15, -v51, v63, v6
	s_and_not1_b32 exec_lo, exec_lo, s2
	s_cbranch_execnz .LBB182_21
; %bb.22:
	s_or_b32 exec_lo, exec_lo, s2
.LBB182_23:
	s_delay_alu instid0(SALU_CYCLE_1)
	s_or_b32 exec_lo, exec_lo, s3
.LBB182_24:
	v_mbcnt_lo_u32_b32 v2, -1, 0
	s_delay_alu instid0(VALU_DEP_1) | instskip(SKIP_1) | instid1(VALU_DEP_2)
	v_xor_b32_e32 v3, 2, v2
	v_xor_b32_e32 v13, 1, v2
	v_cmp_gt_i32_e32 vcc_lo, 32, v3
	v_cndmask_b32_e32 v3, v2, v3, vcc_lo
	s_delay_alu instid0(VALU_DEP_3) | instskip(SKIP_2) | instid1(VALU_DEP_2)
	v_cmp_gt_i32_e32 vcc_lo, 32, v13
	v_cndmask_b32_e32 v2, v2, v13, vcc_lo
	v_cmp_eq_u32_e32 vcc_lo, 3, v0
	v_lshlrev_b32_e32 v16, 2, v2
	v_lshlrev_b32_e32 v3, 2, v3
	ds_bpermute_b32 v4, v3, v14
	s_waitcnt lgkmcnt(0)
	v_add_f32_e32 v4, v14, v4
	ds_bpermute_b32 v5, v3, v11
	ds_bpermute_b32 v6, v3, v15
	;; [unrolled: 1-line block ×3, first 2 shown]
	s_waitcnt lgkmcnt(2)
	v_add_f32_e32 v5, v11, v5
	s_waitcnt lgkmcnt(0)
	v_dual_add_f32 v2, v15, v6 :: v_dual_add_f32 v3, v12, v3
	ds_bpermute_b32 v12, v16, v4
	ds_bpermute_b32 v13, v16, v5
	ds_bpermute_b32 v6, v16, v2
	ds_bpermute_b32 v11, v16, v3
	s_and_b32 exec_lo, exec_lo, vcc_lo
	s_cbranch_execz .LBB182_29
; %bb.25:
	s_load_b64 s[2:3], s[0:1], 0x38
	v_cmp_eq_f32_e32 vcc_lo, 0, v9
	v_cmp_eq_f32_e64 s0, 0, v10
	s_waitcnt lgkmcnt(0)
	v_dual_add_f32 v0, v4, v12 :: v_dual_add_f32 v3, v3, v11
	v_add_f32_e32 v4, v5, v13
	v_add_f32_e32 v2, v2, v6
	s_and_b32 s0, vcc_lo, s0
	s_delay_alu instid0(SALU_CYCLE_1) | instskip(NEXT) | instid1(SALU_CYCLE_1)
	s_and_saveexec_b32 s1, s0
	s_xor_b32 s0, exec_lo, s1
	s_cbranch_execz .LBB182_27
; %bb.26:
	v_dual_mul_f32 v10, v4, v7 :: v_dual_lshlrev_b32 v5, 1, v1
	v_mul_f32_e64 v9, v4, -v8
	v_mul_f32_e64 v11, v3, -v8
	v_mul_f32_e32 v12, v3, v7
	s_delay_alu instid0(VALU_DEP_4)
	v_ashrrev_i32_e32 v6, 31, v5
	v_fmac_f32_e32 v10, v8, v0
	v_fmac_f32_e32 v9, v7, v0
	;; [unrolled: 1-line block ×4, first 2 shown]
	v_lshlrev_b64 v[4:5], 3, v[5:6]
                                        ; implicit-def: $vgpr7
                                        ; implicit-def: $vgpr8
                                        ; implicit-def: $vgpr2
                                        ; implicit-def: $vgpr3
	s_delay_alu instid0(VALU_DEP_1) | instskip(NEXT) | instid1(VALU_DEP_2)
	v_add_co_u32 v0, vcc_lo, s2, v4
	v_add_co_ci_u32_e32 v1, vcc_lo, s3, v5, vcc_lo
                                        ; implicit-def: $vgpr4
	global_store_b128 v[0:1], v[9:12], off
                                        ; implicit-def: $vgpr9
                                        ; implicit-def: $vgpr10
                                        ; implicit-def: $vgpr1
                                        ; implicit-def: $vgpr0
.LBB182_27:
	s_and_not1_saveexec_b32 s0, s0
	s_cbranch_execz .LBB182_29
; %bb.28:
	v_lshlrev_b32_e32 v5, 1, v1
	v_mul_f32_e64 v15, v4, -v8
	v_mul_f32_e32 v1, v4, v7
	v_mul_f32_e64 v4, v3, -v8
	v_mul_f32_e32 v3, v3, v7
	s_delay_alu instid0(VALU_DEP_4) | instskip(NEXT) | instid1(VALU_DEP_3)
	v_fmac_f32_e32 v15, v7, v0
	v_fmac_f32_e32 v4, v7, v2
	v_ashrrev_i32_e32 v6, 31, v5
	s_delay_alu instid0(VALU_DEP_4) | instskip(NEXT) | instid1(VALU_DEP_2)
	v_fmac_f32_e32 v3, v8, v2
	v_lshlrev_b64 v[5:6], 3, v[5:6]
	s_delay_alu instid0(VALU_DEP_1) | instskip(NEXT) | instid1(VALU_DEP_2)
	v_add_co_u32 v5, vcc_lo, s2, v5
	v_add_co_ci_u32_e32 v6, vcc_lo, s3, v6, vcc_lo
	global_load_b128 v[11:14], v[5:6], off
	s_waitcnt vmcnt(0)
	v_dual_fmac_f32 v4, v9, v13 :: v_dual_fmac_f32 v1, v8, v0
	v_fmac_f32_e32 v15, v9, v11
	v_fmac_f32_e32 v3, v10, v13
	s_delay_alu instid0(VALU_DEP_3) | instskip(NEXT) | instid1(VALU_DEP_4)
	v_fma_f32 v2, -v10, v14, v4
	v_fmac_f32_e32 v1, v10, v11
	s_delay_alu instid0(VALU_DEP_4) | instskip(NEXT) | instid1(VALU_DEP_4)
	v_fma_f32 v0, -v10, v12, v15
	v_fmac_f32_e32 v3, v9, v14
	s_delay_alu instid0(VALU_DEP_3)
	v_fmac_f32_e32 v1, v9, v12
	global_store_b128 v[5:6], v[0:3], off
.LBB182_29:
	s_nop 0
	s_sendmsg sendmsg(MSG_DEALLOC_VGPRS)
	s_endpgm
	.section	.rodata,"a",@progbits
	.p2align	6, 0x0
	.amdhsa_kernel _ZN9rocsparseL19gebsrmvn_2xn_kernelILj128ELj8ELj4E21rocsparse_complex_numIfEEEvi20rocsparse_direction_NS_24const_host_device_scalarIT2_EEPKiS8_PKS5_SA_S6_PS5_21rocsparse_index_base_b
		.amdhsa_group_segment_fixed_size 0
		.amdhsa_private_segment_fixed_size 0
		.amdhsa_kernarg_size 72
		.amdhsa_user_sgpr_count 15
		.amdhsa_user_sgpr_dispatch_ptr 0
		.amdhsa_user_sgpr_queue_ptr 0
		.amdhsa_user_sgpr_kernarg_segment_ptr 1
		.amdhsa_user_sgpr_dispatch_id 0
		.amdhsa_user_sgpr_private_segment_size 0
		.amdhsa_wavefront_size32 1
		.amdhsa_uses_dynamic_stack 0
		.amdhsa_enable_private_segment 0
		.amdhsa_system_sgpr_workgroup_id_x 1
		.amdhsa_system_sgpr_workgroup_id_y 0
		.amdhsa_system_sgpr_workgroup_id_z 0
		.amdhsa_system_sgpr_workgroup_info 0
		.amdhsa_system_vgpr_workitem_id 0
		.amdhsa_next_free_vgpr 64
		.amdhsa_next_free_sgpr 16
		.amdhsa_reserve_vcc 1
		.amdhsa_float_round_mode_32 0
		.amdhsa_float_round_mode_16_64 0
		.amdhsa_float_denorm_mode_32 3
		.amdhsa_float_denorm_mode_16_64 3
		.amdhsa_dx10_clamp 1
		.amdhsa_ieee_mode 1
		.amdhsa_fp16_overflow 0
		.amdhsa_workgroup_processor_mode 1
		.amdhsa_memory_ordered 1
		.amdhsa_forward_progress 0
		.amdhsa_shared_vgpr_count 0
		.amdhsa_exception_fp_ieee_invalid_op 0
		.amdhsa_exception_fp_denorm_src 0
		.amdhsa_exception_fp_ieee_div_zero 0
		.amdhsa_exception_fp_ieee_overflow 0
		.amdhsa_exception_fp_ieee_underflow 0
		.amdhsa_exception_fp_ieee_inexact 0
		.amdhsa_exception_int_div_zero 0
	.end_amdhsa_kernel
	.section	.text._ZN9rocsparseL19gebsrmvn_2xn_kernelILj128ELj8ELj4E21rocsparse_complex_numIfEEEvi20rocsparse_direction_NS_24const_host_device_scalarIT2_EEPKiS8_PKS5_SA_S6_PS5_21rocsparse_index_base_b,"axG",@progbits,_ZN9rocsparseL19gebsrmvn_2xn_kernelILj128ELj8ELj4E21rocsparse_complex_numIfEEEvi20rocsparse_direction_NS_24const_host_device_scalarIT2_EEPKiS8_PKS5_SA_S6_PS5_21rocsparse_index_base_b,comdat
.Lfunc_end182:
	.size	_ZN9rocsparseL19gebsrmvn_2xn_kernelILj128ELj8ELj4E21rocsparse_complex_numIfEEEvi20rocsparse_direction_NS_24const_host_device_scalarIT2_EEPKiS8_PKS5_SA_S6_PS5_21rocsparse_index_base_b, .Lfunc_end182-_ZN9rocsparseL19gebsrmvn_2xn_kernelILj128ELj8ELj4E21rocsparse_complex_numIfEEEvi20rocsparse_direction_NS_24const_host_device_scalarIT2_EEPKiS8_PKS5_SA_S6_PS5_21rocsparse_index_base_b
                                        ; -- End function
	.section	.AMDGPU.csdata,"",@progbits
; Kernel info:
; codeLenInByte = 2420
; NumSgprs: 18
; NumVgprs: 64
; ScratchSize: 0
; MemoryBound: 0
; FloatMode: 240
; IeeeMode: 1
; LDSByteSize: 0 bytes/workgroup (compile time only)
; SGPRBlocks: 2
; VGPRBlocks: 7
; NumSGPRsForWavesPerEU: 18
; NumVGPRsForWavesPerEU: 64
; Occupancy: 16
; WaveLimiterHint : 1
; COMPUTE_PGM_RSRC2:SCRATCH_EN: 0
; COMPUTE_PGM_RSRC2:USER_SGPR: 15
; COMPUTE_PGM_RSRC2:TRAP_HANDLER: 0
; COMPUTE_PGM_RSRC2:TGID_X_EN: 1
; COMPUTE_PGM_RSRC2:TGID_Y_EN: 0
; COMPUTE_PGM_RSRC2:TGID_Z_EN: 0
; COMPUTE_PGM_RSRC2:TIDIG_COMP_CNT: 0
	.section	.text._ZN9rocsparseL19gebsrmvn_2xn_kernelILj128ELj8ELj8E21rocsparse_complex_numIfEEEvi20rocsparse_direction_NS_24const_host_device_scalarIT2_EEPKiS8_PKS5_SA_S6_PS5_21rocsparse_index_base_b,"axG",@progbits,_ZN9rocsparseL19gebsrmvn_2xn_kernelILj128ELj8ELj8E21rocsparse_complex_numIfEEEvi20rocsparse_direction_NS_24const_host_device_scalarIT2_EEPKiS8_PKS5_SA_S6_PS5_21rocsparse_index_base_b,comdat
	.globl	_ZN9rocsparseL19gebsrmvn_2xn_kernelILj128ELj8ELj8E21rocsparse_complex_numIfEEEvi20rocsparse_direction_NS_24const_host_device_scalarIT2_EEPKiS8_PKS5_SA_S6_PS5_21rocsparse_index_base_b ; -- Begin function _ZN9rocsparseL19gebsrmvn_2xn_kernelILj128ELj8ELj8E21rocsparse_complex_numIfEEEvi20rocsparse_direction_NS_24const_host_device_scalarIT2_EEPKiS8_PKS5_SA_S6_PS5_21rocsparse_index_base_b
	.p2align	8
	.type	_ZN9rocsparseL19gebsrmvn_2xn_kernelILj128ELj8ELj8E21rocsparse_complex_numIfEEEvi20rocsparse_direction_NS_24const_host_device_scalarIT2_EEPKiS8_PKS5_SA_S6_PS5_21rocsparse_index_base_b,@function
_ZN9rocsparseL19gebsrmvn_2xn_kernelILj128ELj8ELj8E21rocsparse_complex_numIfEEEvi20rocsparse_direction_NS_24const_host_device_scalarIT2_EEPKiS8_PKS5_SA_S6_PS5_21rocsparse_index_base_b: ; @_ZN9rocsparseL19gebsrmvn_2xn_kernelILj128ELj8ELj8E21rocsparse_complex_numIfEEEvi20rocsparse_direction_NS_24const_host_device_scalarIT2_EEPKiS8_PKS5_SA_S6_PS5_21rocsparse_index_base_b
; %bb.0:
	s_clause 0x2
	s_load_b64 s[12:13], s[0:1], 0x40
	s_load_b64 s[4:5], s[0:1], 0x8
	;; [unrolled: 1-line block ×3, first 2 shown]
	s_waitcnt lgkmcnt(0)
	s_bitcmp1_b32 s13, 0
	v_mov_b32_e32 v7, s4
	s_cselect_b32 s6, -1, 0
	s_delay_alu instid0(SALU_CYCLE_1)
	s_and_b32 vcc_lo, exec_lo, s6
	s_xor_b32 s6, s6, -1
	s_cbranch_vccz .LBB183_15
; %bb.1:
	v_cndmask_b32_e64 v1, 0, 1, s6
	v_mov_b32_e32 v8, s5
	s_and_not1_b32 vcc_lo, exec_lo, s6
	s_cbranch_vccz .LBB183_16
.LBB183_2:
	s_delay_alu instid0(VALU_DEP_2)
	v_cmp_ne_u32_e32 vcc_lo, 1, v1
	v_mov_b32_e32 v9, s2
	s_cbranch_vccz .LBB183_17
.LBB183_3:
	v_cmp_ne_u32_e32 vcc_lo, 1, v1
	v_mov_b32_e32 v10, s3
	s_cbranch_vccnz .LBB183_5
.LBB183_4:
	v_dual_mov_b32 v1, s2 :: v_dual_mov_b32 v2, s3
	flat_load_b32 v10, v[1:2] offset:4
.LBB183_5:
	s_waitcnt vmcnt(0) lgkmcnt(0)
	v_cmp_eq_f32_e32 vcc_lo, 0, v7
	v_cmp_eq_f32_e64 s2, 0, v8
	s_delay_alu instid0(VALU_DEP_1)
	s_and_b32 s4, vcc_lo, s2
	s_mov_b32 s2, -1
	s_and_saveexec_b32 s3, s4
; %bb.6:
	v_cmp_neq_f32_e32 vcc_lo, 1.0, v9
	v_cmp_neq_f32_e64 s2, 0, v10
	s_delay_alu instid0(VALU_DEP_1) | instskip(NEXT) | instid1(SALU_CYCLE_1)
	s_or_b32 s2, vcc_lo, s2
	s_or_not1_b32 s2, s2, exec_lo
; %bb.7:
	s_or_b32 exec_lo, exec_lo, s3
	s_and_saveexec_b32 s3, s2
	s_cbranch_execz .LBB183_29
; %bb.8:
	s_load_b64 s[2:3], s[0:1], 0x0
	v_lshrrev_b32_e32 v1, 3, v0
	s_delay_alu instid0(VALU_DEP_1) | instskip(SKIP_1) | instid1(VALU_DEP_1)
	v_lshl_or_b32 v1, s15, 4, v1
	s_waitcnt lgkmcnt(0)
	v_cmp_gt_i32_e32 vcc_lo, s2, v1
	s_and_b32 exec_lo, exec_lo, vcc_lo
	s_cbranch_execz .LBB183_29
; %bb.9:
	s_load_b256 s[4:11], s[0:1], 0x10
	v_ashrrev_i32_e32 v2, 31, v1
	v_and_b32_e32 v0, 7, v0
	s_cmp_lg_u32 s3, 0
	s_delay_alu instid0(VALU_DEP_2) | instskip(SKIP_1) | instid1(VALU_DEP_1)
	v_lshlrev_b64 v[2:3], 2, v[1:2]
	s_waitcnt lgkmcnt(0)
	v_add_co_u32 v2, vcc_lo, s4, v2
	s_delay_alu instid0(VALU_DEP_2) | instskip(SKIP_4) | instid1(VALU_DEP_2)
	v_add_co_ci_u32_e32 v3, vcc_lo, s5, v3, vcc_lo
	global_load_b64 v[2:3], v[2:3], off
	s_waitcnt vmcnt(0)
	v_subrev_nc_u32_e32 v2, s12, v2
	v_subrev_nc_u32_e32 v13, s12, v3
	v_add_nc_u32_e32 v2, v2, v0
	s_delay_alu instid0(VALU_DEP_1)
	v_cmp_lt_i32_e64 s2, v2, v13
	s_cbranch_scc0 .LBB183_18
; %bb.10:
	v_dual_mov_b32 v11, 0 :: v_dual_mov_b32 v14, 0
	v_dual_mov_b32 v15, 0 :: v_dual_mov_b32 v12, 0
	s_mov_b32 s3, 0
	s_and_saveexec_b32 s4, s2
	s_cbranch_execz .LBB183_14
; %bb.11:
	v_dual_mov_b32 v4, 0 :: v_dual_lshlrev_b32 v3, 4, v2
	v_mov_b32_e32 v5, v2
	s_mov_b32 s5, 0
	s_delay_alu instid0(VALU_DEP_2)
	v_mov_b32_e32 v14, v4
	v_mov_b32_e32 v11, v4
	;; [unrolled: 1-line block ×4, first 2 shown]
.LBB183_12:                             ; =>This Inner Loop Header: Depth=1
	v_ashrrev_i32_e32 v6, 31, v5
	s_delay_alu instid0(VALU_DEP_1) | instskip(SKIP_1) | instid1(VALU_DEP_2)
	v_lshlrev_b64 v[16:17], 2, v[5:6]
	v_add_nc_u32_e32 v5, 8, v5
	v_add_co_u32 v16, vcc_lo, s6, v16
	s_delay_alu instid0(VALU_DEP_3) | instskip(SKIP_3) | instid1(VALU_DEP_2)
	v_add_co_ci_u32_e32 v17, vcc_lo, s7, v17, vcc_lo
	global_load_b32 v6, v[16:17], off
	v_lshlrev_b64 v[16:17], 3, v[3:4]
	v_add_nc_u32_e32 v3, 0x80, v3
	v_add_co_u32 v60, vcc_lo, s8, v16
	s_delay_alu instid0(VALU_DEP_3) | instskip(SKIP_3) | instid1(VALU_DEP_1)
	v_add_co_ci_u32_e32 v61, vcc_lo, s9, v17, vcc_lo
	global_load_b128 v[16:19], v[60:61], off offset:16
	s_waitcnt vmcnt(1)
	v_subrev_nc_u32_e32 v6, s12, v6
	v_dual_mov_b32 v21, v4 :: v_dual_lshlrev_b32 v20, 3, v6
	s_delay_alu instid0(VALU_DEP_1) | instskip(NEXT) | instid1(VALU_DEP_1)
	v_lshlrev_b64 v[20:21], 3, v[20:21]
	v_add_co_u32 v52, vcc_lo, s10, v20
	s_delay_alu instid0(VALU_DEP_2)
	v_add_co_ci_u32_e32 v53, vcc_lo, s11, v21, vcc_lo
	global_load_b128 v[20:23], v[60:61], off
	s_clause 0x1
	global_load_b128 v[24:27], v[52:53], off
	global_load_b128 v[28:31], v[52:53], off offset:16
	s_clause 0x3
	global_load_b128 v[32:35], v[60:61], off offset:32
	global_load_b128 v[36:39], v[60:61], off offset:48
	;; [unrolled: 1-line block ×4, first 2 shown]
	s_clause 0x1
	global_load_b128 v[48:51], v[52:53], off offset:32
	global_load_b128 v[52:55], v[52:53], off offset:48
	s_clause 0x1
	global_load_b128 v[56:59], v[60:61], off offset:96
	global_load_b128 v[60:63], v[60:61], off offset:112
	v_cmp_ge_i32_e32 vcc_lo, v5, v13
	s_or_b32 s5, vcc_lo, s5
	s_waitcnt vmcnt(9)
	v_fmac_f32_e32 v12, v23, v24
	s_delay_alu instid0(VALU_DEP_1) | instskip(NEXT) | instid1(VALU_DEP_1)
	v_dual_fmac_f32 v11, v21, v24 :: v_dual_fmac_f32 v12, v22, v25
	v_fmac_f32_e32 v11, v20, v25
	s_delay_alu instid0(VALU_DEP_1) | instskip(NEXT) | instid1(VALU_DEP_1)
	v_dual_fmac_f32 v14, v20, v24 :: v_dual_fmac_f32 v11, v17, v26
	v_fma_f32 v6, -v21, v25, v14
	v_fmac_f32_e32 v15, v22, v24
	s_delay_alu instid0(VALU_DEP_3) | instskip(NEXT) | instid1(VALU_DEP_3)
	v_fmac_f32_e32 v11, v16, v27
	v_fmac_f32_e32 v6, v16, v26
	s_delay_alu instid0(VALU_DEP_3) | instskip(SKIP_1) | instid1(VALU_DEP_3)
	v_fma_f32 v14, -v23, v25, v15
	s_waitcnt vmcnt(7)
	v_dual_fmac_f32 v12, v19, v26 :: v_dual_fmac_f32 v11, v33, v28
	s_delay_alu instid0(VALU_DEP_3) | instskip(NEXT) | instid1(VALU_DEP_3)
	v_fma_f32 v6, -v17, v27, v6
	v_fmac_f32_e32 v14, v18, v26
	s_delay_alu instid0(VALU_DEP_3) | instskip(NEXT) | instid1(VALU_DEP_3)
	v_dual_fmac_f32 v12, v18, v27 :: v_dual_fmac_f32 v11, v32, v29
	v_fmac_f32_e32 v6, v32, v28
	s_delay_alu instid0(VALU_DEP_3) | instskip(SKIP_1) | instid1(VALU_DEP_3)
	v_fma_f32 v14, -v19, v27, v14
	s_waitcnt vmcnt(6)
	v_fmac_f32_e32 v11, v37, v30
	s_delay_alu instid0(VALU_DEP_3) | instskip(NEXT) | instid1(VALU_DEP_2)
	v_fma_f32 v6, -v33, v29, v6
	v_dual_fmac_f32 v14, v34, v28 :: v_dual_fmac_f32 v11, v36, v31
	s_delay_alu instid0(VALU_DEP_2) | instskip(NEXT) | instid1(VALU_DEP_2)
	v_fmac_f32_e32 v6, v36, v30
	v_fma_f32 v14, -v35, v29, v14
	s_waitcnt vmcnt(3)
	s_delay_alu instid0(VALU_DEP_3) | instskip(SKIP_2) | instid1(VALU_DEP_3)
	v_fmac_f32_e32 v11, v45, v48
	v_fmac_f32_e32 v12, v35, v28
	v_fma_f32 v6, -v37, v31, v6
	v_fmac_f32_e32 v11, v44, v49
	s_delay_alu instid0(VALU_DEP_3) | instskip(NEXT) | instid1(VALU_DEP_2)
	v_fmac_f32_e32 v12, v34, v29
	v_dual_fmac_f32 v6, v44, v48 :: v_dual_fmac_f32 v11, v41, v50
	v_fmac_f32_e32 v14, v38, v30
	s_delay_alu instid0(VALU_DEP_2) | instskip(NEXT) | instid1(VALU_DEP_3)
	v_fma_f32 v6, -v45, v49, v6
	v_dual_fmac_f32 v11, v40, v51 :: v_dual_fmac_f32 v12, v39, v30
	s_delay_alu instid0(VALU_DEP_3) | instskip(SKIP_1) | instid1(VALU_DEP_2)
	v_fma_f32 v14, -v39, v31, v14
	s_waitcnt vmcnt(1)
	v_dual_fmac_f32 v6, v40, v50 :: v_dual_fmac_f32 v11, v57, v52
	s_delay_alu instid0(VALU_DEP_3) | instskip(NEXT) | instid1(VALU_DEP_3)
	v_fmac_f32_e32 v12, v38, v31
	v_fmac_f32_e32 v14, v46, v48
	s_delay_alu instid0(VALU_DEP_3) | instskip(NEXT) | instid1(VALU_DEP_3)
	v_fma_f32 v6, -v41, v51, v6
	v_dual_fmac_f32 v11, v56, v53 :: v_dual_fmac_f32 v12, v47, v48
	s_delay_alu instid0(VALU_DEP_3) | instskip(SKIP_1) | instid1(VALU_DEP_2)
	v_fma_f32 v14, -v47, v49, v14
	s_waitcnt vmcnt(0)
	v_dual_fmac_f32 v11, v61, v54 :: v_dual_fmac_f32 v12, v46, v49
	s_delay_alu instid0(VALU_DEP_1) | instskip(NEXT) | instid1(VALU_DEP_2)
	v_dual_fmac_f32 v14, v42, v50 :: v_dual_fmac_f32 v11, v60, v55
	v_fmac_f32_e32 v12, v43, v50
	s_delay_alu instid0(VALU_DEP_2) | instskip(NEXT) | instid1(VALU_DEP_2)
	v_fma_f32 v14, -v43, v51, v14
	v_fmac_f32_e32 v12, v42, v51
	s_delay_alu instid0(VALU_DEP_2) | instskip(NEXT) | instid1(VALU_DEP_2)
	v_fmac_f32_e32 v14, v58, v52
	v_fmac_f32_e32 v12, v59, v52
	s_delay_alu instid0(VALU_DEP_2) | instskip(SKIP_1) | instid1(VALU_DEP_3)
	v_fma_f32 v15, -v59, v53, v14
	v_fmac_f32_e32 v6, v56, v52
	v_fmac_f32_e32 v12, v58, v53
	s_delay_alu instid0(VALU_DEP_3) | instskip(NEXT) | instid1(VALU_DEP_3)
	v_fmac_f32_e32 v15, v62, v54
	v_fma_f32 v6, -v57, v53, v6
	s_delay_alu instid0(VALU_DEP_3) | instskip(NEXT) | instid1(VALU_DEP_3)
	v_fmac_f32_e32 v12, v63, v54
	v_fma_f32 v15, -v63, v55, v15
	s_delay_alu instid0(VALU_DEP_3) | instskip(NEXT) | instid1(VALU_DEP_3)
	v_fmac_f32_e32 v6, v60, v54
	v_fmac_f32_e32 v12, v62, v55
	s_delay_alu instid0(VALU_DEP_2)
	v_fma_f32 v14, -v61, v55, v6
	s_and_not1_b32 exec_lo, exec_lo, s5
	s_cbranch_execnz .LBB183_12
; %bb.13:
	s_or_b32 exec_lo, exec_lo, s5
.LBB183_14:
	s_delay_alu instid0(SALU_CYCLE_1) | instskip(NEXT) | instid1(SALU_CYCLE_1)
	s_or_b32 exec_lo, exec_lo, s4
	s_and_not1_b32 vcc_lo, exec_lo, s3
	s_cbranch_vccz .LBB183_19
	s_branch .LBB183_24
.LBB183_15:
	v_dual_mov_b32 v1, s4 :: v_dual_mov_b32 v2, s5
	flat_load_b32 v7, v[1:2]
	v_cndmask_b32_e64 v1, 0, 1, s6
	v_mov_b32_e32 v8, s5
	s_and_not1_b32 vcc_lo, exec_lo, s6
	s_cbranch_vccnz .LBB183_2
.LBB183_16:
	v_dual_mov_b32 v2, s4 :: v_dual_mov_b32 v3, s5
	flat_load_b32 v8, v[2:3] offset:4
	v_cmp_ne_u32_e32 vcc_lo, 1, v1
	v_mov_b32_e32 v9, s2
	s_cbranch_vccnz .LBB183_3
.LBB183_17:
	v_dual_mov_b32 v2, s2 :: v_dual_mov_b32 v3, s3
	flat_load_b32 v9, v[2:3]
	v_cmp_ne_u32_e32 vcc_lo, 1, v1
	v_mov_b32_e32 v10, s3
	s_cbranch_vccz .LBB183_4
	s_branch .LBB183_5
.LBB183_18:
                                        ; implicit-def: $vgpr11
                                        ; implicit-def: $vgpr14
                                        ; implicit-def: $vgpr15
                                        ; implicit-def: $vgpr12
.LBB183_19:
	v_dual_mov_b32 v11, 0 :: v_dual_mov_b32 v14, 0
	v_dual_mov_b32 v15, 0 :: v_dual_mov_b32 v12, 0
	s_delay_alu instid0(VALU_DEP_3)
	s_and_saveexec_b32 s3, s2
	s_cbranch_execz .LBB183_23
; %bb.20:
	v_dual_mov_b32 v5, 0 :: v_dual_lshlrev_b32 v4, 4, v2
	s_mov_b32 s2, 0
	s_delay_alu instid0(VALU_DEP_1)
	v_mov_b32_e32 v11, v5
	v_mov_b32_e32 v14, v5
	;; [unrolled: 1-line block ×4, first 2 shown]
.LBB183_21:                             ; =>This Inner Loop Header: Depth=1
	v_ashrrev_i32_e32 v3, 31, v2
	s_delay_alu instid0(VALU_DEP_1) | instskip(SKIP_1) | instid1(VALU_DEP_2)
	v_lshlrev_b64 v[16:17], 2, v[2:3]
	v_add_nc_u32_e32 v2, 8, v2
	v_add_co_u32 v16, vcc_lo, s6, v16
	s_delay_alu instid0(VALU_DEP_3) | instskip(SKIP_2) | instid1(VALU_DEP_1)
	v_add_co_ci_u32_e32 v17, vcc_lo, s7, v17, vcc_lo
	global_load_b32 v3, v[16:17], off
	v_lshlrev_b64 v[16:17], 3, v[4:5]
	v_add_co_u32 v52, vcc_lo, s8, v16
	s_delay_alu instid0(VALU_DEP_2)
	v_add_co_ci_u32_e32 v53, vcc_lo, s9, v17, vcc_lo
	s_clause 0x2
	global_load_b128 v[16:19], v[52:53], off offset:16
	global_load_b128 v[20:23], v[52:53], off
	global_load_b128 v[24:27], v[52:53], off offset:80
	s_waitcnt vmcnt(3)
	v_subrev_nc_u32_e32 v3, s12, v3
	s_delay_alu instid0(VALU_DEP_1) | instskip(NEXT) | instid1(VALU_DEP_1)
	v_dual_mov_b32 v29, v5 :: v_dual_lshlrev_b32 v28, 3, v3
	v_lshlrev_b64 v[28:29], 3, v[28:29]
	s_delay_alu instid0(VALU_DEP_1) | instskip(NEXT) | instid1(VALU_DEP_2)
	v_add_co_u32 v60, vcc_lo, s10, v28
	v_add_co_ci_u32_e32 v61, vcc_lo, s11, v29, vcc_lo
	global_load_b128 v[28:31], v[52:53], off offset:64
	s_clause 0x1
	global_load_b128 v[32:35], v[60:61], off
	global_load_b128 v[36:39], v[60:61], off offset:16
	s_clause 0x3
	global_load_b128 v[40:43], v[52:53], off offset:48
	global_load_b128 v[44:47], v[52:53], off offset:32
	;; [unrolled: 1-line block ×4, first 2 shown]
	s_clause 0x1
	global_load_b128 v[56:59], v[60:61], off offset:32
	global_load_b128 v[60:63], v[60:61], off offset:48
	v_cmp_ge_i32_e32 vcc_lo, v2, v13
	s_or_b32 s2, vcc_lo, s2
	s_waitcnt vmcnt(7)
	v_fmac_f32_e32 v15, v28, v32
	v_fmac_f32_e32 v14, v20, v32
	;; [unrolled: 1-line block ×4, first 2 shown]
	s_delay_alu instid0(VALU_DEP_4) | instskip(NEXT) | instid1(VALU_DEP_4)
	v_fma_f32 v6, -v29, v33, v15
	v_fma_f32 v3, -v21, v33, v14
	s_delay_alu instid0(VALU_DEP_4) | instskip(NEXT) | instid1(VALU_DEP_3)
	v_fmac_f32_e32 v12, v28, v33
	v_dual_fmac_f32 v11, v20, v33 :: v_dual_fmac_f32 v6, v30, v34
	s_delay_alu instid0(VALU_DEP_3) | instskip(NEXT) | instid1(VALU_DEP_3)
	v_fmac_f32_e32 v3, v22, v34
	v_fmac_f32_e32 v12, v31, v34
	s_delay_alu instid0(VALU_DEP_3) | instskip(NEXT) | instid1(VALU_DEP_4)
	v_fmac_f32_e32 v11, v23, v34
	v_fma_f32 v6, -v31, v35, v6
	s_delay_alu instid0(VALU_DEP_4) | instskip(NEXT) | instid1(VALU_DEP_4)
	v_fma_f32 v3, -v23, v35, v3
	v_fmac_f32_e32 v12, v30, v35
	s_waitcnt vmcnt(6)
	s_delay_alu instid0(VALU_DEP_3) | instskip(NEXT) | instid1(VALU_DEP_2)
	v_dual_fmac_f32 v11, v22, v35 :: v_dual_fmac_f32 v6, v24, v36
	v_fmac_f32_e32 v12, v25, v36
	s_delay_alu instid0(VALU_DEP_2) | instskip(NEXT) | instid1(VALU_DEP_3)
	v_fmac_f32_e32 v11, v17, v36
	v_fma_f32 v6, -v25, v37, v6
	v_fmac_f32_e32 v3, v16, v36
	s_delay_alu instid0(VALU_DEP_4) | instskip(NEXT) | instid1(VALU_DEP_3)
	v_fmac_f32_e32 v12, v24, v37
	v_dual_fmac_f32 v11, v16, v37 :: v_dual_fmac_f32 v6, v26, v38
	s_delay_alu instid0(VALU_DEP_3) | instskip(NEXT) | instid1(VALU_DEP_3)
	v_fma_f32 v3, -v17, v37, v3
	v_fmac_f32_e32 v12, v27, v38
	s_delay_alu instid0(VALU_DEP_3) | instskip(NEXT) | instid1(VALU_DEP_4)
	v_fmac_f32_e32 v11, v19, v38
	v_fma_f32 v6, -v27, v39, v6
	s_delay_alu instid0(VALU_DEP_4) | instskip(NEXT) | instid1(VALU_DEP_4)
	v_fmac_f32_e32 v3, v18, v38
	v_fmac_f32_e32 v12, v26, v39
	s_waitcnt vmcnt(1)
	s_delay_alu instid0(VALU_DEP_3) | instskip(NEXT) | instid1(VALU_DEP_3)
	v_dual_fmac_f32 v11, v18, v39 :: v_dual_fmac_f32 v6, v52, v56
	v_fma_f32 v3, -v19, v39, v3
	s_delay_alu instid0(VALU_DEP_3) | instskip(NEXT) | instid1(VALU_DEP_3)
	v_fmac_f32_e32 v12, v53, v56
	v_fmac_f32_e32 v11, v45, v56
	s_delay_alu instid0(VALU_DEP_4) | instskip(NEXT) | instid1(VALU_DEP_4)
	v_fma_f32 v6, -v53, v57, v6
	v_fmac_f32_e32 v3, v44, v56
	s_delay_alu instid0(VALU_DEP_4) | instskip(NEXT) | instid1(VALU_DEP_3)
	v_fmac_f32_e32 v12, v52, v57
	v_dual_fmac_f32 v11, v44, v57 :: v_dual_fmac_f32 v6, v54, v58
	s_delay_alu instid0(VALU_DEP_3) | instskip(NEXT) | instid1(VALU_DEP_3)
	v_fma_f32 v3, -v45, v57, v3
	v_fmac_f32_e32 v12, v55, v58
	s_delay_alu instid0(VALU_DEP_3) | instskip(NEXT) | instid1(VALU_DEP_4)
	v_fmac_f32_e32 v11, v47, v58
	v_fma_f32 v6, -v55, v59, v6
	s_delay_alu instid0(VALU_DEP_4) | instskip(NEXT) | instid1(VALU_DEP_4)
	v_fmac_f32_e32 v3, v46, v58
	v_fmac_f32_e32 v12, v54, v59
	s_delay_alu instid0(VALU_DEP_4) | instskip(NEXT) | instid1(VALU_DEP_3)
	v_fmac_f32_e32 v11, v46, v59
	v_fma_f32 v3, -v47, v59, v3
	s_waitcnt vmcnt(0)
	s_delay_alu instid0(VALU_DEP_3) | instskip(NEXT) | instid1(VALU_DEP_3)
	v_fmac_f32_e32 v12, v49, v60
	v_fmac_f32_e32 v11, v41, v60
	s_delay_alu instid0(VALU_DEP_3) | instskip(NEXT) | instid1(VALU_DEP_3)
	v_fmac_f32_e32 v3, v40, v60
	v_fmac_f32_e32 v12, v48, v61
	s_delay_alu instid0(VALU_DEP_3) | instskip(NEXT) | instid1(VALU_DEP_3)
	v_dual_fmac_f32 v11, v40, v61 :: v_dual_add_nc_u32 v4, 0x80, v4
	v_fma_f32 v3, -v41, v61, v3
	s_delay_alu instid0(VALU_DEP_2) | instskip(NEXT) | instid1(VALU_DEP_4)
	v_dual_fmac_f32 v6, v48, v60 :: v_dual_fmac_f32 v11, v43, v62
	v_fmac_f32_e32 v12, v51, v62
	s_delay_alu instid0(VALU_DEP_3) | instskip(NEXT) | instid1(VALU_DEP_3)
	v_fmac_f32_e32 v3, v42, v62
	v_fma_f32 v6, -v49, v61, v6
	s_delay_alu instid0(VALU_DEP_4) | instskip(NEXT) | instid1(VALU_DEP_4)
	v_fmac_f32_e32 v11, v42, v63
	v_fmac_f32_e32 v12, v50, v63
	s_delay_alu instid0(VALU_DEP_4) | instskip(NEXT) | instid1(VALU_DEP_4)
	v_fma_f32 v14, -v43, v63, v3
	v_fmac_f32_e32 v6, v50, v62
	s_delay_alu instid0(VALU_DEP_1)
	v_fma_f32 v15, -v51, v63, v6
	s_and_not1_b32 exec_lo, exec_lo, s2
	s_cbranch_execnz .LBB183_21
; %bb.22:
	s_or_b32 exec_lo, exec_lo, s2
.LBB183_23:
	s_delay_alu instid0(SALU_CYCLE_1)
	s_or_b32 exec_lo, exec_lo, s3
.LBB183_24:
	v_mbcnt_lo_u32_b32 v2, -1, 0
	s_delay_alu instid0(VALU_DEP_1) | instskip(SKIP_1) | instid1(VALU_DEP_2)
	v_xor_b32_e32 v3, 4, v2
	v_xor_b32_e32 v13, 2, v2
	v_cmp_gt_i32_e32 vcc_lo, 32, v3
	v_cndmask_b32_e32 v3, v2, v3, vcc_lo
	s_delay_alu instid0(VALU_DEP_3) | instskip(NEXT) | instid1(VALU_DEP_2)
	v_cmp_gt_i32_e32 vcc_lo, 32, v13
	v_lshlrev_b32_e32 v3, 2, v3
	ds_bpermute_b32 v4, v3, v14
	s_waitcnt lgkmcnt(0)
	v_add_f32_e32 v4, v14, v4
	ds_bpermute_b32 v6, v3, v15
	v_cndmask_b32_e32 v13, v2, v13, vcc_lo
	ds_bpermute_b32 v5, v3, v11
	ds_bpermute_b32 v3, v3, v12
	s_waitcnt lgkmcnt(2)
	v_add_f32_e32 v6, v15, v6
	v_xor_b32_e32 v15, 1, v2
	s_waitcnt lgkmcnt(0)
	v_add_f32_e32 v3, v12, v3
	s_delay_alu instid0(VALU_DEP_2)
	v_cmp_gt_i32_e32 vcc_lo, 32, v15
	v_dual_cndmask_b32 v2, v2, v15 :: v_dual_lshlrev_b32 v13, 2, v13
	ds_bpermute_b32 v14, v13, v6
	v_add_f32_e32 v5, v11, v5
	ds_bpermute_b32 v11, v13, v4
	v_cmp_eq_u32_e32 vcc_lo, 7, v0
	v_lshlrev_b32_e32 v15, 2, v2
	s_waitcnt lgkmcnt(1)
	v_add_f32_e32 v2, v6, v14
	ds_bpermute_b32 v12, v13, v5
	ds_bpermute_b32 v13, v13, v3
	s_waitcnt lgkmcnt(2)
	v_add_f32_e32 v4, v4, v11
	ds_bpermute_b32 v6, v15, v2
	s_waitcnt lgkmcnt(2)
	v_add_f32_e32 v5, v5, v12
	s_waitcnt lgkmcnt(1)
	v_add_f32_e32 v3, v3, v13
	ds_bpermute_b32 v12, v15, v4
	ds_bpermute_b32 v13, v15, v5
	;; [unrolled: 1-line block ×3, first 2 shown]
	s_and_b32 exec_lo, exec_lo, vcc_lo
	s_cbranch_execz .LBB183_29
; %bb.25:
	s_load_b64 s[2:3], s[0:1], 0x38
	v_cmp_eq_f32_e32 vcc_lo, 0, v9
	v_cmp_eq_f32_e64 s0, 0, v10
	s_waitcnt lgkmcnt(0)
	v_dual_add_f32 v0, v4, v12 :: v_dual_add_f32 v3, v3, v11
	v_add_f32_e32 v4, v5, v13
	v_add_f32_e32 v2, v2, v6
	s_and_b32 s0, vcc_lo, s0
	s_delay_alu instid0(SALU_CYCLE_1) | instskip(NEXT) | instid1(SALU_CYCLE_1)
	s_and_saveexec_b32 s1, s0
	s_xor_b32 s0, exec_lo, s1
	s_cbranch_execz .LBB183_27
; %bb.26:
	v_dual_mul_f32 v10, v4, v7 :: v_dual_lshlrev_b32 v5, 1, v1
	v_mul_f32_e64 v9, v4, -v8
	v_mul_f32_e64 v11, v3, -v8
	v_mul_f32_e32 v12, v3, v7
	s_delay_alu instid0(VALU_DEP_4)
	v_ashrrev_i32_e32 v6, 31, v5
	v_fmac_f32_e32 v10, v8, v0
	v_fmac_f32_e32 v9, v7, v0
	;; [unrolled: 1-line block ×4, first 2 shown]
	v_lshlrev_b64 v[4:5], 3, v[5:6]
                                        ; implicit-def: $vgpr7
                                        ; implicit-def: $vgpr8
                                        ; implicit-def: $vgpr2
                                        ; implicit-def: $vgpr3
	s_delay_alu instid0(VALU_DEP_1) | instskip(NEXT) | instid1(VALU_DEP_2)
	v_add_co_u32 v0, vcc_lo, s2, v4
	v_add_co_ci_u32_e32 v1, vcc_lo, s3, v5, vcc_lo
                                        ; implicit-def: $vgpr4
	global_store_b128 v[0:1], v[9:12], off
                                        ; implicit-def: $vgpr9
                                        ; implicit-def: $vgpr10
                                        ; implicit-def: $vgpr1
                                        ; implicit-def: $vgpr0
.LBB183_27:
	s_and_not1_saveexec_b32 s0, s0
	s_cbranch_execz .LBB183_29
; %bb.28:
	v_lshlrev_b32_e32 v5, 1, v1
	v_mul_f32_e64 v15, v4, -v8
	v_mul_f32_e32 v1, v4, v7
	v_mul_f32_e64 v4, v3, -v8
	v_mul_f32_e32 v3, v3, v7
	s_delay_alu instid0(VALU_DEP_4) | instskip(NEXT) | instid1(VALU_DEP_3)
	v_fmac_f32_e32 v15, v7, v0
	v_fmac_f32_e32 v4, v7, v2
	v_ashrrev_i32_e32 v6, 31, v5
	s_delay_alu instid0(VALU_DEP_4) | instskip(NEXT) | instid1(VALU_DEP_2)
	v_fmac_f32_e32 v3, v8, v2
	v_lshlrev_b64 v[5:6], 3, v[5:6]
	s_delay_alu instid0(VALU_DEP_1) | instskip(NEXT) | instid1(VALU_DEP_2)
	v_add_co_u32 v5, vcc_lo, s2, v5
	v_add_co_ci_u32_e32 v6, vcc_lo, s3, v6, vcc_lo
	global_load_b128 v[11:14], v[5:6], off
	s_waitcnt vmcnt(0)
	v_dual_fmac_f32 v4, v9, v13 :: v_dual_fmac_f32 v1, v8, v0
	v_fmac_f32_e32 v15, v9, v11
	v_fmac_f32_e32 v3, v10, v13
	s_delay_alu instid0(VALU_DEP_3) | instskip(NEXT) | instid1(VALU_DEP_4)
	v_fma_f32 v2, -v10, v14, v4
	v_fmac_f32_e32 v1, v10, v11
	s_delay_alu instid0(VALU_DEP_4) | instskip(NEXT) | instid1(VALU_DEP_4)
	v_fma_f32 v0, -v10, v12, v15
	v_fmac_f32_e32 v3, v9, v14
	s_delay_alu instid0(VALU_DEP_3)
	v_fmac_f32_e32 v1, v9, v12
	global_store_b128 v[5:6], v[0:3], off
.LBB183_29:
	s_nop 0
	s_sendmsg sendmsg(MSG_DEALLOC_VGPRS)
	s_endpgm
	.section	.rodata,"a",@progbits
	.p2align	6, 0x0
	.amdhsa_kernel _ZN9rocsparseL19gebsrmvn_2xn_kernelILj128ELj8ELj8E21rocsparse_complex_numIfEEEvi20rocsparse_direction_NS_24const_host_device_scalarIT2_EEPKiS8_PKS5_SA_S6_PS5_21rocsparse_index_base_b
		.amdhsa_group_segment_fixed_size 0
		.amdhsa_private_segment_fixed_size 0
		.amdhsa_kernarg_size 72
		.amdhsa_user_sgpr_count 15
		.amdhsa_user_sgpr_dispatch_ptr 0
		.amdhsa_user_sgpr_queue_ptr 0
		.amdhsa_user_sgpr_kernarg_segment_ptr 1
		.amdhsa_user_sgpr_dispatch_id 0
		.amdhsa_user_sgpr_private_segment_size 0
		.amdhsa_wavefront_size32 1
		.amdhsa_uses_dynamic_stack 0
		.amdhsa_enable_private_segment 0
		.amdhsa_system_sgpr_workgroup_id_x 1
		.amdhsa_system_sgpr_workgroup_id_y 0
		.amdhsa_system_sgpr_workgroup_id_z 0
		.amdhsa_system_sgpr_workgroup_info 0
		.amdhsa_system_vgpr_workitem_id 0
		.amdhsa_next_free_vgpr 64
		.amdhsa_next_free_sgpr 16
		.amdhsa_reserve_vcc 1
		.amdhsa_float_round_mode_32 0
		.amdhsa_float_round_mode_16_64 0
		.amdhsa_float_denorm_mode_32 3
		.amdhsa_float_denorm_mode_16_64 3
		.amdhsa_dx10_clamp 1
		.amdhsa_ieee_mode 1
		.amdhsa_fp16_overflow 0
		.amdhsa_workgroup_processor_mode 1
		.amdhsa_memory_ordered 1
		.amdhsa_forward_progress 0
		.amdhsa_shared_vgpr_count 0
		.amdhsa_exception_fp_ieee_invalid_op 0
		.amdhsa_exception_fp_denorm_src 0
		.amdhsa_exception_fp_ieee_div_zero 0
		.amdhsa_exception_fp_ieee_overflow 0
		.amdhsa_exception_fp_ieee_underflow 0
		.amdhsa_exception_fp_ieee_inexact 0
		.amdhsa_exception_int_div_zero 0
	.end_amdhsa_kernel
	.section	.text._ZN9rocsparseL19gebsrmvn_2xn_kernelILj128ELj8ELj8E21rocsparse_complex_numIfEEEvi20rocsparse_direction_NS_24const_host_device_scalarIT2_EEPKiS8_PKS5_SA_S6_PS5_21rocsparse_index_base_b,"axG",@progbits,_ZN9rocsparseL19gebsrmvn_2xn_kernelILj128ELj8ELj8E21rocsparse_complex_numIfEEEvi20rocsparse_direction_NS_24const_host_device_scalarIT2_EEPKiS8_PKS5_SA_S6_PS5_21rocsparse_index_base_b,comdat
.Lfunc_end183:
	.size	_ZN9rocsparseL19gebsrmvn_2xn_kernelILj128ELj8ELj8E21rocsparse_complex_numIfEEEvi20rocsparse_direction_NS_24const_host_device_scalarIT2_EEPKiS8_PKS5_SA_S6_PS5_21rocsparse_index_base_b, .Lfunc_end183-_ZN9rocsparseL19gebsrmvn_2xn_kernelILj128ELj8ELj8E21rocsparse_complex_numIfEEEvi20rocsparse_direction_NS_24const_host_device_scalarIT2_EEPKiS8_PKS5_SA_S6_PS5_21rocsparse_index_base_b
                                        ; -- End function
	.section	.AMDGPU.csdata,"",@progbits
; Kernel info:
; codeLenInByte = 2512
; NumSgprs: 18
; NumVgprs: 64
; ScratchSize: 0
; MemoryBound: 0
; FloatMode: 240
; IeeeMode: 1
; LDSByteSize: 0 bytes/workgroup (compile time only)
; SGPRBlocks: 2
; VGPRBlocks: 7
; NumSGPRsForWavesPerEU: 18
; NumVGPRsForWavesPerEU: 64
; Occupancy: 16
; WaveLimiterHint : 1
; COMPUTE_PGM_RSRC2:SCRATCH_EN: 0
; COMPUTE_PGM_RSRC2:USER_SGPR: 15
; COMPUTE_PGM_RSRC2:TRAP_HANDLER: 0
; COMPUTE_PGM_RSRC2:TGID_X_EN: 1
; COMPUTE_PGM_RSRC2:TGID_Y_EN: 0
; COMPUTE_PGM_RSRC2:TGID_Z_EN: 0
; COMPUTE_PGM_RSRC2:TIDIG_COMP_CNT: 0
	.section	.text._ZN9rocsparseL19gebsrmvn_2xn_kernelILj128ELj8ELj16E21rocsparse_complex_numIfEEEvi20rocsparse_direction_NS_24const_host_device_scalarIT2_EEPKiS8_PKS5_SA_S6_PS5_21rocsparse_index_base_b,"axG",@progbits,_ZN9rocsparseL19gebsrmvn_2xn_kernelILj128ELj8ELj16E21rocsparse_complex_numIfEEEvi20rocsparse_direction_NS_24const_host_device_scalarIT2_EEPKiS8_PKS5_SA_S6_PS5_21rocsparse_index_base_b,comdat
	.globl	_ZN9rocsparseL19gebsrmvn_2xn_kernelILj128ELj8ELj16E21rocsparse_complex_numIfEEEvi20rocsparse_direction_NS_24const_host_device_scalarIT2_EEPKiS8_PKS5_SA_S6_PS5_21rocsparse_index_base_b ; -- Begin function _ZN9rocsparseL19gebsrmvn_2xn_kernelILj128ELj8ELj16E21rocsparse_complex_numIfEEEvi20rocsparse_direction_NS_24const_host_device_scalarIT2_EEPKiS8_PKS5_SA_S6_PS5_21rocsparse_index_base_b
	.p2align	8
	.type	_ZN9rocsparseL19gebsrmvn_2xn_kernelILj128ELj8ELj16E21rocsparse_complex_numIfEEEvi20rocsparse_direction_NS_24const_host_device_scalarIT2_EEPKiS8_PKS5_SA_S6_PS5_21rocsparse_index_base_b,@function
_ZN9rocsparseL19gebsrmvn_2xn_kernelILj128ELj8ELj16E21rocsparse_complex_numIfEEEvi20rocsparse_direction_NS_24const_host_device_scalarIT2_EEPKiS8_PKS5_SA_S6_PS5_21rocsparse_index_base_b: ; @_ZN9rocsparseL19gebsrmvn_2xn_kernelILj128ELj8ELj16E21rocsparse_complex_numIfEEEvi20rocsparse_direction_NS_24const_host_device_scalarIT2_EEPKiS8_PKS5_SA_S6_PS5_21rocsparse_index_base_b
; %bb.0:
	s_clause 0x2
	s_load_b64 s[12:13], s[0:1], 0x40
	s_load_b64 s[4:5], s[0:1], 0x8
	;; [unrolled: 1-line block ×3, first 2 shown]
	s_waitcnt lgkmcnt(0)
	s_bitcmp1_b32 s13, 0
	v_mov_b32_e32 v7, s4
	s_cselect_b32 s6, -1, 0
	s_delay_alu instid0(SALU_CYCLE_1)
	s_and_b32 vcc_lo, exec_lo, s6
	s_xor_b32 s6, s6, -1
	s_cbranch_vccz .LBB184_15
; %bb.1:
	v_cndmask_b32_e64 v1, 0, 1, s6
	v_mov_b32_e32 v8, s5
	s_and_not1_b32 vcc_lo, exec_lo, s6
	s_cbranch_vccz .LBB184_16
.LBB184_2:
	s_delay_alu instid0(VALU_DEP_2)
	v_cmp_ne_u32_e32 vcc_lo, 1, v1
	v_mov_b32_e32 v9, s2
	s_cbranch_vccz .LBB184_17
.LBB184_3:
	v_cmp_ne_u32_e32 vcc_lo, 1, v1
	v_mov_b32_e32 v10, s3
	s_cbranch_vccnz .LBB184_5
.LBB184_4:
	v_dual_mov_b32 v1, s2 :: v_dual_mov_b32 v2, s3
	flat_load_b32 v10, v[1:2] offset:4
.LBB184_5:
	s_waitcnt vmcnt(0) lgkmcnt(0)
	v_cmp_eq_f32_e32 vcc_lo, 0, v7
	v_cmp_eq_f32_e64 s2, 0, v8
	s_delay_alu instid0(VALU_DEP_1)
	s_and_b32 s4, vcc_lo, s2
	s_mov_b32 s2, -1
	s_and_saveexec_b32 s3, s4
; %bb.6:
	v_cmp_neq_f32_e32 vcc_lo, 1.0, v9
	v_cmp_neq_f32_e64 s2, 0, v10
	s_delay_alu instid0(VALU_DEP_1) | instskip(NEXT) | instid1(SALU_CYCLE_1)
	s_or_b32 s2, vcc_lo, s2
	s_or_not1_b32 s2, s2, exec_lo
; %bb.7:
	s_or_b32 exec_lo, exec_lo, s3
	s_and_saveexec_b32 s3, s2
	s_cbranch_execz .LBB184_29
; %bb.8:
	s_load_b64 s[2:3], s[0:1], 0x0
	v_lshrrev_b32_e32 v1, 4, v0
	s_delay_alu instid0(VALU_DEP_1) | instskip(SKIP_1) | instid1(VALU_DEP_1)
	v_lshl_or_b32 v1, s15, 3, v1
	s_waitcnt lgkmcnt(0)
	v_cmp_gt_i32_e32 vcc_lo, s2, v1
	s_and_b32 exec_lo, exec_lo, vcc_lo
	s_cbranch_execz .LBB184_29
; %bb.9:
	s_load_b256 s[4:11], s[0:1], 0x10
	v_ashrrev_i32_e32 v2, 31, v1
	v_and_b32_e32 v0, 15, v0
	s_cmp_lg_u32 s3, 0
	s_delay_alu instid0(VALU_DEP_2) | instskip(SKIP_1) | instid1(VALU_DEP_1)
	v_lshlrev_b64 v[2:3], 2, v[1:2]
	s_waitcnt lgkmcnt(0)
	v_add_co_u32 v2, vcc_lo, s4, v2
	s_delay_alu instid0(VALU_DEP_2) | instskip(SKIP_4) | instid1(VALU_DEP_2)
	v_add_co_ci_u32_e32 v3, vcc_lo, s5, v3, vcc_lo
	global_load_b64 v[2:3], v[2:3], off
	s_waitcnt vmcnt(0)
	v_subrev_nc_u32_e32 v2, s12, v2
	v_subrev_nc_u32_e32 v13, s12, v3
	v_add_nc_u32_e32 v2, v2, v0
	s_delay_alu instid0(VALU_DEP_1)
	v_cmp_lt_i32_e64 s2, v2, v13
	s_cbranch_scc0 .LBB184_18
; %bb.10:
	v_dual_mov_b32 v11, 0 :: v_dual_mov_b32 v14, 0
	v_dual_mov_b32 v15, 0 :: v_dual_mov_b32 v12, 0
	s_mov_b32 s3, 0
	s_and_saveexec_b32 s4, s2
	s_cbranch_execz .LBB184_14
; %bb.11:
	v_dual_mov_b32 v4, 0 :: v_dual_lshlrev_b32 v3, 4, v2
	v_mov_b32_e32 v5, v2
	s_mov_b32 s5, 0
	s_delay_alu instid0(VALU_DEP_2)
	v_mov_b32_e32 v14, v4
	v_mov_b32_e32 v11, v4
	;; [unrolled: 1-line block ×4, first 2 shown]
.LBB184_12:                             ; =>This Inner Loop Header: Depth=1
	v_ashrrev_i32_e32 v6, 31, v5
	s_delay_alu instid0(VALU_DEP_1) | instskip(SKIP_1) | instid1(VALU_DEP_2)
	v_lshlrev_b64 v[16:17], 2, v[5:6]
	v_add_nc_u32_e32 v5, 16, v5
	v_add_co_u32 v16, vcc_lo, s6, v16
	s_delay_alu instid0(VALU_DEP_3) | instskip(SKIP_3) | instid1(VALU_DEP_2)
	v_add_co_ci_u32_e32 v17, vcc_lo, s7, v17, vcc_lo
	global_load_b32 v6, v[16:17], off
	v_lshlrev_b64 v[16:17], 3, v[3:4]
	v_add_nc_u32_e32 v3, 0x100, v3
	v_add_co_u32 v60, vcc_lo, s8, v16
	s_delay_alu instid0(VALU_DEP_3) | instskip(SKIP_3) | instid1(VALU_DEP_1)
	v_add_co_ci_u32_e32 v61, vcc_lo, s9, v17, vcc_lo
	global_load_b128 v[16:19], v[60:61], off offset:16
	s_waitcnt vmcnt(1)
	v_subrev_nc_u32_e32 v6, s12, v6
	v_dual_mov_b32 v21, v4 :: v_dual_lshlrev_b32 v20, 3, v6
	s_delay_alu instid0(VALU_DEP_1) | instskip(NEXT) | instid1(VALU_DEP_1)
	v_lshlrev_b64 v[20:21], 3, v[20:21]
	v_add_co_u32 v52, vcc_lo, s10, v20
	s_delay_alu instid0(VALU_DEP_2)
	v_add_co_ci_u32_e32 v53, vcc_lo, s11, v21, vcc_lo
	global_load_b128 v[20:23], v[60:61], off
	s_clause 0x1
	global_load_b128 v[24:27], v[52:53], off
	global_load_b128 v[28:31], v[52:53], off offset:16
	s_clause 0x3
	global_load_b128 v[32:35], v[60:61], off offset:32
	global_load_b128 v[36:39], v[60:61], off offset:48
	;; [unrolled: 1-line block ×4, first 2 shown]
	s_clause 0x1
	global_load_b128 v[48:51], v[52:53], off offset:32
	global_load_b128 v[52:55], v[52:53], off offset:48
	s_clause 0x1
	global_load_b128 v[56:59], v[60:61], off offset:96
	global_load_b128 v[60:63], v[60:61], off offset:112
	v_cmp_ge_i32_e32 vcc_lo, v5, v13
	s_or_b32 s5, vcc_lo, s5
	s_waitcnt vmcnt(9)
	v_fmac_f32_e32 v12, v23, v24
	s_delay_alu instid0(VALU_DEP_1) | instskip(NEXT) | instid1(VALU_DEP_1)
	v_dual_fmac_f32 v11, v21, v24 :: v_dual_fmac_f32 v12, v22, v25
	v_fmac_f32_e32 v11, v20, v25
	s_delay_alu instid0(VALU_DEP_1) | instskip(NEXT) | instid1(VALU_DEP_1)
	v_dual_fmac_f32 v14, v20, v24 :: v_dual_fmac_f32 v11, v17, v26
	v_fma_f32 v6, -v21, v25, v14
	v_fmac_f32_e32 v15, v22, v24
	s_delay_alu instid0(VALU_DEP_3) | instskip(NEXT) | instid1(VALU_DEP_3)
	v_fmac_f32_e32 v11, v16, v27
	v_fmac_f32_e32 v6, v16, v26
	s_delay_alu instid0(VALU_DEP_3) | instskip(SKIP_1) | instid1(VALU_DEP_3)
	v_fma_f32 v14, -v23, v25, v15
	s_waitcnt vmcnt(7)
	v_dual_fmac_f32 v12, v19, v26 :: v_dual_fmac_f32 v11, v33, v28
	s_delay_alu instid0(VALU_DEP_3) | instskip(NEXT) | instid1(VALU_DEP_3)
	v_fma_f32 v6, -v17, v27, v6
	v_fmac_f32_e32 v14, v18, v26
	s_delay_alu instid0(VALU_DEP_3) | instskip(NEXT) | instid1(VALU_DEP_3)
	v_dual_fmac_f32 v12, v18, v27 :: v_dual_fmac_f32 v11, v32, v29
	v_fmac_f32_e32 v6, v32, v28
	s_delay_alu instid0(VALU_DEP_3) | instskip(SKIP_1) | instid1(VALU_DEP_3)
	v_fma_f32 v14, -v19, v27, v14
	s_waitcnt vmcnt(6)
	v_fmac_f32_e32 v11, v37, v30
	s_delay_alu instid0(VALU_DEP_3) | instskip(NEXT) | instid1(VALU_DEP_2)
	v_fma_f32 v6, -v33, v29, v6
	v_dual_fmac_f32 v14, v34, v28 :: v_dual_fmac_f32 v11, v36, v31
	s_delay_alu instid0(VALU_DEP_2) | instskip(NEXT) | instid1(VALU_DEP_2)
	v_fmac_f32_e32 v6, v36, v30
	v_fma_f32 v14, -v35, v29, v14
	s_waitcnt vmcnt(3)
	s_delay_alu instid0(VALU_DEP_3) | instskip(SKIP_2) | instid1(VALU_DEP_3)
	v_fmac_f32_e32 v11, v45, v48
	v_fmac_f32_e32 v12, v35, v28
	v_fma_f32 v6, -v37, v31, v6
	v_fmac_f32_e32 v11, v44, v49
	s_delay_alu instid0(VALU_DEP_3) | instskip(NEXT) | instid1(VALU_DEP_2)
	v_fmac_f32_e32 v12, v34, v29
	v_dual_fmac_f32 v6, v44, v48 :: v_dual_fmac_f32 v11, v41, v50
	v_fmac_f32_e32 v14, v38, v30
	s_delay_alu instid0(VALU_DEP_2) | instskip(NEXT) | instid1(VALU_DEP_3)
	v_fma_f32 v6, -v45, v49, v6
	v_dual_fmac_f32 v11, v40, v51 :: v_dual_fmac_f32 v12, v39, v30
	s_delay_alu instid0(VALU_DEP_3) | instskip(SKIP_1) | instid1(VALU_DEP_2)
	v_fma_f32 v14, -v39, v31, v14
	s_waitcnt vmcnt(1)
	v_dual_fmac_f32 v6, v40, v50 :: v_dual_fmac_f32 v11, v57, v52
	s_delay_alu instid0(VALU_DEP_3) | instskip(NEXT) | instid1(VALU_DEP_3)
	v_fmac_f32_e32 v12, v38, v31
	v_fmac_f32_e32 v14, v46, v48
	s_delay_alu instid0(VALU_DEP_3) | instskip(NEXT) | instid1(VALU_DEP_3)
	v_fma_f32 v6, -v41, v51, v6
	v_dual_fmac_f32 v11, v56, v53 :: v_dual_fmac_f32 v12, v47, v48
	s_delay_alu instid0(VALU_DEP_3) | instskip(SKIP_1) | instid1(VALU_DEP_2)
	v_fma_f32 v14, -v47, v49, v14
	s_waitcnt vmcnt(0)
	v_dual_fmac_f32 v11, v61, v54 :: v_dual_fmac_f32 v12, v46, v49
	s_delay_alu instid0(VALU_DEP_1) | instskip(NEXT) | instid1(VALU_DEP_2)
	v_dual_fmac_f32 v14, v42, v50 :: v_dual_fmac_f32 v11, v60, v55
	v_fmac_f32_e32 v12, v43, v50
	s_delay_alu instid0(VALU_DEP_2) | instskip(NEXT) | instid1(VALU_DEP_2)
	v_fma_f32 v14, -v43, v51, v14
	v_fmac_f32_e32 v12, v42, v51
	s_delay_alu instid0(VALU_DEP_2) | instskip(NEXT) | instid1(VALU_DEP_2)
	v_fmac_f32_e32 v14, v58, v52
	v_fmac_f32_e32 v12, v59, v52
	s_delay_alu instid0(VALU_DEP_2) | instskip(SKIP_1) | instid1(VALU_DEP_3)
	v_fma_f32 v15, -v59, v53, v14
	v_fmac_f32_e32 v6, v56, v52
	v_fmac_f32_e32 v12, v58, v53
	s_delay_alu instid0(VALU_DEP_3) | instskip(NEXT) | instid1(VALU_DEP_3)
	v_fmac_f32_e32 v15, v62, v54
	v_fma_f32 v6, -v57, v53, v6
	s_delay_alu instid0(VALU_DEP_3) | instskip(NEXT) | instid1(VALU_DEP_3)
	v_fmac_f32_e32 v12, v63, v54
	v_fma_f32 v15, -v63, v55, v15
	s_delay_alu instid0(VALU_DEP_3) | instskip(NEXT) | instid1(VALU_DEP_3)
	v_fmac_f32_e32 v6, v60, v54
	v_fmac_f32_e32 v12, v62, v55
	s_delay_alu instid0(VALU_DEP_2)
	v_fma_f32 v14, -v61, v55, v6
	s_and_not1_b32 exec_lo, exec_lo, s5
	s_cbranch_execnz .LBB184_12
; %bb.13:
	s_or_b32 exec_lo, exec_lo, s5
.LBB184_14:
	s_delay_alu instid0(SALU_CYCLE_1) | instskip(NEXT) | instid1(SALU_CYCLE_1)
	s_or_b32 exec_lo, exec_lo, s4
	s_and_not1_b32 vcc_lo, exec_lo, s3
	s_cbranch_vccz .LBB184_19
	s_branch .LBB184_24
.LBB184_15:
	v_dual_mov_b32 v1, s4 :: v_dual_mov_b32 v2, s5
	flat_load_b32 v7, v[1:2]
	v_cndmask_b32_e64 v1, 0, 1, s6
	v_mov_b32_e32 v8, s5
	s_and_not1_b32 vcc_lo, exec_lo, s6
	s_cbranch_vccnz .LBB184_2
.LBB184_16:
	v_dual_mov_b32 v2, s4 :: v_dual_mov_b32 v3, s5
	flat_load_b32 v8, v[2:3] offset:4
	v_cmp_ne_u32_e32 vcc_lo, 1, v1
	v_mov_b32_e32 v9, s2
	s_cbranch_vccnz .LBB184_3
.LBB184_17:
	v_dual_mov_b32 v2, s2 :: v_dual_mov_b32 v3, s3
	flat_load_b32 v9, v[2:3]
	v_cmp_ne_u32_e32 vcc_lo, 1, v1
	v_mov_b32_e32 v10, s3
	s_cbranch_vccz .LBB184_4
	s_branch .LBB184_5
.LBB184_18:
                                        ; implicit-def: $vgpr11
                                        ; implicit-def: $vgpr14
                                        ; implicit-def: $vgpr15
                                        ; implicit-def: $vgpr12
.LBB184_19:
	v_dual_mov_b32 v11, 0 :: v_dual_mov_b32 v14, 0
	v_dual_mov_b32 v15, 0 :: v_dual_mov_b32 v12, 0
	s_delay_alu instid0(VALU_DEP_3)
	s_and_saveexec_b32 s3, s2
	s_cbranch_execz .LBB184_23
; %bb.20:
	v_dual_mov_b32 v5, 0 :: v_dual_lshlrev_b32 v4, 4, v2
	s_mov_b32 s2, 0
	s_delay_alu instid0(VALU_DEP_1)
	v_mov_b32_e32 v11, v5
	v_mov_b32_e32 v14, v5
	;; [unrolled: 1-line block ×4, first 2 shown]
.LBB184_21:                             ; =>This Inner Loop Header: Depth=1
	v_ashrrev_i32_e32 v3, 31, v2
	s_delay_alu instid0(VALU_DEP_1) | instskip(SKIP_1) | instid1(VALU_DEP_2)
	v_lshlrev_b64 v[16:17], 2, v[2:3]
	v_add_nc_u32_e32 v2, 16, v2
	v_add_co_u32 v16, vcc_lo, s6, v16
	s_delay_alu instid0(VALU_DEP_3) | instskip(SKIP_2) | instid1(VALU_DEP_1)
	v_add_co_ci_u32_e32 v17, vcc_lo, s7, v17, vcc_lo
	global_load_b32 v3, v[16:17], off
	v_lshlrev_b64 v[16:17], 3, v[4:5]
	v_add_co_u32 v52, vcc_lo, s8, v16
	s_delay_alu instid0(VALU_DEP_2)
	v_add_co_ci_u32_e32 v53, vcc_lo, s9, v17, vcc_lo
	s_clause 0x2
	global_load_b128 v[16:19], v[52:53], off offset:16
	global_load_b128 v[20:23], v[52:53], off
	global_load_b128 v[24:27], v[52:53], off offset:80
	s_waitcnt vmcnt(3)
	v_subrev_nc_u32_e32 v3, s12, v3
	s_delay_alu instid0(VALU_DEP_1) | instskip(NEXT) | instid1(VALU_DEP_1)
	v_dual_mov_b32 v29, v5 :: v_dual_lshlrev_b32 v28, 3, v3
	v_lshlrev_b64 v[28:29], 3, v[28:29]
	s_delay_alu instid0(VALU_DEP_1) | instskip(NEXT) | instid1(VALU_DEP_2)
	v_add_co_u32 v60, vcc_lo, s10, v28
	v_add_co_ci_u32_e32 v61, vcc_lo, s11, v29, vcc_lo
	global_load_b128 v[28:31], v[52:53], off offset:64
	s_clause 0x1
	global_load_b128 v[32:35], v[60:61], off
	global_load_b128 v[36:39], v[60:61], off offset:16
	s_clause 0x3
	global_load_b128 v[40:43], v[52:53], off offset:48
	global_load_b128 v[44:47], v[52:53], off offset:32
	;; [unrolled: 1-line block ×4, first 2 shown]
	s_clause 0x1
	global_load_b128 v[56:59], v[60:61], off offset:32
	global_load_b128 v[60:63], v[60:61], off offset:48
	v_cmp_ge_i32_e32 vcc_lo, v2, v13
	s_or_b32 s2, vcc_lo, s2
	s_waitcnt vmcnt(7)
	v_fmac_f32_e32 v15, v28, v32
	v_fmac_f32_e32 v14, v20, v32
	;; [unrolled: 1-line block ×4, first 2 shown]
	s_delay_alu instid0(VALU_DEP_4) | instskip(NEXT) | instid1(VALU_DEP_4)
	v_fma_f32 v6, -v29, v33, v15
	v_fma_f32 v3, -v21, v33, v14
	s_delay_alu instid0(VALU_DEP_4) | instskip(NEXT) | instid1(VALU_DEP_3)
	v_fmac_f32_e32 v12, v28, v33
	v_dual_fmac_f32 v11, v20, v33 :: v_dual_fmac_f32 v6, v30, v34
	s_delay_alu instid0(VALU_DEP_3) | instskip(NEXT) | instid1(VALU_DEP_3)
	v_fmac_f32_e32 v3, v22, v34
	v_fmac_f32_e32 v12, v31, v34
	s_delay_alu instid0(VALU_DEP_3) | instskip(NEXT) | instid1(VALU_DEP_4)
	v_fmac_f32_e32 v11, v23, v34
	v_fma_f32 v6, -v31, v35, v6
	s_delay_alu instid0(VALU_DEP_4) | instskip(NEXT) | instid1(VALU_DEP_4)
	v_fma_f32 v3, -v23, v35, v3
	v_fmac_f32_e32 v12, v30, v35
	s_waitcnt vmcnt(6)
	s_delay_alu instid0(VALU_DEP_3) | instskip(NEXT) | instid1(VALU_DEP_2)
	v_dual_fmac_f32 v11, v22, v35 :: v_dual_fmac_f32 v6, v24, v36
	v_fmac_f32_e32 v12, v25, v36
	s_delay_alu instid0(VALU_DEP_2) | instskip(NEXT) | instid1(VALU_DEP_3)
	v_fmac_f32_e32 v11, v17, v36
	v_fma_f32 v6, -v25, v37, v6
	v_fmac_f32_e32 v3, v16, v36
	s_delay_alu instid0(VALU_DEP_4) | instskip(NEXT) | instid1(VALU_DEP_3)
	v_fmac_f32_e32 v12, v24, v37
	v_dual_fmac_f32 v11, v16, v37 :: v_dual_fmac_f32 v6, v26, v38
	s_delay_alu instid0(VALU_DEP_3) | instskip(NEXT) | instid1(VALU_DEP_3)
	v_fma_f32 v3, -v17, v37, v3
	v_fmac_f32_e32 v12, v27, v38
	s_delay_alu instid0(VALU_DEP_3) | instskip(NEXT) | instid1(VALU_DEP_4)
	v_fmac_f32_e32 v11, v19, v38
	v_fma_f32 v6, -v27, v39, v6
	s_delay_alu instid0(VALU_DEP_4) | instskip(NEXT) | instid1(VALU_DEP_4)
	v_fmac_f32_e32 v3, v18, v38
	v_fmac_f32_e32 v12, v26, v39
	s_waitcnt vmcnt(1)
	s_delay_alu instid0(VALU_DEP_3) | instskip(NEXT) | instid1(VALU_DEP_3)
	v_dual_fmac_f32 v11, v18, v39 :: v_dual_fmac_f32 v6, v52, v56
	v_fma_f32 v3, -v19, v39, v3
	s_delay_alu instid0(VALU_DEP_3) | instskip(NEXT) | instid1(VALU_DEP_3)
	v_fmac_f32_e32 v12, v53, v56
	v_fmac_f32_e32 v11, v45, v56
	s_delay_alu instid0(VALU_DEP_4) | instskip(NEXT) | instid1(VALU_DEP_4)
	v_fma_f32 v6, -v53, v57, v6
	v_fmac_f32_e32 v3, v44, v56
	s_delay_alu instid0(VALU_DEP_4) | instskip(NEXT) | instid1(VALU_DEP_3)
	v_fmac_f32_e32 v12, v52, v57
	v_dual_fmac_f32 v11, v44, v57 :: v_dual_fmac_f32 v6, v54, v58
	s_delay_alu instid0(VALU_DEP_3) | instskip(NEXT) | instid1(VALU_DEP_3)
	v_fma_f32 v3, -v45, v57, v3
	v_fmac_f32_e32 v12, v55, v58
	s_delay_alu instid0(VALU_DEP_3) | instskip(NEXT) | instid1(VALU_DEP_4)
	v_fmac_f32_e32 v11, v47, v58
	v_fma_f32 v6, -v55, v59, v6
	s_delay_alu instid0(VALU_DEP_4) | instskip(NEXT) | instid1(VALU_DEP_4)
	v_fmac_f32_e32 v3, v46, v58
	v_fmac_f32_e32 v12, v54, v59
	s_delay_alu instid0(VALU_DEP_4) | instskip(NEXT) | instid1(VALU_DEP_3)
	v_fmac_f32_e32 v11, v46, v59
	v_fma_f32 v3, -v47, v59, v3
	s_waitcnt vmcnt(0)
	s_delay_alu instid0(VALU_DEP_3) | instskip(NEXT) | instid1(VALU_DEP_3)
	v_fmac_f32_e32 v12, v49, v60
	v_fmac_f32_e32 v11, v41, v60
	s_delay_alu instid0(VALU_DEP_3) | instskip(NEXT) | instid1(VALU_DEP_3)
	v_fmac_f32_e32 v3, v40, v60
	v_fmac_f32_e32 v12, v48, v61
	s_delay_alu instid0(VALU_DEP_3) | instskip(NEXT) | instid1(VALU_DEP_3)
	v_dual_fmac_f32 v11, v40, v61 :: v_dual_add_nc_u32 v4, 0x100, v4
	v_fma_f32 v3, -v41, v61, v3
	s_delay_alu instid0(VALU_DEP_2) | instskip(NEXT) | instid1(VALU_DEP_4)
	v_dual_fmac_f32 v6, v48, v60 :: v_dual_fmac_f32 v11, v43, v62
	v_fmac_f32_e32 v12, v51, v62
	s_delay_alu instid0(VALU_DEP_3) | instskip(NEXT) | instid1(VALU_DEP_3)
	v_fmac_f32_e32 v3, v42, v62
	v_fma_f32 v6, -v49, v61, v6
	s_delay_alu instid0(VALU_DEP_4) | instskip(NEXT) | instid1(VALU_DEP_4)
	v_fmac_f32_e32 v11, v42, v63
	v_fmac_f32_e32 v12, v50, v63
	s_delay_alu instid0(VALU_DEP_4) | instskip(NEXT) | instid1(VALU_DEP_4)
	v_fma_f32 v14, -v43, v63, v3
	v_fmac_f32_e32 v6, v50, v62
	s_delay_alu instid0(VALU_DEP_1)
	v_fma_f32 v15, -v51, v63, v6
	s_and_not1_b32 exec_lo, exec_lo, s2
	s_cbranch_execnz .LBB184_21
; %bb.22:
	s_or_b32 exec_lo, exec_lo, s2
.LBB184_23:
	s_delay_alu instid0(SALU_CYCLE_1)
	s_or_b32 exec_lo, exec_lo, s3
.LBB184_24:
	v_mbcnt_lo_u32_b32 v2, -1, 0
	s_delay_alu instid0(VALU_DEP_1) | instskip(SKIP_1) | instid1(VALU_DEP_2)
	v_xor_b32_e32 v3, 8, v2
	v_xor_b32_e32 v13, 4, v2
	v_cmp_gt_i32_e32 vcc_lo, 32, v3
	v_cndmask_b32_e32 v3, v2, v3, vcc_lo
	s_delay_alu instid0(VALU_DEP_3) | instskip(NEXT) | instid1(VALU_DEP_2)
	v_cmp_gt_i32_e32 vcc_lo, 32, v13
	v_lshlrev_b32_e32 v3, 2, v3
	ds_bpermute_b32 v4, v3, v14
	s_waitcnt lgkmcnt(0)
	v_add_f32_e32 v4, v14, v4
	ds_bpermute_b32 v6, v3, v15
	v_cndmask_b32_e32 v13, v2, v13, vcc_lo
	ds_bpermute_b32 v5, v3, v11
	ds_bpermute_b32 v3, v3, v12
	s_waitcnt lgkmcnt(2)
	v_dual_add_f32 v6, v15, v6 :: v_dual_lshlrev_b32 v13, 2, v13
	s_waitcnt lgkmcnt(1)
	v_add_f32_e32 v5, v11, v5
	v_xor_b32_e32 v15, 2, v2
	ds_bpermute_b32 v14, v13, v6
	v_cmp_gt_i32_e32 vcc_lo, 32, v15
	v_cndmask_b32_e32 v15, v2, v15, vcc_lo
	s_waitcnt lgkmcnt(0)
	s_delay_alu instid0(VALU_DEP_1)
	v_dual_add_f32 v6, v6, v14 :: v_dual_lshlrev_b32 v15, 2, v15
	ds_bpermute_b32 v11, v13, v4
	v_add_f32_e32 v3, v12, v3
	ds_bpermute_b32 v12, v13, v5
	ds_bpermute_b32 v13, v13, v3
	s_waitcnt lgkmcnt(2)
	v_add_f32_e32 v4, v4, v11
	ds_bpermute_b32 v11, v15, v4
	s_waitcnt lgkmcnt(2)
	v_add_f32_e32 v5, v5, v12
	s_waitcnt lgkmcnt(1)
	v_add_f32_e32 v3, v3, v13
	ds_bpermute_b32 v13, v15, v6
	ds_bpermute_b32 v14, v15, v3
	s_waitcnt lgkmcnt(2)
	v_add_f32_e32 v4, v4, v11
	ds_bpermute_b32 v12, v15, v5
	v_xor_b32_e32 v15, 1, v2
	s_delay_alu instid0(VALU_DEP_1) | instskip(SKIP_3) | instid1(VALU_DEP_2)
	v_cmp_gt_i32_e32 vcc_lo, 32, v15
	s_waitcnt lgkmcnt(1)
	v_dual_add_f32 v3, v3, v14 :: v_dual_cndmask_b32 v2, v2, v15
	v_cmp_eq_u32_e32 vcc_lo, 15, v0
	v_dual_add_f32 v2, v6, v13 :: v_dual_lshlrev_b32 v15, 2, v2
	s_waitcnt lgkmcnt(0)
	v_add_f32_e32 v5, v5, v12
	ds_bpermute_b32 v12, v15, v4
	ds_bpermute_b32 v6, v15, v2
	;; [unrolled: 1-line block ×4, first 2 shown]
	s_and_b32 exec_lo, exec_lo, vcc_lo
	s_cbranch_execz .LBB184_29
; %bb.25:
	s_load_b64 s[2:3], s[0:1], 0x38
	v_cmp_eq_f32_e32 vcc_lo, 0, v9
	v_cmp_eq_f32_e64 s0, 0, v10
	s_waitcnt lgkmcnt(0)
	v_dual_add_f32 v0, v4, v12 :: v_dual_add_f32 v3, v3, v11
	v_add_f32_e32 v4, v5, v13
	v_add_f32_e32 v2, v2, v6
	s_and_b32 s0, vcc_lo, s0
	s_delay_alu instid0(SALU_CYCLE_1) | instskip(NEXT) | instid1(SALU_CYCLE_1)
	s_and_saveexec_b32 s1, s0
	s_xor_b32 s0, exec_lo, s1
	s_cbranch_execz .LBB184_27
; %bb.26:
	v_dual_mul_f32 v10, v4, v7 :: v_dual_lshlrev_b32 v5, 1, v1
	v_mul_f32_e64 v9, v4, -v8
	v_mul_f32_e64 v11, v3, -v8
	v_mul_f32_e32 v12, v3, v7
	s_delay_alu instid0(VALU_DEP_4)
	v_ashrrev_i32_e32 v6, 31, v5
	v_fmac_f32_e32 v10, v8, v0
	v_fmac_f32_e32 v9, v7, v0
	;; [unrolled: 1-line block ×4, first 2 shown]
	v_lshlrev_b64 v[4:5], 3, v[5:6]
                                        ; implicit-def: $vgpr7
                                        ; implicit-def: $vgpr8
                                        ; implicit-def: $vgpr2
                                        ; implicit-def: $vgpr3
	s_delay_alu instid0(VALU_DEP_1) | instskip(NEXT) | instid1(VALU_DEP_2)
	v_add_co_u32 v0, vcc_lo, s2, v4
	v_add_co_ci_u32_e32 v1, vcc_lo, s3, v5, vcc_lo
                                        ; implicit-def: $vgpr4
	global_store_b128 v[0:1], v[9:12], off
                                        ; implicit-def: $vgpr9
                                        ; implicit-def: $vgpr10
                                        ; implicit-def: $vgpr1
                                        ; implicit-def: $vgpr0
.LBB184_27:
	s_and_not1_saveexec_b32 s0, s0
	s_cbranch_execz .LBB184_29
; %bb.28:
	v_lshlrev_b32_e32 v5, 1, v1
	v_mul_f32_e64 v15, v4, -v8
	v_mul_f32_e32 v1, v4, v7
	v_mul_f32_e64 v4, v3, -v8
	v_mul_f32_e32 v3, v3, v7
	s_delay_alu instid0(VALU_DEP_4) | instskip(NEXT) | instid1(VALU_DEP_3)
	v_fmac_f32_e32 v15, v7, v0
	v_fmac_f32_e32 v4, v7, v2
	v_ashrrev_i32_e32 v6, 31, v5
	s_delay_alu instid0(VALU_DEP_4) | instskip(NEXT) | instid1(VALU_DEP_2)
	v_fmac_f32_e32 v3, v8, v2
	v_lshlrev_b64 v[5:6], 3, v[5:6]
	s_delay_alu instid0(VALU_DEP_1) | instskip(NEXT) | instid1(VALU_DEP_2)
	v_add_co_u32 v5, vcc_lo, s2, v5
	v_add_co_ci_u32_e32 v6, vcc_lo, s3, v6, vcc_lo
	global_load_b128 v[11:14], v[5:6], off
	s_waitcnt vmcnt(0)
	v_dual_fmac_f32 v4, v9, v13 :: v_dual_fmac_f32 v1, v8, v0
	v_fmac_f32_e32 v15, v9, v11
	v_fmac_f32_e32 v3, v10, v13
	s_delay_alu instid0(VALU_DEP_3) | instskip(NEXT) | instid1(VALU_DEP_4)
	v_fma_f32 v2, -v10, v14, v4
	v_fmac_f32_e32 v1, v10, v11
	s_delay_alu instid0(VALU_DEP_4) | instskip(NEXT) | instid1(VALU_DEP_4)
	v_fma_f32 v0, -v10, v12, v15
	v_fmac_f32_e32 v3, v9, v14
	s_delay_alu instid0(VALU_DEP_3)
	v_fmac_f32_e32 v1, v9, v12
	global_store_b128 v[5:6], v[0:3], off
.LBB184_29:
	s_nop 0
	s_sendmsg sendmsg(MSG_DEALLOC_VGPRS)
	s_endpgm
	.section	.rodata,"a",@progbits
	.p2align	6, 0x0
	.amdhsa_kernel _ZN9rocsparseL19gebsrmvn_2xn_kernelILj128ELj8ELj16E21rocsparse_complex_numIfEEEvi20rocsparse_direction_NS_24const_host_device_scalarIT2_EEPKiS8_PKS5_SA_S6_PS5_21rocsparse_index_base_b
		.amdhsa_group_segment_fixed_size 0
		.amdhsa_private_segment_fixed_size 0
		.amdhsa_kernarg_size 72
		.amdhsa_user_sgpr_count 15
		.amdhsa_user_sgpr_dispatch_ptr 0
		.amdhsa_user_sgpr_queue_ptr 0
		.amdhsa_user_sgpr_kernarg_segment_ptr 1
		.amdhsa_user_sgpr_dispatch_id 0
		.amdhsa_user_sgpr_private_segment_size 0
		.amdhsa_wavefront_size32 1
		.amdhsa_uses_dynamic_stack 0
		.amdhsa_enable_private_segment 0
		.amdhsa_system_sgpr_workgroup_id_x 1
		.amdhsa_system_sgpr_workgroup_id_y 0
		.amdhsa_system_sgpr_workgroup_id_z 0
		.amdhsa_system_sgpr_workgroup_info 0
		.amdhsa_system_vgpr_workitem_id 0
		.amdhsa_next_free_vgpr 64
		.amdhsa_next_free_sgpr 16
		.amdhsa_reserve_vcc 1
		.amdhsa_float_round_mode_32 0
		.amdhsa_float_round_mode_16_64 0
		.amdhsa_float_denorm_mode_32 3
		.amdhsa_float_denorm_mode_16_64 3
		.amdhsa_dx10_clamp 1
		.amdhsa_ieee_mode 1
		.amdhsa_fp16_overflow 0
		.amdhsa_workgroup_processor_mode 1
		.amdhsa_memory_ordered 1
		.amdhsa_forward_progress 0
		.amdhsa_shared_vgpr_count 0
		.amdhsa_exception_fp_ieee_invalid_op 0
		.amdhsa_exception_fp_denorm_src 0
		.amdhsa_exception_fp_ieee_div_zero 0
		.amdhsa_exception_fp_ieee_overflow 0
		.amdhsa_exception_fp_ieee_underflow 0
		.amdhsa_exception_fp_ieee_inexact 0
		.amdhsa_exception_int_div_zero 0
	.end_amdhsa_kernel
	.section	.text._ZN9rocsparseL19gebsrmvn_2xn_kernelILj128ELj8ELj16E21rocsparse_complex_numIfEEEvi20rocsparse_direction_NS_24const_host_device_scalarIT2_EEPKiS8_PKS5_SA_S6_PS5_21rocsparse_index_base_b,"axG",@progbits,_ZN9rocsparseL19gebsrmvn_2xn_kernelILj128ELj8ELj16E21rocsparse_complex_numIfEEEvi20rocsparse_direction_NS_24const_host_device_scalarIT2_EEPKiS8_PKS5_SA_S6_PS5_21rocsparse_index_base_b,comdat
.Lfunc_end184:
	.size	_ZN9rocsparseL19gebsrmvn_2xn_kernelILj128ELj8ELj16E21rocsparse_complex_numIfEEEvi20rocsparse_direction_NS_24const_host_device_scalarIT2_EEPKiS8_PKS5_SA_S6_PS5_21rocsparse_index_base_b, .Lfunc_end184-_ZN9rocsparseL19gebsrmvn_2xn_kernelILj128ELj8ELj16E21rocsparse_complex_numIfEEEvi20rocsparse_direction_NS_24const_host_device_scalarIT2_EEPKiS8_PKS5_SA_S6_PS5_21rocsparse_index_base_b
                                        ; -- End function
	.section	.AMDGPU.csdata,"",@progbits
; Kernel info:
; codeLenInByte = 2592
; NumSgprs: 18
; NumVgprs: 64
; ScratchSize: 0
; MemoryBound: 0
; FloatMode: 240
; IeeeMode: 1
; LDSByteSize: 0 bytes/workgroup (compile time only)
; SGPRBlocks: 2
; VGPRBlocks: 7
; NumSGPRsForWavesPerEU: 18
; NumVGPRsForWavesPerEU: 64
; Occupancy: 16
; WaveLimiterHint : 1
; COMPUTE_PGM_RSRC2:SCRATCH_EN: 0
; COMPUTE_PGM_RSRC2:USER_SGPR: 15
; COMPUTE_PGM_RSRC2:TRAP_HANDLER: 0
; COMPUTE_PGM_RSRC2:TGID_X_EN: 1
; COMPUTE_PGM_RSRC2:TGID_Y_EN: 0
; COMPUTE_PGM_RSRC2:TGID_Z_EN: 0
; COMPUTE_PGM_RSRC2:TIDIG_COMP_CNT: 0
	.section	.text._ZN9rocsparseL19gebsrmvn_2xn_kernelILj128ELj8ELj32E21rocsparse_complex_numIfEEEvi20rocsparse_direction_NS_24const_host_device_scalarIT2_EEPKiS8_PKS5_SA_S6_PS5_21rocsparse_index_base_b,"axG",@progbits,_ZN9rocsparseL19gebsrmvn_2xn_kernelILj128ELj8ELj32E21rocsparse_complex_numIfEEEvi20rocsparse_direction_NS_24const_host_device_scalarIT2_EEPKiS8_PKS5_SA_S6_PS5_21rocsparse_index_base_b,comdat
	.globl	_ZN9rocsparseL19gebsrmvn_2xn_kernelILj128ELj8ELj32E21rocsparse_complex_numIfEEEvi20rocsparse_direction_NS_24const_host_device_scalarIT2_EEPKiS8_PKS5_SA_S6_PS5_21rocsparse_index_base_b ; -- Begin function _ZN9rocsparseL19gebsrmvn_2xn_kernelILj128ELj8ELj32E21rocsparse_complex_numIfEEEvi20rocsparse_direction_NS_24const_host_device_scalarIT2_EEPKiS8_PKS5_SA_S6_PS5_21rocsparse_index_base_b
	.p2align	8
	.type	_ZN9rocsparseL19gebsrmvn_2xn_kernelILj128ELj8ELj32E21rocsparse_complex_numIfEEEvi20rocsparse_direction_NS_24const_host_device_scalarIT2_EEPKiS8_PKS5_SA_S6_PS5_21rocsparse_index_base_b,@function
_ZN9rocsparseL19gebsrmvn_2xn_kernelILj128ELj8ELj32E21rocsparse_complex_numIfEEEvi20rocsparse_direction_NS_24const_host_device_scalarIT2_EEPKiS8_PKS5_SA_S6_PS5_21rocsparse_index_base_b: ; @_ZN9rocsparseL19gebsrmvn_2xn_kernelILj128ELj8ELj32E21rocsparse_complex_numIfEEEvi20rocsparse_direction_NS_24const_host_device_scalarIT2_EEPKiS8_PKS5_SA_S6_PS5_21rocsparse_index_base_b
; %bb.0:
	s_clause 0x2
	s_load_b64 s[12:13], s[0:1], 0x40
	s_load_b64 s[4:5], s[0:1], 0x8
	s_load_b64 s[2:3], s[0:1], 0x30
	s_waitcnt lgkmcnt(0)
	s_bitcmp1_b32 s13, 0
	v_mov_b32_e32 v7, s4
	s_cselect_b32 s6, -1, 0
	s_delay_alu instid0(SALU_CYCLE_1)
	s_and_b32 vcc_lo, exec_lo, s6
	s_xor_b32 s6, s6, -1
	s_cbranch_vccz .LBB185_15
; %bb.1:
	v_cndmask_b32_e64 v1, 0, 1, s6
	v_mov_b32_e32 v8, s5
	s_and_not1_b32 vcc_lo, exec_lo, s6
	s_cbranch_vccz .LBB185_16
.LBB185_2:
	s_delay_alu instid0(VALU_DEP_2)
	v_cmp_ne_u32_e32 vcc_lo, 1, v1
	v_mov_b32_e32 v9, s2
	s_cbranch_vccz .LBB185_17
.LBB185_3:
	v_cmp_ne_u32_e32 vcc_lo, 1, v1
	v_mov_b32_e32 v10, s3
	s_cbranch_vccnz .LBB185_5
.LBB185_4:
	v_dual_mov_b32 v1, s2 :: v_dual_mov_b32 v2, s3
	flat_load_b32 v10, v[1:2] offset:4
.LBB185_5:
	s_waitcnt vmcnt(0) lgkmcnt(0)
	v_cmp_eq_f32_e32 vcc_lo, 0, v7
	v_cmp_eq_f32_e64 s2, 0, v8
	s_delay_alu instid0(VALU_DEP_1)
	s_and_b32 s4, vcc_lo, s2
	s_mov_b32 s2, -1
	s_and_saveexec_b32 s3, s4
; %bb.6:
	v_cmp_neq_f32_e32 vcc_lo, 1.0, v9
	v_cmp_neq_f32_e64 s2, 0, v10
	s_delay_alu instid0(VALU_DEP_1) | instskip(NEXT) | instid1(SALU_CYCLE_1)
	s_or_b32 s2, vcc_lo, s2
	s_or_not1_b32 s2, s2, exec_lo
; %bb.7:
	s_or_b32 exec_lo, exec_lo, s3
	s_and_saveexec_b32 s3, s2
	s_cbranch_execz .LBB185_29
; %bb.8:
	s_load_b64 s[2:3], s[0:1], 0x0
	v_lshrrev_b32_e32 v1, 5, v0
	s_delay_alu instid0(VALU_DEP_1) | instskip(SKIP_1) | instid1(VALU_DEP_1)
	v_lshl_or_b32 v1, s15, 2, v1
	s_waitcnt lgkmcnt(0)
	v_cmp_gt_i32_e32 vcc_lo, s2, v1
	s_and_b32 exec_lo, exec_lo, vcc_lo
	s_cbranch_execz .LBB185_29
; %bb.9:
	s_load_b256 s[4:11], s[0:1], 0x10
	v_ashrrev_i32_e32 v2, 31, v1
	v_and_b32_e32 v0, 31, v0
	s_cmp_lg_u32 s3, 0
	s_delay_alu instid0(VALU_DEP_2) | instskip(SKIP_1) | instid1(VALU_DEP_1)
	v_lshlrev_b64 v[2:3], 2, v[1:2]
	s_waitcnt lgkmcnt(0)
	v_add_co_u32 v2, vcc_lo, s4, v2
	s_delay_alu instid0(VALU_DEP_2) | instskip(SKIP_4) | instid1(VALU_DEP_2)
	v_add_co_ci_u32_e32 v3, vcc_lo, s5, v3, vcc_lo
	global_load_b64 v[2:3], v[2:3], off
	s_waitcnt vmcnt(0)
	v_subrev_nc_u32_e32 v2, s12, v2
	v_subrev_nc_u32_e32 v13, s12, v3
	v_add_nc_u32_e32 v2, v2, v0
	s_delay_alu instid0(VALU_DEP_1)
	v_cmp_lt_i32_e64 s2, v2, v13
	s_cbranch_scc0 .LBB185_18
; %bb.10:
	v_dual_mov_b32 v11, 0 :: v_dual_mov_b32 v14, 0
	v_dual_mov_b32 v15, 0 :: v_dual_mov_b32 v12, 0
	s_mov_b32 s3, 0
	s_and_saveexec_b32 s4, s2
	s_cbranch_execz .LBB185_14
; %bb.11:
	v_dual_mov_b32 v4, 0 :: v_dual_lshlrev_b32 v3, 4, v2
	v_mov_b32_e32 v5, v2
	s_mov_b32 s5, 0
	s_delay_alu instid0(VALU_DEP_2)
	v_mov_b32_e32 v14, v4
	v_mov_b32_e32 v11, v4
	;; [unrolled: 1-line block ×4, first 2 shown]
.LBB185_12:                             ; =>This Inner Loop Header: Depth=1
	v_ashrrev_i32_e32 v6, 31, v5
	s_delay_alu instid0(VALU_DEP_1) | instskip(SKIP_1) | instid1(VALU_DEP_2)
	v_lshlrev_b64 v[16:17], 2, v[5:6]
	v_add_nc_u32_e32 v5, 32, v5
	v_add_co_u32 v16, vcc_lo, s6, v16
	s_delay_alu instid0(VALU_DEP_3) | instskip(SKIP_3) | instid1(VALU_DEP_2)
	v_add_co_ci_u32_e32 v17, vcc_lo, s7, v17, vcc_lo
	global_load_b32 v6, v[16:17], off
	v_lshlrev_b64 v[16:17], 3, v[3:4]
	v_add_nc_u32_e32 v3, 0x200, v3
	v_add_co_u32 v60, vcc_lo, s8, v16
	s_delay_alu instid0(VALU_DEP_3) | instskip(SKIP_3) | instid1(VALU_DEP_1)
	v_add_co_ci_u32_e32 v61, vcc_lo, s9, v17, vcc_lo
	global_load_b128 v[16:19], v[60:61], off offset:16
	s_waitcnt vmcnt(1)
	v_subrev_nc_u32_e32 v6, s12, v6
	v_dual_mov_b32 v21, v4 :: v_dual_lshlrev_b32 v20, 3, v6
	s_delay_alu instid0(VALU_DEP_1) | instskip(NEXT) | instid1(VALU_DEP_1)
	v_lshlrev_b64 v[20:21], 3, v[20:21]
	v_add_co_u32 v52, vcc_lo, s10, v20
	s_delay_alu instid0(VALU_DEP_2)
	v_add_co_ci_u32_e32 v53, vcc_lo, s11, v21, vcc_lo
	global_load_b128 v[20:23], v[60:61], off
	s_clause 0x1
	global_load_b128 v[24:27], v[52:53], off
	global_load_b128 v[28:31], v[52:53], off offset:16
	s_clause 0x3
	global_load_b128 v[32:35], v[60:61], off offset:32
	global_load_b128 v[36:39], v[60:61], off offset:48
	global_load_b128 v[40:43], v[60:61], off offset:80
	global_load_b128 v[44:47], v[60:61], off offset:64
	s_clause 0x1
	global_load_b128 v[48:51], v[52:53], off offset:32
	global_load_b128 v[52:55], v[52:53], off offset:48
	s_clause 0x1
	global_load_b128 v[56:59], v[60:61], off offset:96
	global_load_b128 v[60:63], v[60:61], off offset:112
	v_cmp_ge_i32_e32 vcc_lo, v5, v13
	s_or_b32 s5, vcc_lo, s5
	s_waitcnt vmcnt(9)
	v_fmac_f32_e32 v12, v23, v24
	s_delay_alu instid0(VALU_DEP_1) | instskip(NEXT) | instid1(VALU_DEP_1)
	v_dual_fmac_f32 v11, v21, v24 :: v_dual_fmac_f32 v12, v22, v25
	v_fmac_f32_e32 v11, v20, v25
	s_delay_alu instid0(VALU_DEP_1) | instskip(NEXT) | instid1(VALU_DEP_1)
	v_dual_fmac_f32 v14, v20, v24 :: v_dual_fmac_f32 v11, v17, v26
	v_fma_f32 v6, -v21, v25, v14
	v_fmac_f32_e32 v15, v22, v24
	s_delay_alu instid0(VALU_DEP_3) | instskip(NEXT) | instid1(VALU_DEP_3)
	v_fmac_f32_e32 v11, v16, v27
	v_fmac_f32_e32 v6, v16, v26
	s_delay_alu instid0(VALU_DEP_3) | instskip(SKIP_1) | instid1(VALU_DEP_3)
	v_fma_f32 v14, -v23, v25, v15
	s_waitcnt vmcnt(7)
	v_dual_fmac_f32 v12, v19, v26 :: v_dual_fmac_f32 v11, v33, v28
	s_delay_alu instid0(VALU_DEP_3) | instskip(NEXT) | instid1(VALU_DEP_3)
	v_fma_f32 v6, -v17, v27, v6
	v_fmac_f32_e32 v14, v18, v26
	s_delay_alu instid0(VALU_DEP_3) | instskip(NEXT) | instid1(VALU_DEP_3)
	v_dual_fmac_f32 v12, v18, v27 :: v_dual_fmac_f32 v11, v32, v29
	v_fmac_f32_e32 v6, v32, v28
	s_delay_alu instid0(VALU_DEP_3) | instskip(SKIP_1) | instid1(VALU_DEP_3)
	v_fma_f32 v14, -v19, v27, v14
	s_waitcnt vmcnt(6)
	v_fmac_f32_e32 v11, v37, v30
	s_delay_alu instid0(VALU_DEP_3) | instskip(NEXT) | instid1(VALU_DEP_2)
	v_fma_f32 v6, -v33, v29, v6
	v_dual_fmac_f32 v14, v34, v28 :: v_dual_fmac_f32 v11, v36, v31
	s_delay_alu instid0(VALU_DEP_2) | instskip(NEXT) | instid1(VALU_DEP_2)
	v_fmac_f32_e32 v6, v36, v30
	v_fma_f32 v14, -v35, v29, v14
	s_waitcnt vmcnt(3)
	s_delay_alu instid0(VALU_DEP_3) | instskip(SKIP_2) | instid1(VALU_DEP_3)
	v_fmac_f32_e32 v11, v45, v48
	v_fmac_f32_e32 v12, v35, v28
	v_fma_f32 v6, -v37, v31, v6
	v_fmac_f32_e32 v11, v44, v49
	s_delay_alu instid0(VALU_DEP_3) | instskip(NEXT) | instid1(VALU_DEP_2)
	v_fmac_f32_e32 v12, v34, v29
	v_dual_fmac_f32 v6, v44, v48 :: v_dual_fmac_f32 v11, v41, v50
	v_fmac_f32_e32 v14, v38, v30
	s_delay_alu instid0(VALU_DEP_2) | instskip(NEXT) | instid1(VALU_DEP_3)
	v_fma_f32 v6, -v45, v49, v6
	v_dual_fmac_f32 v11, v40, v51 :: v_dual_fmac_f32 v12, v39, v30
	s_delay_alu instid0(VALU_DEP_3) | instskip(SKIP_1) | instid1(VALU_DEP_2)
	v_fma_f32 v14, -v39, v31, v14
	s_waitcnt vmcnt(1)
	v_dual_fmac_f32 v6, v40, v50 :: v_dual_fmac_f32 v11, v57, v52
	s_delay_alu instid0(VALU_DEP_3) | instskip(NEXT) | instid1(VALU_DEP_3)
	v_fmac_f32_e32 v12, v38, v31
	v_fmac_f32_e32 v14, v46, v48
	s_delay_alu instid0(VALU_DEP_3) | instskip(NEXT) | instid1(VALU_DEP_3)
	v_fma_f32 v6, -v41, v51, v6
	v_dual_fmac_f32 v11, v56, v53 :: v_dual_fmac_f32 v12, v47, v48
	s_delay_alu instid0(VALU_DEP_3) | instskip(SKIP_1) | instid1(VALU_DEP_2)
	v_fma_f32 v14, -v47, v49, v14
	s_waitcnt vmcnt(0)
	v_dual_fmac_f32 v11, v61, v54 :: v_dual_fmac_f32 v12, v46, v49
	s_delay_alu instid0(VALU_DEP_1) | instskip(NEXT) | instid1(VALU_DEP_2)
	v_dual_fmac_f32 v14, v42, v50 :: v_dual_fmac_f32 v11, v60, v55
	v_fmac_f32_e32 v12, v43, v50
	s_delay_alu instid0(VALU_DEP_2) | instskip(NEXT) | instid1(VALU_DEP_2)
	v_fma_f32 v14, -v43, v51, v14
	v_fmac_f32_e32 v12, v42, v51
	s_delay_alu instid0(VALU_DEP_2) | instskip(NEXT) | instid1(VALU_DEP_2)
	v_fmac_f32_e32 v14, v58, v52
	v_fmac_f32_e32 v12, v59, v52
	s_delay_alu instid0(VALU_DEP_2) | instskip(SKIP_1) | instid1(VALU_DEP_3)
	v_fma_f32 v15, -v59, v53, v14
	v_fmac_f32_e32 v6, v56, v52
	v_fmac_f32_e32 v12, v58, v53
	s_delay_alu instid0(VALU_DEP_3) | instskip(NEXT) | instid1(VALU_DEP_3)
	v_fmac_f32_e32 v15, v62, v54
	v_fma_f32 v6, -v57, v53, v6
	s_delay_alu instid0(VALU_DEP_3) | instskip(NEXT) | instid1(VALU_DEP_3)
	v_fmac_f32_e32 v12, v63, v54
	v_fma_f32 v15, -v63, v55, v15
	s_delay_alu instid0(VALU_DEP_3) | instskip(NEXT) | instid1(VALU_DEP_3)
	v_fmac_f32_e32 v6, v60, v54
	v_fmac_f32_e32 v12, v62, v55
	s_delay_alu instid0(VALU_DEP_2)
	v_fma_f32 v14, -v61, v55, v6
	s_and_not1_b32 exec_lo, exec_lo, s5
	s_cbranch_execnz .LBB185_12
; %bb.13:
	s_or_b32 exec_lo, exec_lo, s5
.LBB185_14:
	s_delay_alu instid0(SALU_CYCLE_1) | instskip(NEXT) | instid1(SALU_CYCLE_1)
	s_or_b32 exec_lo, exec_lo, s4
	s_and_not1_b32 vcc_lo, exec_lo, s3
	s_cbranch_vccz .LBB185_19
	s_branch .LBB185_24
.LBB185_15:
	v_dual_mov_b32 v1, s4 :: v_dual_mov_b32 v2, s5
	flat_load_b32 v7, v[1:2]
	v_cndmask_b32_e64 v1, 0, 1, s6
	v_mov_b32_e32 v8, s5
	s_and_not1_b32 vcc_lo, exec_lo, s6
	s_cbranch_vccnz .LBB185_2
.LBB185_16:
	v_dual_mov_b32 v2, s4 :: v_dual_mov_b32 v3, s5
	flat_load_b32 v8, v[2:3] offset:4
	v_cmp_ne_u32_e32 vcc_lo, 1, v1
	v_mov_b32_e32 v9, s2
	s_cbranch_vccnz .LBB185_3
.LBB185_17:
	v_dual_mov_b32 v2, s2 :: v_dual_mov_b32 v3, s3
	flat_load_b32 v9, v[2:3]
	v_cmp_ne_u32_e32 vcc_lo, 1, v1
	v_mov_b32_e32 v10, s3
	s_cbranch_vccz .LBB185_4
	s_branch .LBB185_5
.LBB185_18:
                                        ; implicit-def: $vgpr11
                                        ; implicit-def: $vgpr14
                                        ; implicit-def: $vgpr15
                                        ; implicit-def: $vgpr12
.LBB185_19:
	v_dual_mov_b32 v11, 0 :: v_dual_mov_b32 v14, 0
	v_dual_mov_b32 v15, 0 :: v_dual_mov_b32 v12, 0
	s_delay_alu instid0(VALU_DEP_3)
	s_and_saveexec_b32 s3, s2
	s_cbranch_execz .LBB185_23
; %bb.20:
	v_dual_mov_b32 v5, 0 :: v_dual_lshlrev_b32 v4, 4, v2
	s_mov_b32 s2, 0
	s_delay_alu instid0(VALU_DEP_1)
	v_mov_b32_e32 v11, v5
	v_mov_b32_e32 v14, v5
	;; [unrolled: 1-line block ×4, first 2 shown]
.LBB185_21:                             ; =>This Inner Loop Header: Depth=1
	v_ashrrev_i32_e32 v3, 31, v2
	s_delay_alu instid0(VALU_DEP_1) | instskip(SKIP_1) | instid1(VALU_DEP_2)
	v_lshlrev_b64 v[16:17], 2, v[2:3]
	v_add_nc_u32_e32 v2, 32, v2
	v_add_co_u32 v16, vcc_lo, s6, v16
	s_delay_alu instid0(VALU_DEP_3) | instskip(SKIP_2) | instid1(VALU_DEP_1)
	v_add_co_ci_u32_e32 v17, vcc_lo, s7, v17, vcc_lo
	global_load_b32 v3, v[16:17], off
	v_lshlrev_b64 v[16:17], 3, v[4:5]
	v_add_co_u32 v52, vcc_lo, s8, v16
	s_delay_alu instid0(VALU_DEP_2)
	v_add_co_ci_u32_e32 v53, vcc_lo, s9, v17, vcc_lo
	s_clause 0x2
	global_load_b128 v[16:19], v[52:53], off offset:16
	global_load_b128 v[20:23], v[52:53], off
	global_load_b128 v[24:27], v[52:53], off offset:80
	s_waitcnt vmcnt(3)
	v_subrev_nc_u32_e32 v3, s12, v3
	s_delay_alu instid0(VALU_DEP_1) | instskip(NEXT) | instid1(VALU_DEP_1)
	v_dual_mov_b32 v29, v5 :: v_dual_lshlrev_b32 v28, 3, v3
	v_lshlrev_b64 v[28:29], 3, v[28:29]
	s_delay_alu instid0(VALU_DEP_1) | instskip(NEXT) | instid1(VALU_DEP_2)
	v_add_co_u32 v60, vcc_lo, s10, v28
	v_add_co_ci_u32_e32 v61, vcc_lo, s11, v29, vcc_lo
	global_load_b128 v[28:31], v[52:53], off offset:64
	s_clause 0x1
	global_load_b128 v[32:35], v[60:61], off
	global_load_b128 v[36:39], v[60:61], off offset:16
	s_clause 0x3
	global_load_b128 v[40:43], v[52:53], off offset:48
	global_load_b128 v[44:47], v[52:53], off offset:32
	;; [unrolled: 1-line block ×4, first 2 shown]
	s_clause 0x1
	global_load_b128 v[56:59], v[60:61], off offset:32
	global_load_b128 v[60:63], v[60:61], off offset:48
	v_cmp_ge_i32_e32 vcc_lo, v2, v13
	s_or_b32 s2, vcc_lo, s2
	s_waitcnt vmcnt(7)
	v_fmac_f32_e32 v15, v28, v32
	v_fmac_f32_e32 v14, v20, v32
	;; [unrolled: 1-line block ×4, first 2 shown]
	s_delay_alu instid0(VALU_DEP_4) | instskip(NEXT) | instid1(VALU_DEP_4)
	v_fma_f32 v6, -v29, v33, v15
	v_fma_f32 v3, -v21, v33, v14
	s_delay_alu instid0(VALU_DEP_4) | instskip(NEXT) | instid1(VALU_DEP_3)
	v_fmac_f32_e32 v12, v28, v33
	v_dual_fmac_f32 v11, v20, v33 :: v_dual_fmac_f32 v6, v30, v34
	s_delay_alu instid0(VALU_DEP_3) | instskip(NEXT) | instid1(VALU_DEP_3)
	v_fmac_f32_e32 v3, v22, v34
	v_fmac_f32_e32 v12, v31, v34
	s_delay_alu instid0(VALU_DEP_3) | instskip(NEXT) | instid1(VALU_DEP_4)
	v_fmac_f32_e32 v11, v23, v34
	v_fma_f32 v6, -v31, v35, v6
	s_delay_alu instid0(VALU_DEP_4) | instskip(NEXT) | instid1(VALU_DEP_4)
	v_fma_f32 v3, -v23, v35, v3
	v_fmac_f32_e32 v12, v30, v35
	s_waitcnt vmcnt(6)
	s_delay_alu instid0(VALU_DEP_3) | instskip(NEXT) | instid1(VALU_DEP_2)
	v_dual_fmac_f32 v11, v22, v35 :: v_dual_fmac_f32 v6, v24, v36
	v_fmac_f32_e32 v12, v25, v36
	s_delay_alu instid0(VALU_DEP_2) | instskip(NEXT) | instid1(VALU_DEP_3)
	v_fmac_f32_e32 v11, v17, v36
	v_fma_f32 v6, -v25, v37, v6
	v_fmac_f32_e32 v3, v16, v36
	s_delay_alu instid0(VALU_DEP_4) | instskip(NEXT) | instid1(VALU_DEP_3)
	v_fmac_f32_e32 v12, v24, v37
	v_dual_fmac_f32 v11, v16, v37 :: v_dual_fmac_f32 v6, v26, v38
	s_delay_alu instid0(VALU_DEP_3) | instskip(NEXT) | instid1(VALU_DEP_3)
	v_fma_f32 v3, -v17, v37, v3
	v_fmac_f32_e32 v12, v27, v38
	s_delay_alu instid0(VALU_DEP_3) | instskip(NEXT) | instid1(VALU_DEP_4)
	v_fmac_f32_e32 v11, v19, v38
	v_fma_f32 v6, -v27, v39, v6
	s_delay_alu instid0(VALU_DEP_4) | instskip(NEXT) | instid1(VALU_DEP_4)
	v_fmac_f32_e32 v3, v18, v38
	v_fmac_f32_e32 v12, v26, v39
	s_waitcnt vmcnt(1)
	s_delay_alu instid0(VALU_DEP_3) | instskip(NEXT) | instid1(VALU_DEP_3)
	v_dual_fmac_f32 v11, v18, v39 :: v_dual_fmac_f32 v6, v52, v56
	v_fma_f32 v3, -v19, v39, v3
	s_delay_alu instid0(VALU_DEP_3) | instskip(NEXT) | instid1(VALU_DEP_3)
	v_fmac_f32_e32 v12, v53, v56
	v_fmac_f32_e32 v11, v45, v56
	s_delay_alu instid0(VALU_DEP_4) | instskip(NEXT) | instid1(VALU_DEP_4)
	v_fma_f32 v6, -v53, v57, v6
	v_fmac_f32_e32 v3, v44, v56
	s_delay_alu instid0(VALU_DEP_4) | instskip(NEXT) | instid1(VALU_DEP_3)
	v_fmac_f32_e32 v12, v52, v57
	v_dual_fmac_f32 v11, v44, v57 :: v_dual_fmac_f32 v6, v54, v58
	s_delay_alu instid0(VALU_DEP_3) | instskip(NEXT) | instid1(VALU_DEP_3)
	v_fma_f32 v3, -v45, v57, v3
	v_fmac_f32_e32 v12, v55, v58
	s_delay_alu instid0(VALU_DEP_3) | instskip(NEXT) | instid1(VALU_DEP_4)
	v_fmac_f32_e32 v11, v47, v58
	v_fma_f32 v6, -v55, v59, v6
	s_delay_alu instid0(VALU_DEP_4) | instskip(NEXT) | instid1(VALU_DEP_4)
	v_fmac_f32_e32 v3, v46, v58
	v_fmac_f32_e32 v12, v54, v59
	s_delay_alu instid0(VALU_DEP_4) | instskip(NEXT) | instid1(VALU_DEP_3)
	v_fmac_f32_e32 v11, v46, v59
	v_fma_f32 v3, -v47, v59, v3
	s_waitcnt vmcnt(0)
	s_delay_alu instid0(VALU_DEP_3) | instskip(NEXT) | instid1(VALU_DEP_3)
	v_fmac_f32_e32 v12, v49, v60
	v_fmac_f32_e32 v11, v41, v60
	s_delay_alu instid0(VALU_DEP_3) | instskip(NEXT) | instid1(VALU_DEP_3)
	v_fmac_f32_e32 v3, v40, v60
	v_fmac_f32_e32 v12, v48, v61
	s_delay_alu instid0(VALU_DEP_3) | instskip(NEXT) | instid1(VALU_DEP_3)
	v_dual_fmac_f32 v11, v40, v61 :: v_dual_add_nc_u32 v4, 0x200, v4
	v_fma_f32 v3, -v41, v61, v3
	s_delay_alu instid0(VALU_DEP_2) | instskip(NEXT) | instid1(VALU_DEP_4)
	v_dual_fmac_f32 v6, v48, v60 :: v_dual_fmac_f32 v11, v43, v62
	v_fmac_f32_e32 v12, v51, v62
	s_delay_alu instid0(VALU_DEP_3) | instskip(NEXT) | instid1(VALU_DEP_3)
	v_fmac_f32_e32 v3, v42, v62
	v_fma_f32 v6, -v49, v61, v6
	s_delay_alu instid0(VALU_DEP_4) | instskip(NEXT) | instid1(VALU_DEP_4)
	v_fmac_f32_e32 v11, v42, v63
	v_fmac_f32_e32 v12, v50, v63
	s_delay_alu instid0(VALU_DEP_4) | instskip(NEXT) | instid1(VALU_DEP_4)
	v_fma_f32 v14, -v43, v63, v3
	v_fmac_f32_e32 v6, v50, v62
	s_delay_alu instid0(VALU_DEP_1)
	v_fma_f32 v15, -v51, v63, v6
	s_and_not1_b32 exec_lo, exec_lo, s2
	s_cbranch_execnz .LBB185_21
; %bb.22:
	s_or_b32 exec_lo, exec_lo, s2
.LBB185_23:
	s_delay_alu instid0(SALU_CYCLE_1)
	s_or_b32 exec_lo, exec_lo, s3
.LBB185_24:
	v_mbcnt_lo_u32_b32 v2, -1, 0
	s_delay_alu instid0(VALU_DEP_1) | instskip(SKIP_1) | instid1(VALU_DEP_2)
	v_xor_b32_e32 v3, 16, v2
	v_xor_b32_e32 v13, 8, v2
	v_cmp_gt_i32_e32 vcc_lo, 32, v3
	v_cndmask_b32_e32 v3, v2, v3, vcc_lo
	s_delay_alu instid0(VALU_DEP_3) | instskip(NEXT) | instid1(VALU_DEP_2)
	v_cmp_gt_i32_e32 vcc_lo, 32, v13
	v_lshlrev_b32_e32 v3, 2, v3
	ds_bpermute_b32 v4, v3, v14
	s_waitcnt lgkmcnt(0)
	v_add_f32_e32 v4, v14, v4
	ds_bpermute_b32 v6, v3, v15
	v_cndmask_b32_e32 v13, v2, v13, vcc_lo
	ds_bpermute_b32 v5, v3, v11
	ds_bpermute_b32 v3, v3, v12
	s_waitcnt lgkmcnt(2)
	v_dual_add_f32 v6, v15, v6 :: v_dual_lshlrev_b32 v13, 2, v13
	s_waitcnt lgkmcnt(1)
	v_add_f32_e32 v5, v11, v5
	v_xor_b32_e32 v15, 4, v2
	ds_bpermute_b32 v14, v13, v6
	v_cmp_gt_i32_e32 vcc_lo, 32, v15
	v_cndmask_b32_e32 v15, v2, v15, vcc_lo
	s_waitcnt lgkmcnt(0)
	s_delay_alu instid0(VALU_DEP_1)
	v_dual_add_f32 v6, v6, v14 :: v_dual_lshlrev_b32 v15, 2, v15
	ds_bpermute_b32 v11, v13, v4
	v_add_f32_e32 v3, v12, v3
	s_waitcnt lgkmcnt(0)
	v_add_f32_e32 v4, v4, v11
	ds_bpermute_b32 v11, v15, v4
	s_waitcnt lgkmcnt(0)
	v_add_f32_e32 v4, v4, v11
	ds_bpermute_b32 v12, v13, v5
	ds_bpermute_b32 v13, v13, v3
	s_waitcnt lgkmcnt(1)
	v_add_f32_e32 v5, v5, v12
	s_waitcnt lgkmcnt(0)
	v_add_f32_e32 v3, v3, v13
	ds_bpermute_b32 v13, v15, v6
	ds_bpermute_b32 v12, v15, v5
	;; [unrolled: 1-line block ×3, first 2 shown]
	v_xor_b32_e32 v15, 2, v2
	s_delay_alu instid0(VALU_DEP_1) | instskip(SKIP_2) | instid1(VALU_DEP_1)
	v_cmp_gt_i32_e32 vcc_lo, 32, v15
	v_cndmask_b32_e32 v15, v2, v15, vcc_lo
	s_waitcnt lgkmcnt(2)
	v_dual_add_f32 v6, v6, v13 :: v_dual_lshlrev_b32 v15, 2, v15
	s_waitcnt lgkmcnt(1)
	v_add_f32_e32 v5, v5, v12
	ds_bpermute_b32 v11, v15, v4
	ds_bpermute_b32 v13, v15, v6
	;; [unrolled: 1-line block ×3, first 2 shown]
	s_waitcnt lgkmcnt(2)
	v_dual_add_f32 v4, v4, v11 :: v_dual_add_f32 v3, v3, v14
	s_waitcnt lgkmcnt(0)
	v_add_f32_e32 v5, v5, v12
	ds_bpermute_b32 v14, v15, v3
	v_xor_b32_e32 v15, 1, v2
	s_delay_alu instid0(VALU_DEP_1) | instskip(SKIP_2) | instid1(VALU_DEP_2)
	v_cmp_gt_i32_e32 vcc_lo, 32, v15
	v_cndmask_b32_e32 v2, v2, v15, vcc_lo
	v_cmp_eq_u32_e32 vcc_lo, 31, v0
	v_dual_add_f32 v2, v6, v13 :: v_dual_lshlrev_b32 v15, 2, v2
	s_waitcnt lgkmcnt(0)
	v_add_f32_e32 v3, v3, v14
	ds_bpermute_b32 v12, v15, v4
	ds_bpermute_b32 v13, v15, v5
	;; [unrolled: 1-line block ×4, first 2 shown]
	s_and_b32 exec_lo, exec_lo, vcc_lo
	s_cbranch_execz .LBB185_29
; %bb.25:
	s_load_b64 s[2:3], s[0:1], 0x38
	v_cmp_eq_f32_e32 vcc_lo, 0, v9
	v_cmp_eq_f32_e64 s0, 0, v10
	s_waitcnt lgkmcnt(0)
	v_dual_add_f32 v0, v4, v12 :: v_dual_add_f32 v3, v3, v11
	v_add_f32_e32 v4, v5, v13
	v_add_f32_e32 v2, v2, v6
	s_and_b32 s0, vcc_lo, s0
	s_delay_alu instid0(SALU_CYCLE_1) | instskip(NEXT) | instid1(SALU_CYCLE_1)
	s_and_saveexec_b32 s1, s0
	s_xor_b32 s0, exec_lo, s1
	s_cbranch_execz .LBB185_27
; %bb.26:
	v_dual_mul_f32 v10, v4, v7 :: v_dual_lshlrev_b32 v5, 1, v1
	v_mul_f32_e64 v9, v4, -v8
	v_mul_f32_e64 v11, v3, -v8
	v_mul_f32_e32 v12, v3, v7
	s_delay_alu instid0(VALU_DEP_4)
	v_ashrrev_i32_e32 v6, 31, v5
	v_fmac_f32_e32 v10, v8, v0
	v_fmac_f32_e32 v9, v7, v0
	;; [unrolled: 1-line block ×4, first 2 shown]
	v_lshlrev_b64 v[4:5], 3, v[5:6]
                                        ; implicit-def: $vgpr7
                                        ; implicit-def: $vgpr8
                                        ; implicit-def: $vgpr2
                                        ; implicit-def: $vgpr3
	s_delay_alu instid0(VALU_DEP_1) | instskip(NEXT) | instid1(VALU_DEP_2)
	v_add_co_u32 v0, vcc_lo, s2, v4
	v_add_co_ci_u32_e32 v1, vcc_lo, s3, v5, vcc_lo
                                        ; implicit-def: $vgpr4
	global_store_b128 v[0:1], v[9:12], off
                                        ; implicit-def: $vgpr9
                                        ; implicit-def: $vgpr10
                                        ; implicit-def: $vgpr1
                                        ; implicit-def: $vgpr0
.LBB185_27:
	s_and_not1_saveexec_b32 s0, s0
	s_cbranch_execz .LBB185_29
; %bb.28:
	v_lshlrev_b32_e32 v5, 1, v1
	v_mul_f32_e64 v15, v4, -v8
	v_mul_f32_e32 v1, v4, v7
	v_mul_f32_e64 v4, v3, -v8
	v_mul_f32_e32 v3, v3, v7
	s_delay_alu instid0(VALU_DEP_4) | instskip(NEXT) | instid1(VALU_DEP_3)
	v_fmac_f32_e32 v15, v7, v0
	v_fmac_f32_e32 v4, v7, v2
	v_ashrrev_i32_e32 v6, 31, v5
	s_delay_alu instid0(VALU_DEP_4) | instskip(NEXT) | instid1(VALU_DEP_2)
	v_fmac_f32_e32 v3, v8, v2
	v_lshlrev_b64 v[5:6], 3, v[5:6]
	s_delay_alu instid0(VALU_DEP_1) | instskip(NEXT) | instid1(VALU_DEP_2)
	v_add_co_u32 v5, vcc_lo, s2, v5
	v_add_co_ci_u32_e32 v6, vcc_lo, s3, v6, vcc_lo
	global_load_b128 v[11:14], v[5:6], off
	s_waitcnt vmcnt(0)
	v_dual_fmac_f32 v4, v9, v13 :: v_dual_fmac_f32 v1, v8, v0
	v_fmac_f32_e32 v15, v9, v11
	v_fmac_f32_e32 v3, v10, v13
	s_delay_alu instid0(VALU_DEP_3) | instskip(NEXT) | instid1(VALU_DEP_4)
	v_fma_f32 v2, -v10, v14, v4
	v_fmac_f32_e32 v1, v10, v11
	s_delay_alu instid0(VALU_DEP_4) | instskip(NEXT) | instid1(VALU_DEP_4)
	v_fma_f32 v0, -v10, v12, v15
	v_fmac_f32_e32 v3, v9, v14
	s_delay_alu instid0(VALU_DEP_3)
	v_fmac_f32_e32 v1, v9, v12
	global_store_b128 v[5:6], v[0:3], off
.LBB185_29:
	s_nop 0
	s_sendmsg sendmsg(MSG_DEALLOC_VGPRS)
	s_endpgm
	.section	.rodata,"a",@progbits
	.p2align	6, 0x0
	.amdhsa_kernel _ZN9rocsparseL19gebsrmvn_2xn_kernelILj128ELj8ELj32E21rocsparse_complex_numIfEEEvi20rocsparse_direction_NS_24const_host_device_scalarIT2_EEPKiS8_PKS5_SA_S6_PS5_21rocsparse_index_base_b
		.amdhsa_group_segment_fixed_size 0
		.amdhsa_private_segment_fixed_size 0
		.amdhsa_kernarg_size 72
		.amdhsa_user_sgpr_count 15
		.amdhsa_user_sgpr_dispatch_ptr 0
		.amdhsa_user_sgpr_queue_ptr 0
		.amdhsa_user_sgpr_kernarg_segment_ptr 1
		.amdhsa_user_sgpr_dispatch_id 0
		.amdhsa_user_sgpr_private_segment_size 0
		.amdhsa_wavefront_size32 1
		.amdhsa_uses_dynamic_stack 0
		.amdhsa_enable_private_segment 0
		.amdhsa_system_sgpr_workgroup_id_x 1
		.amdhsa_system_sgpr_workgroup_id_y 0
		.amdhsa_system_sgpr_workgroup_id_z 0
		.amdhsa_system_sgpr_workgroup_info 0
		.amdhsa_system_vgpr_workitem_id 0
		.amdhsa_next_free_vgpr 64
		.amdhsa_next_free_sgpr 16
		.amdhsa_reserve_vcc 1
		.amdhsa_float_round_mode_32 0
		.amdhsa_float_round_mode_16_64 0
		.amdhsa_float_denorm_mode_32 3
		.amdhsa_float_denorm_mode_16_64 3
		.amdhsa_dx10_clamp 1
		.amdhsa_ieee_mode 1
		.amdhsa_fp16_overflow 0
		.amdhsa_workgroup_processor_mode 1
		.amdhsa_memory_ordered 1
		.amdhsa_forward_progress 0
		.amdhsa_shared_vgpr_count 0
		.amdhsa_exception_fp_ieee_invalid_op 0
		.amdhsa_exception_fp_denorm_src 0
		.amdhsa_exception_fp_ieee_div_zero 0
		.amdhsa_exception_fp_ieee_overflow 0
		.amdhsa_exception_fp_ieee_underflow 0
		.amdhsa_exception_fp_ieee_inexact 0
		.amdhsa_exception_int_div_zero 0
	.end_amdhsa_kernel
	.section	.text._ZN9rocsparseL19gebsrmvn_2xn_kernelILj128ELj8ELj32E21rocsparse_complex_numIfEEEvi20rocsparse_direction_NS_24const_host_device_scalarIT2_EEPKiS8_PKS5_SA_S6_PS5_21rocsparse_index_base_b,"axG",@progbits,_ZN9rocsparseL19gebsrmvn_2xn_kernelILj128ELj8ELj32E21rocsparse_complex_numIfEEEvi20rocsparse_direction_NS_24const_host_device_scalarIT2_EEPKiS8_PKS5_SA_S6_PS5_21rocsparse_index_base_b,comdat
.Lfunc_end185:
	.size	_ZN9rocsparseL19gebsrmvn_2xn_kernelILj128ELj8ELj32E21rocsparse_complex_numIfEEEvi20rocsparse_direction_NS_24const_host_device_scalarIT2_EEPKiS8_PKS5_SA_S6_PS5_21rocsparse_index_base_b, .Lfunc_end185-_ZN9rocsparseL19gebsrmvn_2xn_kernelILj128ELj8ELj32E21rocsparse_complex_numIfEEEvi20rocsparse_direction_NS_24const_host_device_scalarIT2_EEPKiS8_PKS5_SA_S6_PS5_21rocsparse_index_base_b
                                        ; -- End function
	.section	.AMDGPU.csdata,"",@progbits
; Kernel info:
; codeLenInByte = 2672
; NumSgprs: 18
; NumVgprs: 64
; ScratchSize: 0
; MemoryBound: 0
; FloatMode: 240
; IeeeMode: 1
; LDSByteSize: 0 bytes/workgroup (compile time only)
; SGPRBlocks: 2
; VGPRBlocks: 7
; NumSGPRsForWavesPerEU: 18
; NumVGPRsForWavesPerEU: 64
; Occupancy: 16
; WaveLimiterHint : 1
; COMPUTE_PGM_RSRC2:SCRATCH_EN: 0
; COMPUTE_PGM_RSRC2:USER_SGPR: 15
; COMPUTE_PGM_RSRC2:TRAP_HANDLER: 0
; COMPUTE_PGM_RSRC2:TGID_X_EN: 1
; COMPUTE_PGM_RSRC2:TGID_Y_EN: 0
; COMPUTE_PGM_RSRC2:TGID_Z_EN: 0
; COMPUTE_PGM_RSRC2:TIDIG_COMP_CNT: 0
	.section	.text._ZN9rocsparseL19gebsrmvn_2xn_kernelILj128ELj8ELj64E21rocsparse_complex_numIfEEEvi20rocsparse_direction_NS_24const_host_device_scalarIT2_EEPKiS8_PKS5_SA_S6_PS5_21rocsparse_index_base_b,"axG",@progbits,_ZN9rocsparseL19gebsrmvn_2xn_kernelILj128ELj8ELj64E21rocsparse_complex_numIfEEEvi20rocsparse_direction_NS_24const_host_device_scalarIT2_EEPKiS8_PKS5_SA_S6_PS5_21rocsparse_index_base_b,comdat
	.globl	_ZN9rocsparseL19gebsrmvn_2xn_kernelILj128ELj8ELj64E21rocsparse_complex_numIfEEEvi20rocsparse_direction_NS_24const_host_device_scalarIT2_EEPKiS8_PKS5_SA_S6_PS5_21rocsparse_index_base_b ; -- Begin function _ZN9rocsparseL19gebsrmvn_2xn_kernelILj128ELj8ELj64E21rocsparse_complex_numIfEEEvi20rocsparse_direction_NS_24const_host_device_scalarIT2_EEPKiS8_PKS5_SA_S6_PS5_21rocsparse_index_base_b
	.p2align	8
	.type	_ZN9rocsparseL19gebsrmvn_2xn_kernelILj128ELj8ELj64E21rocsparse_complex_numIfEEEvi20rocsparse_direction_NS_24const_host_device_scalarIT2_EEPKiS8_PKS5_SA_S6_PS5_21rocsparse_index_base_b,@function
_ZN9rocsparseL19gebsrmvn_2xn_kernelILj128ELj8ELj64E21rocsparse_complex_numIfEEEvi20rocsparse_direction_NS_24const_host_device_scalarIT2_EEPKiS8_PKS5_SA_S6_PS5_21rocsparse_index_base_b: ; @_ZN9rocsparseL19gebsrmvn_2xn_kernelILj128ELj8ELj64E21rocsparse_complex_numIfEEEvi20rocsparse_direction_NS_24const_host_device_scalarIT2_EEPKiS8_PKS5_SA_S6_PS5_21rocsparse_index_base_b
; %bb.0:
	s_clause 0x2
	s_load_b64 s[12:13], s[0:1], 0x40
	s_load_b64 s[4:5], s[0:1], 0x8
	;; [unrolled: 1-line block ×3, first 2 shown]
	s_waitcnt lgkmcnt(0)
	s_bitcmp1_b32 s13, 0
	v_mov_b32_e32 v7, s4
	s_cselect_b32 s6, -1, 0
	s_delay_alu instid0(SALU_CYCLE_1)
	s_and_b32 vcc_lo, exec_lo, s6
	s_xor_b32 s6, s6, -1
	s_cbranch_vccz .LBB186_15
; %bb.1:
	v_cndmask_b32_e64 v1, 0, 1, s6
	v_mov_b32_e32 v8, s5
	s_and_not1_b32 vcc_lo, exec_lo, s6
	s_cbranch_vccz .LBB186_16
.LBB186_2:
	s_delay_alu instid0(VALU_DEP_2)
	v_cmp_ne_u32_e32 vcc_lo, 1, v1
	v_mov_b32_e32 v9, s2
	s_cbranch_vccz .LBB186_17
.LBB186_3:
	v_cmp_ne_u32_e32 vcc_lo, 1, v1
	v_mov_b32_e32 v10, s3
	s_cbranch_vccnz .LBB186_5
.LBB186_4:
	v_dual_mov_b32 v1, s2 :: v_dual_mov_b32 v2, s3
	flat_load_b32 v10, v[1:2] offset:4
.LBB186_5:
	s_waitcnt vmcnt(0) lgkmcnt(0)
	v_cmp_eq_f32_e32 vcc_lo, 0, v7
	v_cmp_eq_f32_e64 s2, 0, v8
	s_delay_alu instid0(VALU_DEP_1)
	s_and_b32 s4, vcc_lo, s2
	s_mov_b32 s2, -1
	s_and_saveexec_b32 s3, s4
; %bb.6:
	v_cmp_neq_f32_e32 vcc_lo, 1.0, v9
	v_cmp_neq_f32_e64 s2, 0, v10
	s_delay_alu instid0(VALU_DEP_1) | instskip(NEXT) | instid1(SALU_CYCLE_1)
	s_or_b32 s2, vcc_lo, s2
	s_or_not1_b32 s2, s2, exec_lo
; %bb.7:
	s_or_b32 exec_lo, exec_lo, s3
	s_and_saveexec_b32 s3, s2
	s_cbranch_execz .LBB186_29
; %bb.8:
	s_load_b64 s[2:3], s[0:1], 0x0
	v_lshrrev_b32_e32 v1, 6, v0
	s_delay_alu instid0(VALU_DEP_1) | instskip(SKIP_1) | instid1(VALU_DEP_1)
	v_lshl_or_b32 v1, s15, 1, v1
	s_waitcnt lgkmcnt(0)
	v_cmp_gt_i32_e32 vcc_lo, s2, v1
	s_and_b32 exec_lo, exec_lo, vcc_lo
	s_cbranch_execz .LBB186_29
; %bb.9:
	s_load_b256 s[4:11], s[0:1], 0x10
	v_ashrrev_i32_e32 v2, 31, v1
	v_and_b32_e32 v0, 63, v0
	s_cmp_lg_u32 s3, 0
	s_delay_alu instid0(VALU_DEP_2) | instskip(SKIP_1) | instid1(VALU_DEP_1)
	v_lshlrev_b64 v[2:3], 2, v[1:2]
	s_waitcnt lgkmcnt(0)
	v_add_co_u32 v2, vcc_lo, s4, v2
	s_delay_alu instid0(VALU_DEP_2) | instskip(SKIP_4) | instid1(VALU_DEP_2)
	v_add_co_ci_u32_e32 v3, vcc_lo, s5, v3, vcc_lo
	global_load_b64 v[2:3], v[2:3], off
	s_waitcnt vmcnt(0)
	v_subrev_nc_u32_e32 v2, s12, v2
	v_subrev_nc_u32_e32 v13, s12, v3
	v_add_nc_u32_e32 v2, v2, v0
	s_delay_alu instid0(VALU_DEP_1)
	v_cmp_lt_i32_e64 s2, v2, v13
	s_cbranch_scc0 .LBB186_18
; %bb.10:
	v_dual_mov_b32 v11, 0 :: v_dual_mov_b32 v14, 0
	v_dual_mov_b32 v15, 0 :: v_dual_mov_b32 v12, 0
	s_mov_b32 s3, 0
	s_and_saveexec_b32 s4, s2
	s_cbranch_execz .LBB186_14
; %bb.11:
	v_dual_mov_b32 v4, 0 :: v_dual_lshlrev_b32 v3, 4, v2
	v_mov_b32_e32 v5, v2
	s_mov_b32 s5, 0
	s_delay_alu instid0(VALU_DEP_2)
	v_mov_b32_e32 v14, v4
	v_mov_b32_e32 v11, v4
	;; [unrolled: 1-line block ×4, first 2 shown]
.LBB186_12:                             ; =>This Inner Loop Header: Depth=1
	v_ashrrev_i32_e32 v6, 31, v5
	s_delay_alu instid0(VALU_DEP_1) | instskip(SKIP_1) | instid1(VALU_DEP_2)
	v_lshlrev_b64 v[16:17], 2, v[5:6]
	v_add_nc_u32_e32 v5, 64, v5
	v_add_co_u32 v16, vcc_lo, s6, v16
	s_delay_alu instid0(VALU_DEP_3) | instskip(SKIP_3) | instid1(VALU_DEP_2)
	v_add_co_ci_u32_e32 v17, vcc_lo, s7, v17, vcc_lo
	global_load_b32 v6, v[16:17], off
	v_lshlrev_b64 v[16:17], 3, v[3:4]
	v_add_nc_u32_e32 v3, 0x400, v3
	v_add_co_u32 v60, vcc_lo, s8, v16
	s_delay_alu instid0(VALU_DEP_3) | instskip(SKIP_3) | instid1(VALU_DEP_1)
	v_add_co_ci_u32_e32 v61, vcc_lo, s9, v17, vcc_lo
	global_load_b128 v[16:19], v[60:61], off offset:16
	s_waitcnt vmcnt(1)
	v_subrev_nc_u32_e32 v6, s12, v6
	v_dual_mov_b32 v21, v4 :: v_dual_lshlrev_b32 v20, 3, v6
	s_delay_alu instid0(VALU_DEP_1) | instskip(NEXT) | instid1(VALU_DEP_1)
	v_lshlrev_b64 v[20:21], 3, v[20:21]
	v_add_co_u32 v52, vcc_lo, s10, v20
	s_delay_alu instid0(VALU_DEP_2)
	v_add_co_ci_u32_e32 v53, vcc_lo, s11, v21, vcc_lo
	global_load_b128 v[20:23], v[60:61], off
	s_clause 0x1
	global_load_b128 v[24:27], v[52:53], off
	global_load_b128 v[28:31], v[52:53], off offset:16
	s_clause 0x3
	global_load_b128 v[32:35], v[60:61], off offset:32
	global_load_b128 v[36:39], v[60:61], off offset:48
	;; [unrolled: 1-line block ×4, first 2 shown]
	s_clause 0x1
	global_load_b128 v[48:51], v[52:53], off offset:32
	global_load_b128 v[52:55], v[52:53], off offset:48
	s_clause 0x1
	global_load_b128 v[56:59], v[60:61], off offset:96
	global_load_b128 v[60:63], v[60:61], off offset:112
	v_cmp_ge_i32_e32 vcc_lo, v5, v13
	s_or_b32 s5, vcc_lo, s5
	s_waitcnt vmcnt(9)
	v_fmac_f32_e32 v12, v23, v24
	s_delay_alu instid0(VALU_DEP_1) | instskip(NEXT) | instid1(VALU_DEP_1)
	v_dual_fmac_f32 v11, v21, v24 :: v_dual_fmac_f32 v12, v22, v25
	v_fmac_f32_e32 v11, v20, v25
	s_delay_alu instid0(VALU_DEP_1) | instskip(NEXT) | instid1(VALU_DEP_1)
	v_dual_fmac_f32 v14, v20, v24 :: v_dual_fmac_f32 v11, v17, v26
	v_fma_f32 v6, -v21, v25, v14
	v_fmac_f32_e32 v15, v22, v24
	s_delay_alu instid0(VALU_DEP_3) | instskip(NEXT) | instid1(VALU_DEP_3)
	v_fmac_f32_e32 v11, v16, v27
	v_fmac_f32_e32 v6, v16, v26
	s_delay_alu instid0(VALU_DEP_3) | instskip(SKIP_1) | instid1(VALU_DEP_3)
	v_fma_f32 v14, -v23, v25, v15
	s_waitcnt vmcnt(7)
	v_dual_fmac_f32 v12, v19, v26 :: v_dual_fmac_f32 v11, v33, v28
	s_delay_alu instid0(VALU_DEP_3) | instskip(NEXT) | instid1(VALU_DEP_3)
	v_fma_f32 v6, -v17, v27, v6
	v_fmac_f32_e32 v14, v18, v26
	s_delay_alu instid0(VALU_DEP_3) | instskip(NEXT) | instid1(VALU_DEP_3)
	v_dual_fmac_f32 v12, v18, v27 :: v_dual_fmac_f32 v11, v32, v29
	v_fmac_f32_e32 v6, v32, v28
	s_delay_alu instid0(VALU_DEP_3) | instskip(SKIP_1) | instid1(VALU_DEP_3)
	v_fma_f32 v14, -v19, v27, v14
	s_waitcnt vmcnt(6)
	v_fmac_f32_e32 v11, v37, v30
	s_delay_alu instid0(VALU_DEP_3) | instskip(NEXT) | instid1(VALU_DEP_2)
	v_fma_f32 v6, -v33, v29, v6
	v_dual_fmac_f32 v14, v34, v28 :: v_dual_fmac_f32 v11, v36, v31
	s_delay_alu instid0(VALU_DEP_2) | instskip(NEXT) | instid1(VALU_DEP_2)
	v_fmac_f32_e32 v6, v36, v30
	v_fma_f32 v14, -v35, v29, v14
	s_waitcnt vmcnt(3)
	s_delay_alu instid0(VALU_DEP_3) | instskip(SKIP_2) | instid1(VALU_DEP_3)
	v_fmac_f32_e32 v11, v45, v48
	v_fmac_f32_e32 v12, v35, v28
	v_fma_f32 v6, -v37, v31, v6
	v_fmac_f32_e32 v11, v44, v49
	s_delay_alu instid0(VALU_DEP_3) | instskip(NEXT) | instid1(VALU_DEP_2)
	v_fmac_f32_e32 v12, v34, v29
	v_dual_fmac_f32 v6, v44, v48 :: v_dual_fmac_f32 v11, v41, v50
	v_fmac_f32_e32 v14, v38, v30
	s_delay_alu instid0(VALU_DEP_2) | instskip(NEXT) | instid1(VALU_DEP_3)
	v_fma_f32 v6, -v45, v49, v6
	v_dual_fmac_f32 v11, v40, v51 :: v_dual_fmac_f32 v12, v39, v30
	s_delay_alu instid0(VALU_DEP_3) | instskip(SKIP_1) | instid1(VALU_DEP_2)
	v_fma_f32 v14, -v39, v31, v14
	s_waitcnt vmcnt(1)
	v_dual_fmac_f32 v6, v40, v50 :: v_dual_fmac_f32 v11, v57, v52
	s_delay_alu instid0(VALU_DEP_3) | instskip(NEXT) | instid1(VALU_DEP_3)
	v_fmac_f32_e32 v12, v38, v31
	v_fmac_f32_e32 v14, v46, v48
	s_delay_alu instid0(VALU_DEP_3) | instskip(NEXT) | instid1(VALU_DEP_3)
	v_fma_f32 v6, -v41, v51, v6
	v_dual_fmac_f32 v11, v56, v53 :: v_dual_fmac_f32 v12, v47, v48
	s_delay_alu instid0(VALU_DEP_3) | instskip(SKIP_1) | instid1(VALU_DEP_2)
	v_fma_f32 v14, -v47, v49, v14
	s_waitcnt vmcnt(0)
	v_dual_fmac_f32 v11, v61, v54 :: v_dual_fmac_f32 v12, v46, v49
	s_delay_alu instid0(VALU_DEP_1) | instskip(NEXT) | instid1(VALU_DEP_2)
	v_dual_fmac_f32 v14, v42, v50 :: v_dual_fmac_f32 v11, v60, v55
	v_fmac_f32_e32 v12, v43, v50
	s_delay_alu instid0(VALU_DEP_2) | instskip(NEXT) | instid1(VALU_DEP_2)
	v_fma_f32 v14, -v43, v51, v14
	v_fmac_f32_e32 v12, v42, v51
	s_delay_alu instid0(VALU_DEP_2) | instskip(NEXT) | instid1(VALU_DEP_2)
	v_fmac_f32_e32 v14, v58, v52
	v_fmac_f32_e32 v12, v59, v52
	s_delay_alu instid0(VALU_DEP_2) | instskip(SKIP_1) | instid1(VALU_DEP_3)
	v_fma_f32 v15, -v59, v53, v14
	v_fmac_f32_e32 v6, v56, v52
	v_fmac_f32_e32 v12, v58, v53
	s_delay_alu instid0(VALU_DEP_3) | instskip(NEXT) | instid1(VALU_DEP_3)
	v_fmac_f32_e32 v15, v62, v54
	v_fma_f32 v6, -v57, v53, v6
	s_delay_alu instid0(VALU_DEP_3) | instskip(NEXT) | instid1(VALU_DEP_3)
	v_fmac_f32_e32 v12, v63, v54
	v_fma_f32 v15, -v63, v55, v15
	s_delay_alu instid0(VALU_DEP_3) | instskip(NEXT) | instid1(VALU_DEP_3)
	v_fmac_f32_e32 v6, v60, v54
	v_fmac_f32_e32 v12, v62, v55
	s_delay_alu instid0(VALU_DEP_2)
	v_fma_f32 v14, -v61, v55, v6
	s_and_not1_b32 exec_lo, exec_lo, s5
	s_cbranch_execnz .LBB186_12
; %bb.13:
	s_or_b32 exec_lo, exec_lo, s5
.LBB186_14:
	s_delay_alu instid0(SALU_CYCLE_1) | instskip(NEXT) | instid1(SALU_CYCLE_1)
	s_or_b32 exec_lo, exec_lo, s4
	s_and_not1_b32 vcc_lo, exec_lo, s3
	s_cbranch_vccz .LBB186_19
	s_branch .LBB186_24
.LBB186_15:
	v_dual_mov_b32 v1, s4 :: v_dual_mov_b32 v2, s5
	flat_load_b32 v7, v[1:2]
	v_cndmask_b32_e64 v1, 0, 1, s6
	v_mov_b32_e32 v8, s5
	s_and_not1_b32 vcc_lo, exec_lo, s6
	s_cbranch_vccnz .LBB186_2
.LBB186_16:
	v_dual_mov_b32 v2, s4 :: v_dual_mov_b32 v3, s5
	flat_load_b32 v8, v[2:3] offset:4
	v_cmp_ne_u32_e32 vcc_lo, 1, v1
	v_mov_b32_e32 v9, s2
	s_cbranch_vccnz .LBB186_3
.LBB186_17:
	v_dual_mov_b32 v2, s2 :: v_dual_mov_b32 v3, s3
	flat_load_b32 v9, v[2:3]
	v_cmp_ne_u32_e32 vcc_lo, 1, v1
	v_mov_b32_e32 v10, s3
	s_cbranch_vccz .LBB186_4
	s_branch .LBB186_5
.LBB186_18:
                                        ; implicit-def: $vgpr11
                                        ; implicit-def: $vgpr14
                                        ; implicit-def: $vgpr15
                                        ; implicit-def: $vgpr12
.LBB186_19:
	v_dual_mov_b32 v11, 0 :: v_dual_mov_b32 v14, 0
	v_dual_mov_b32 v15, 0 :: v_dual_mov_b32 v12, 0
	s_delay_alu instid0(VALU_DEP_3)
	s_and_saveexec_b32 s3, s2
	s_cbranch_execz .LBB186_23
; %bb.20:
	v_dual_mov_b32 v5, 0 :: v_dual_lshlrev_b32 v4, 4, v2
	s_mov_b32 s2, 0
	s_delay_alu instid0(VALU_DEP_1)
	v_mov_b32_e32 v11, v5
	v_mov_b32_e32 v14, v5
	;; [unrolled: 1-line block ×4, first 2 shown]
.LBB186_21:                             ; =>This Inner Loop Header: Depth=1
	v_ashrrev_i32_e32 v3, 31, v2
	s_delay_alu instid0(VALU_DEP_1) | instskip(SKIP_1) | instid1(VALU_DEP_2)
	v_lshlrev_b64 v[16:17], 2, v[2:3]
	v_add_nc_u32_e32 v2, 64, v2
	v_add_co_u32 v16, vcc_lo, s6, v16
	s_delay_alu instid0(VALU_DEP_3) | instskip(SKIP_2) | instid1(VALU_DEP_1)
	v_add_co_ci_u32_e32 v17, vcc_lo, s7, v17, vcc_lo
	global_load_b32 v3, v[16:17], off
	v_lshlrev_b64 v[16:17], 3, v[4:5]
	v_add_co_u32 v52, vcc_lo, s8, v16
	s_delay_alu instid0(VALU_DEP_2)
	v_add_co_ci_u32_e32 v53, vcc_lo, s9, v17, vcc_lo
	s_clause 0x2
	global_load_b128 v[16:19], v[52:53], off offset:16
	global_load_b128 v[20:23], v[52:53], off
	global_load_b128 v[24:27], v[52:53], off offset:80
	s_waitcnt vmcnt(3)
	v_subrev_nc_u32_e32 v3, s12, v3
	s_delay_alu instid0(VALU_DEP_1) | instskip(NEXT) | instid1(VALU_DEP_1)
	v_dual_mov_b32 v29, v5 :: v_dual_lshlrev_b32 v28, 3, v3
	v_lshlrev_b64 v[28:29], 3, v[28:29]
	s_delay_alu instid0(VALU_DEP_1) | instskip(NEXT) | instid1(VALU_DEP_2)
	v_add_co_u32 v60, vcc_lo, s10, v28
	v_add_co_ci_u32_e32 v61, vcc_lo, s11, v29, vcc_lo
	global_load_b128 v[28:31], v[52:53], off offset:64
	s_clause 0x1
	global_load_b128 v[32:35], v[60:61], off
	global_load_b128 v[36:39], v[60:61], off offset:16
	s_clause 0x3
	global_load_b128 v[40:43], v[52:53], off offset:48
	global_load_b128 v[44:47], v[52:53], off offset:32
	;; [unrolled: 1-line block ×4, first 2 shown]
	s_clause 0x1
	global_load_b128 v[56:59], v[60:61], off offset:32
	global_load_b128 v[60:63], v[60:61], off offset:48
	v_cmp_ge_i32_e32 vcc_lo, v2, v13
	s_or_b32 s2, vcc_lo, s2
	s_waitcnt vmcnt(7)
	v_fmac_f32_e32 v15, v28, v32
	v_fmac_f32_e32 v14, v20, v32
	;; [unrolled: 1-line block ×4, first 2 shown]
	s_delay_alu instid0(VALU_DEP_4) | instskip(NEXT) | instid1(VALU_DEP_4)
	v_fma_f32 v6, -v29, v33, v15
	v_fma_f32 v3, -v21, v33, v14
	s_delay_alu instid0(VALU_DEP_4) | instskip(NEXT) | instid1(VALU_DEP_3)
	v_fmac_f32_e32 v12, v28, v33
	v_dual_fmac_f32 v11, v20, v33 :: v_dual_fmac_f32 v6, v30, v34
	s_delay_alu instid0(VALU_DEP_3) | instskip(NEXT) | instid1(VALU_DEP_3)
	v_fmac_f32_e32 v3, v22, v34
	v_fmac_f32_e32 v12, v31, v34
	s_delay_alu instid0(VALU_DEP_3) | instskip(NEXT) | instid1(VALU_DEP_4)
	v_fmac_f32_e32 v11, v23, v34
	v_fma_f32 v6, -v31, v35, v6
	s_delay_alu instid0(VALU_DEP_4) | instskip(NEXT) | instid1(VALU_DEP_4)
	v_fma_f32 v3, -v23, v35, v3
	v_fmac_f32_e32 v12, v30, v35
	s_waitcnt vmcnt(6)
	s_delay_alu instid0(VALU_DEP_3) | instskip(NEXT) | instid1(VALU_DEP_2)
	v_dual_fmac_f32 v11, v22, v35 :: v_dual_fmac_f32 v6, v24, v36
	v_fmac_f32_e32 v12, v25, v36
	s_delay_alu instid0(VALU_DEP_2) | instskip(NEXT) | instid1(VALU_DEP_3)
	v_fmac_f32_e32 v11, v17, v36
	v_fma_f32 v6, -v25, v37, v6
	v_fmac_f32_e32 v3, v16, v36
	s_delay_alu instid0(VALU_DEP_4) | instskip(NEXT) | instid1(VALU_DEP_3)
	v_fmac_f32_e32 v12, v24, v37
	v_dual_fmac_f32 v11, v16, v37 :: v_dual_fmac_f32 v6, v26, v38
	s_delay_alu instid0(VALU_DEP_3) | instskip(NEXT) | instid1(VALU_DEP_3)
	v_fma_f32 v3, -v17, v37, v3
	v_fmac_f32_e32 v12, v27, v38
	s_delay_alu instid0(VALU_DEP_3) | instskip(NEXT) | instid1(VALU_DEP_4)
	v_fmac_f32_e32 v11, v19, v38
	v_fma_f32 v6, -v27, v39, v6
	s_delay_alu instid0(VALU_DEP_4) | instskip(NEXT) | instid1(VALU_DEP_4)
	v_fmac_f32_e32 v3, v18, v38
	v_fmac_f32_e32 v12, v26, v39
	s_waitcnt vmcnt(1)
	s_delay_alu instid0(VALU_DEP_3) | instskip(NEXT) | instid1(VALU_DEP_3)
	v_dual_fmac_f32 v11, v18, v39 :: v_dual_fmac_f32 v6, v52, v56
	v_fma_f32 v3, -v19, v39, v3
	s_delay_alu instid0(VALU_DEP_3) | instskip(NEXT) | instid1(VALU_DEP_3)
	v_fmac_f32_e32 v12, v53, v56
	v_fmac_f32_e32 v11, v45, v56
	s_delay_alu instid0(VALU_DEP_4) | instskip(NEXT) | instid1(VALU_DEP_4)
	v_fma_f32 v6, -v53, v57, v6
	v_fmac_f32_e32 v3, v44, v56
	s_delay_alu instid0(VALU_DEP_4) | instskip(NEXT) | instid1(VALU_DEP_3)
	v_fmac_f32_e32 v12, v52, v57
	v_dual_fmac_f32 v11, v44, v57 :: v_dual_fmac_f32 v6, v54, v58
	s_delay_alu instid0(VALU_DEP_3) | instskip(NEXT) | instid1(VALU_DEP_3)
	v_fma_f32 v3, -v45, v57, v3
	v_fmac_f32_e32 v12, v55, v58
	s_delay_alu instid0(VALU_DEP_3) | instskip(NEXT) | instid1(VALU_DEP_4)
	v_fmac_f32_e32 v11, v47, v58
	v_fma_f32 v6, -v55, v59, v6
	s_delay_alu instid0(VALU_DEP_4) | instskip(NEXT) | instid1(VALU_DEP_4)
	v_fmac_f32_e32 v3, v46, v58
	v_fmac_f32_e32 v12, v54, v59
	s_delay_alu instid0(VALU_DEP_4) | instskip(NEXT) | instid1(VALU_DEP_3)
	v_fmac_f32_e32 v11, v46, v59
	v_fma_f32 v3, -v47, v59, v3
	s_waitcnt vmcnt(0)
	s_delay_alu instid0(VALU_DEP_3) | instskip(NEXT) | instid1(VALU_DEP_3)
	v_fmac_f32_e32 v12, v49, v60
	v_fmac_f32_e32 v11, v41, v60
	s_delay_alu instid0(VALU_DEP_3) | instskip(NEXT) | instid1(VALU_DEP_3)
	v_fmac_f32_e32 v3, v40, v60
	v_fmac_f32_e32 v12, v48, v61
	s_delay_alu instid0(VALU_DEP_3) | instskip(NEXT) | instid1(VALU_DEP_3)
	v_dual_fmac_f32 v11, v40, v61 :: v_dual_add_nc_u32 v4, 0x400, v4
	v_fma_f32 v3, -v41, v61, v3
	s_delay_alu instid0(VALU_DEP_2) | instskip(NEXT) | instid1(VALU_DEP_4)
	v_dual_fmac_f32 v6, v48, v60 :: v_dual_fmac_f32 v11, v43, v62
	v_fmac_f32_e32 v12, v51, v62
	s_delay_alu instid0(VALU_DEP_3) | instskip(NEXT) | instid1(VALU_DEP_3)
	v_fmac_f32_e32 v3, v42, v62
	v_fma_f32 v6, -v49, v61, v6
	s_delay_alu instid0(VALU_DEP_4) | instskip(NEXT) | instid1(VALU_DEP_4)
	v_fmac_f32_e32 v11, v42, v63
	v_fmac_f32_e32 v12, v50, v63
	s_delay_alu instid0(VALU_DEP_4) | instskip(NEXT) | instid1(VALU_DEP_4)
	v_fma_f32 v14, -v43, v63, v3
	v_fmac_f32_e32 v6, v50, v62
	s_delay_alu instid0(VALU_DEP_1)
	v_fma_f32 v15, -v51, v63, v6
	s_and_not1_b32 exec_lo, exec_lo, s2
	s_cbranch_execnz .LBB186_21
; %bb.22:
	s_or_b32 exec_lo, exec_lo, s2
.LBB186_23:
	s_delay_alu instid0(SALU_CYCLE_1)
	s_or_b32 exec_lo, exec_lo, s3
.LBB186_24:
	v_mbcnt_lo_u32_b32 v2, -1, 0
	s_delay_alu instid0(VALU_DEP_1) | instskip(SKIP_1) | instid1(VALU_DEP_2)
	v_or_b32_e32 v3, 32, v2
	v_xor_b32_e32 v13, 16, v2
	v_cmp_gt_i32_e32 vcc_lo, 32, v3
	v_cndmask_b32_e32 v3, v2, v3, vcc_lo
	s_delay_alu instid0(VALU_DEP_3) | instskip(NEXT) | instid1(VALU_DEP_2)
	v_cmp_gt_i32_e32 vcc_lo, 32, v13
	v_lshlrev_b32_e32 v3, 2, v3
	ds_bpermute_b32 v4, v3, v14
	s_waitcnt lgkmcnt(0)
	v_add_f32_e32 v4, v14, v4
	ds_bpermute_b32 v6, v3, v15
	v_cndmask_b32_e32 v13, v2, v13, vcc_lo
	ds_bpermute_b32 v5, v3, v11
	ds_bpermute_b32 v3, v3, v12
	s_waitcnt lgkmcnt(2)
	v_dual_add_f32 v6, v15, v6 :: v_dual_lshlrev_b32 v13, 2, v13
	s_waitcnt lgkmcnt(1)
	v_add_f32_e32 v5, v11, v5
	v_xor_b32_e32 v15, 8, v2
	ds_bpermute_b32 v14, v13, v6
	v_cmp_gt_i32_e32 vcc_lo, 32, v15
	v_cndmask_b32_e32 v15, v2, v15, vcc_lo
	s_waitcnt lgkmcnt(0)
	s_delay_alu instid0(VALU_DEP_1)
	v_dual_add_f32 v6, v6, v14 :: v_dual_lshlrev_b32 v15, 2, v15
	ds_bpermute_b32 v11, v13, v4
	v_add_f32_e32 v3, v12, v3
	s_waitcnt lgkmcnt(0)
	v_add_f32_e32 v4, v4, v11
	ds_bpermute_b32 v11, v15, v4
	s_waitcnt lgkmcnt(0)
	v_add_f32_e32 v4, v4, v11
	ds_bpermute_b32 v12, v13, v5
	ds_bpermute_b32 v13, v13, v3
	s_waitcnt lgkmcnt(1)
	v_add_f32_e32 v5, v5, v12
	s_waitcnt lgkmcnt(0)
	v_add_f32_e32 v3, v3, v13
	ds_bpermute_b32 v13, v15, v6
	ds_bpermute_b32 v12, v15, v5
	;; [unrolled: 1-line block ×3, first 2 shown]
	v_xor_b32_e32 v15, 4, v2
	s_delay_alu instid0(VALU_DEP_1) | instskip(SKIP_2) | instid1(VALU_DEP_1)
	v_cmp_gt_i32_e32 vcc_lo, 32, v15
	v_cndmask_b32_e32 v15, v2, v15, vcc_lo
	s_waitcnt lgkmcnt(2)
	v_dual_add_f32 v6, v6, v13 :: v_dual_lshlrev_b32 v15, 2, v15
	s_waitcnt lgkmcnt(0)
	v_add_f32_e32 v3, v3, v14
	ds_bpermute_b32 v11, v15, v4
	ds_bpermute_b32 v13, v15, v6
	ds_bpermute_b32 v14, v15, v3
	s_waitcnt lgkmcnt(2)
	v_dual_add_f32 v4, v4, v11 :: v_dual_add_f32 v5, v5, v12
	s_waitcnt lgkmcnt(0)
	v_dual_add_f32 v6, v6, v13 :: v_dual_add_f32 v3, v3, v14
	ds_bpermute_b32 v12, v15, v5
	v_xor_b32_e32 v15, 2, v2
	s_delay_alu instid0(VALU_DEP_1) | instskip(SKIP_1) | instid1(VALU_DEP_1)
	v_cmp_gt_i32_e32 vcc_lo, 32, v15
	v_cndmask_b32_e32 v15, v2, v15, vcc_lo
	v_lshlrev_b32_e32 v15, 2, v15
	ds_bpermute_b32 v11, v15, v4
	ds_bpermute_b32 v13, v15, v6
	;; [unrolled: 1-line block ×3, first 2 shown]
	s_waitcnt lgkmcnt(2)
	v_dual_add_f32 v4, v4, v11 :: v_dual_add_f32 v5, v5, v12
	s_waitcnt lgkmcnt(0)
	v_add_f32_e32 v3, v3, v14
	ds_bpermute_b32 v12, v15, v5
	v_xor_b32_e32 v15, 1, v2
	s_delay_alu instid0(VALU_DEP_1) | instskip(SKIP_2) | instid1(VALU_DEP_2)
	v_cmp_gt_i32_e32 vcc_lo, 32, v15
	v_cndmask_b32_e32 v2, v2, v15, vcc_lo
	v_cmp_eq_u32_e32 vcc_lo, 63, v0
	v_dual_add_f32 v2, v6, v13 :: v_dual_lshlrev_b32 v15, 2, v2
	s_waitcnt lgkmcnt(0)
	v_add_f32_e32 v5, v5, v12
	ds_bpermute_b32 v12, v15, v4
	ds_bpermute_b32 v6, v15, v2
	;; [unrolled: 1-line block ×4, first 2 shown]
	s_and_b32 exec_lo, exec_lo, vcc_lo
	s_cbranch_execz .LBB186_29
; %bb.25:
	s_load_b64 s[2:3], s[0:1], 0x38
	v_cmp_eq_f32_e32 vcc_lo, 0, v9
	v_cmp_eq_f32_e64 s0, 0, v10
	s_waitcnt lgkmcnt(0)
	v_dual_add_f32 v0, v4, v12 :: v_dual_add_f32 v3, v3, v11
	v_add_f32_e32 v4, v5, v13
	v_add_f32_e32 v2, v2, v6
	s_and_b32 s0, vcc_lo, s0
	s_delay_alu instid0(SALU_CYCLE_1) | instskip(NEXT) | instid1(SALU_CYCLE_1)
	s_and_saveexec_b32 s1, s0
	s_xor_b32 s0, exec_lo, s1
	s_cbranch_execz .LBB186_27
; %bb.26:
	v_dual_mul_f32 v10, v4, v7 :: v_dual_lshlrev_b32 v5, 1, v1
	v_mul_f32_e64 v9, v4, -v8
	v_mul_f32_e64 v11, v3, -v8
	v_mul_f32_e32 v12, v3, v7
	s_delay_alu instid0(VALU_DEP_4)
	v_ashrrev_i32_e32 v6, 31, v5
	v_fmac_f32_e32 v10, v8, v0
	v_fmac_f32_e32 v9, v7, v0
	;; [unrolled: 1-line block ×4, first 2 shown]
	v_lshlrev_b64 v[4:5], 3, v[5:6]
                                        ; implicit-def: $vgpr7
                                        ; implicit-def: $vgpr8
                                        ; implicit-def: $vgpr2
                                        ; implicit-def: $vgpr3
	s_delay_alu instid0(VALU_DEP_1) | instskip(NEXT) | instid1(VALU_DEP_2)
	v_add_co_u32 v0, vcc_lo, s2, v4
	v_add_co_ci_u32_e32 v1, vcc_lo, s3, v5, vcc_lo
                                        ; implicit-def: $vgpr4
	global_store_b128 v[0:1], v[9:12], off
                                        ; implicit-def: $vgpr9
                                        ; implicit-def: $vgpr10
                                        ; implicit-def: $vgpr1
                                        ; implicit-def: $vgpr0
.LBB186_27:
	s_and_not1_saveexec_b32 s0, s0
	s_cbranch_execz .LBB186_29
; %bb.28:
	v_lshlrev_b32_e32 v5, 1, v1
	v_mul_f32_e64 v15, v4, -v8
	v_mul_f32_e32 v1, v4, v7
	v_mul_f32_e64 v4, v3, -v8
	v_mul_f32_e32 v3, v3, v7
	s_delay_alu instid0(VALU_DEP_4) | instskip(NEXT) | instid1(VALU_DEP_3)
	v_fmac_f32_e32 v15, v7, v0
	v_fmac_f32_e32 v4, v7, v2
	v_ashrrev_i32_e32 v6, 31, v5
	s_delay_alu instid0(VALU_DEP_4) | instskip(NEXT) | instid1(VALU_DEP_2)
	v_fmac_f32_e32 v3, v8, v2
	v_lshlrev_b64 v[5:6], 3, v[5:6]
	s_delay_alu instid0(VALU_DEP_1) | instskip(NEXT) | instid1(VALU_DEP_2)
	v_add_co_u32 v5, vcc_lo, s2, v5
	v_add_co_ci_u32_e32 v6, vcc_lo, s3, v6, vcc_lo
	global_load_b128 v[11:14], v[5:6], off
	s_waitcnt vmcnt(0)
	v_dual_fmac_f32 v4, v9, v13 :: v_dual_fmac_f32 v1, v8, v0
	v_fmac_f32_e32 v15, v9, v11
	v_fmac_f32_e32 v3, v10, v13
	s_delay_alu instid0(VALU_DEP_3) | instskip(NEXT) | instid1(VALU_DEP_4)
	v_fma_f32 v2, -v10, v14, v4
	v_fmac_f32_e32 v1, v10, v11
	s_delay_alu instid0(VALU_DEP_4) | instskip(NEXT) | instid1(VALU_DEP_4)
	v_fma_f32 v0, -v10, v12, v15
	v_fmac_f32_e32 v3, v9, v14
	s_delay_alu instid0(VALU_DEP_3)
	v_fmac_f32_e32 v1, v9, v12
	global_store_b128 v[5:6], v[0:3], off
.LBB186_29:
	s_nop 0
	s_sendmsg sendmsg(MSG_DEALLOC_VGPRS)
	s_endpgm
	.section	.rodata,"a",@progbits
	.p2align	6, 0x0
	.amdhsa_kernel _ZN9rocsparseL19gebsrmvn_2xn_kernelILj128ELj8ELj64E21rocsparse_complex_numIfEEEvi20rocsparse_direction_NS_24const_host_device_scalarIT2_EEPKiS8_PKS5_SA_S6_PS5_21rocsparse_index_base_b
		.amdhsa_group_segment_fixed_size 0
		.amdhsa_private_segment_fixed_size 0
		.amdhsa_kernarg_size 72
		.amdhsa_user_sgpr_count 15
		.amdhsa_user_sgpr_dispatch_ptr 0
		.amdhsa_user_sgpr_queue_ptr 0
		.amdhsa_user_sgpr_kernarg_segment_ptr 1
		.amdhsa_user_sgpr_dispatch_id 0
		.amdhsa_user_sgpr_private_segment_size 0
		.amdhsa_wavefront_size32 1
		.amdhsa_uses_dynamic_stack 0
		.amdhsa_enable_private_segment 0
		.amdhsa_system_sgpr_workgroup_id_x 1
		.amdhsa_system_sgpr_workgroup_id_y 0
		.amdhsa_system_sgpr_workgroup_id_z 0
		.amdhsa_system_sgpr_workgroup_info 0
		.amdhsa_system_vgpr_workitem_id 0
		.amdhsa_next_free_vgpr 64
		.amdhsa_next_free_sgpr 16
		.amdhsa_reserve_vcc 1
		.amdhsa_float_round_mode_32 0
		.amdhsa_float_round_mode_16_64 0
		.amdhsa_float_denorm_mode_32 3
		.amdhsa_float_denorm_mode_16_64 3
		.amdhsa_dx10_clamp 1
		.amdhsa_ieee_mode 1
		.amdhsa_fp16_overflow 0
		.amdhsa_workgroup_processor_mode 1
		.amdhsa_memory_ordered 1
		.amdhsa_forward_progress 0
		.amdhsa_shared_vgpr_count 0
		.amdhsa_exception_fp_ieee_invalid_op 0
		.amdhsa_exception_fp_denorm_src 0
		.amdhsa_exception_fp_ieee_div_zero 0
		.amdhsa_exception_fp_ieee_overflow 0
		.amdhsa_exception_fp_ieee_underflow 0
		.amdhsa_exception_fp_ieee_inexact 0
		.amdhsa_exception_int_div_zero 0
	.end_amdhsa_kernel
	.section	.text._ZN9rocsparseL19gebsrmvn_2xn_kernelILj128ELj8ELj64E21rocsparse_complex_numIfEEEvi20rocsparse_direction_NS_24const_host_device_scalarIT2_EEPKiS8_PKS5_SA_S6_PS5_21rocsparse_index_base_b,"axG",@progbits,_ZN9rocsparseL19gebsrmvn_2xn_kernelILj128ELj8ELj64E21rocsparse_complex_numIfEEEvi20rocsparse_direction_NS_24const_host_device_scalarIT2_EEPKiS8_PKS5_SA_S6_PS5_21rocsparse_index_base_b,comdat
.Lfunc_end186:
	.size	_ZN9rocsparseL19gebsrmvn_2xn_kernelILj128ELj8ELj64E21rocsparse_complex_numIfEEEvi20rocsparse_direction_NS_24const_host_device_scalarIT2_EEPKiS8_PKS5_SA_S6_PS5_21rocsparse_index_base_b, .Lfunc_end186-_ZN9rocsparseL19gebsrmvn_2xn_kernelILj128ELj8ELj64E21rocsparse_complex_numIfEEEvi20rocsparse_direction_NS_24const_host_device_scalarIT2_EEPKiS8_PKS5_SA_S6_PS5_21rocsparse_index_base_b
                                        ; -- End function
	.section	.AMDGPU.csdata,"",@progbits
; Kernel info:
; codeLenInByte = 2748
; NumSgprs: 18
; NumVgprs: 64
; ScratchSize: 0
; MemoryBound: 0
; FloatMode: 240
; IeeeMode: 1
; LDSByteSize: 0 bytes/workgroup (compile time only)
; SGPRBlocks: 2
; VGPRBlocks: 7
; NumSGPRsForWavesPerEU: 18
; NumVGPRsForWavesPerEU: 64
; Occupancy: 16
; WaveLimiterHint : 1
; COMPUTE_PGM_RSRC2:SCRATCH_EN: 0
; COMPUTE_PGM_RSRC2:USER_SGPR: 15
; COMPUTE_PGM_RSRC2:TRAP_HANDLER: 0
; COMPUTE_PGM_RSRC2:TGID_X_EN: 1
; COMPUTE_PGM_RSRC2:TGID_Y_EN: 0
; COMPUTE_PGM_RSRC2:TGID_Z_EN: 0
; COMPUTE_PGM_RSRC2:TIDIG_COMP_CNT: 0
	.section	.text._ZN9rocsparseL19gebsrmvn_2xn_kernelILj128ELj9ELj4E21rocsparse_complex_numIfEEEvi20rocsparse_direction_NS_24const_host_device_scalarIT2_EEPKiS8_PKS5_SA_S6_PS5_21rocsparse_index_base_b,"axG",@progbits,_ZN9rocsparseL19gebsrmvn_2xn_kernelILj128ELj9ELj4E21rocsparse_complex_numIfEEEvi20rocsparse_direction_NS_24const_host_device_scalarIT2_EEPKiS8_PKS5_SA_S6_PS5_21rocsparse_index_base_b,comdat
	.globl	_ZN9rocsparseL19gebsrmvn_2xn_kernelILj128ELj9ELj4E21rocsparse_complex_numIfEEEvi20rocsparse_direction_NS_24const_host_device_scalarIT2_EEPKiS8_PKS5_SA_S6_PS5_21rocsparse_index_base_b ; -- Begin function _ZN9rocsparseL19gebsrmvn_2xn_kernelILj128ELj9ELj4E21rocsparse_complex_numIfEEEvi20rocsparse_direction_NS_24const_host_device_scalarIT2_EEPKiS8_PKS5_SA_S6_PS5_21rocsparse_index_base_b
	.p2align	8
	.type	_ZN9rocsparseL19gebsrmvn_2xn_kernelILj128ELj9ELj4E21rocsparse_complex_numIfEEEvi20rocsparse_direction_NS_24const_host_device_scalarIT2_EEPKiS8_PKS5_SA_S6_PS5_21rocsparse_index_base_b,@function
_ZN9rocsparseL19gebsrmvn_2xn_kernelILj128ELj9ELj4E21rocsparse_complex_numIfEEEvi20rocsparse_direction_NS_24const_host_device_scalarIT2_EEPKiS8_PKS5_SA_S6_PS5_21rocsparse_index_base_b: ; @_ZN9rocsparseL19gebsrmvn_2xn_kernelILj128ELj9ELj4E21rocsparse_complex_numIfEEEvi20rocsparse_direction_NS_24const_host_device_scalarIT2_EEPKiS8_PKS5_SA_S6_PS5_21rocsparse_index_base_b
; %bb.0:
	s_clause 0x2
	s_load_b64 s[12:13], s[0:1], 0x40
	s_load_b64 s[4:5], s[0:1], 0x8
	;; [unrolled: 1-line block ×3, first 2 shown]
	s_waitcnt lgkmcnt(0)
	s_bitcmp1_b32 s13, 0
	v_mov_b32_e32 v9, s4
	s_cselect_b32 s6, -1, 0
	s_delay_alu instid0(SALU_CYCLE_1)
	s_and_b32 vcc_lo, exec_lo, s6
	s_xor_b32 s6, s6, -1
	s_cbranch_vccz .LBB187_15
; %bb.1:
	v_cndmask_b32_e64 v1, 0, 1, s6
	v_mov_b32_e32 v10, s5
	s_and_not1_b32 vcc_lo, exec_lo, s6
	s_cbranch_vccz .LBB187_16
.LBB187_2:
	s_delay_alu instid0(VALU_DEP_2)
	v_cmp_ne_u32_e32 vcc_lo, 1, v1
	v_mov_b32_e32 v11, s2
	s_cbranch_vccz .LBB187_17
.LBB187_3:
	v_cmp_ne_u32_e32 vcc_lo, 1, v1
	v_mov_b32_e32 v12, s3
	s_cbranch_vccnz .LBB187_5
.LBB187_4:
	v_dual_mov_b32 v1, s2 :: v_dual_mov_b32 v2, s3
	flat_load_b32 v12, v[1:2] offset:4
.LBB187_5:
	s_waitcnt vmcnt(0) lgkmcnt(0)
	v_cmp_eq_f32_e32 vcc_lo, 0, v9
	v_cmp_eq_f32_e64 s2, 0, v10
	s_delay_alu instid0(VALU_DEP_1)
	s_and_b32 s4, vcc_lo, s2
	s_mov_b32 s2, -1
	s_and_saveexec_b32 s3, s4
; %bb.6:
	v_cmp_neq_f32_e32 vcc_lo, 1.0, v11
	v_cmp_neq_f32_e64 s2, 0, v12
	s_delay_alu instid0(VALU_DEP_1) | instskip(NEXT) | instid1(SALU_CYCLE_1)
	s_or_b32 s2, vcc_lo, s2
	s_or_not1_b32 s2, s2, exec_lo
; %bb.7:
	s_or_b32 exec_lo, exec_lo, s3
	s_and_saveexec_b32 s3, s2
	s_cbranch_execz .LBB187_29
; %bb.8:
	s_load_b64 s[2:3], s[0:1], 0x0
	v_lshrrev_b32_e32 v1, 2, v0
	s_delay_alu instid0(VALU_DEP_1) | instskip(SKIP_1) | instid1(VALU_DEP_1)
	v_lshl_or_b32 v1, s15, 5, v1
	s_waitcnt lgkmcnt(0)
	v_cmp_gt_i32_e32 vcc_lo, s2, v1
	s_and_b32 exec_lo, exec_lo, vcc_lo
	s_cbranch_execz .LBB187_29
; %bb.9:
	s_load_b256 s[4:11], s[0:1], 0x10
	v_ashrrev_i32_e32 v2, 31, v1
	v_and_b32_e32 v0, 3, v0
	s_cmp_lg_u32 s3, 0
	s_delay_alu instid0(VALU_DEP_2) | instskip(SKIP_1) | instid1(VALU_DEP_1)
	v_lshlrev_b64 v[2:3], 2, v[1:2]
	s_waitcnt lgkmcnt(0)
	v_add_co_u32 v2, vcc_lo, s4, v2
	s_delay_alu instid0(VALU_DEP_2) | instskip(SKIP_4) | instid1(VALU_DEP_2)
	v_add_co_ci_u32_e32 v3, vcc_lo, s5, v3, vcc_lo
	global_load_b64 v[2:3], v[2:3], off
	s_waitcnt vmcnt(0)
	v_subrev_nc_u32_e32 v2, s12, v2
	v_subrev_nc_u32_e32 v15, s12, v3
	v_add_nc_u32_e32 v2, v2, v0
	s_delay_alu instid0(VALU_DEP_1)
	v_cmp_lt_i32_e64 s2, v2, v15
	s_cbranch_scc0 .LBB187_18
; %bb.10:
	v_dual_mov_b32 v13, 0 :: v_dual_mov_b32 v16, 0
	v_dual_mov_b32 v17, 0 :: v_dual_mov_b32 v14, 0
	s_mov_b32 s3, 0
	s_and_saveexec_b32 s4, s2
	s_cbranch_execz .LBB187_14
; %bb.11:
	v_mad_u64_u32 v[3:4], null, v2, 18, 16
	v_dual_mov_b32 v6, 0 :: v_dual_mov_b32 v7, v2
	v_dual_mov_b32 v13, 0 :: v_dual_mov_b32 v16, 0
	;; [unrolled: 1-line block ×3, first 2 shown]
	s_mov_b32 s5, 0
.LBB187_12:                             ; =>This Inner Loop Header: Depth=1
	s_delay_alu instid0(VALU_DEP_3) | instskip(NEXT) | instid1(VALU_DEP_1)
	v_ashrrev_i32_e32 v8, 31, v7
	v_lshlrev_b64 v[4:5], 2, v[7:8]
	s_delay_alu instid0(VALU_DEP_1) | instskip(NEXT) | instid1(VALU_DEP_2)
	v_add_co_u32 v4, vcc_lo, s6, v4
	v_add_co_ci_u32_e32 v5, vcc_lo, s7, v5, vcc_lo
	global_load_b32 v8, v[4:5], off
	v_dual_mov_b32 v4, v6 :: v_dual_add_nc_u32 v5, -16, v3
	s_delay_alu instid0(VALU_DEP_1) | instskip(SKIP_1) | instid1(VALU_DEP_3)
	v_lshlrev_b64 v[18:19], 3, v[5:6]
	v_add_nc_u32_e32 v5, -14, v3
	v_lshlrev_b64 v[20:21], 3, v[3:4]
	s_delay_alu instid0(VALU_DEP_2) | instskip(NEXT) | instid1(VALU_DEP_4)
	v_lshlrev_b64 v[4:5], 3, v[5:6]
	v_add_co_u32 v18, vcc_lo, s8, v18
	v_add_co_ci_u32_e32 v19, vcc_lo, s9, v19, vcc_lo
	s_delay_alu instid0(VALU_DEP_4)
	v_add_co_u32 v50, vcc_lo, s8, v20
	v_add_co_ci_u32_e32 v51, vcc_lo, s9, v21, vcc_lo
	v_add_co_u32 v4, vcc_lo, s8, v4
	v_add_co_ci_u32_e32 v5, vcc_lo, s9, v5, vcc_lo
	s_clause 0x1
	global_load_b128 v[18:21], v[18:19], off
	global_load_b128 v[22:25], v[4:5], off
	v_mov_b32_e32 v47, v6
	s_waitcnt vmcnt(2)
	v_subrev_nc_u32_e32 v4, s12, v8
	s_delay_alu instid0(VALU_DEP_1) | instskip(NEXT) | instid1(VALU_DEP_1)
	v_lshl_add_u32 v46, v4, 3, v4
	v_lshlrev_b64 v[26:27], 3, v[46:47]
	s_delay_alu instid0(VALU_DEP_1) | instskip(NEXT) | instid1(VALU_DEP_2)
	v_add_co_u32 v26, vcc_lo, s10, v26
	v_add_co_ci_u32_e32 v27, vcc_lo, s11, v27, vcc_lo
	global_load_b64 v[54:55], v[26:27], off
	v_add_nc_u32_e32 v5, 1, v46
	s_delay_alu instid0(VALU_DEP_1) | instskip(NEXT) | instid1(VALU_DEP_1)
	v_lshlrev_b64 v[28:29], 3, v[5:6]
	v_add_co_u32 v28, vcc_lo, s10, v28
	s_delay_alu instid0(VALU_DEP_2)
	v_add_co_ci_u32_e32 v29, vcc_lo, s11, v29, vcc_lo
	global_load_b64 v[56:57], v[28:29], off
	s_waitcnt vmcnt(1)
	v_fmac_f32_e32 v16, v18, v54
	v_fmac_f32_e32 v17, v20, v54
	;; [unrolled: 1-line block ×3, first 2 shown]
	s_delay_alu instid0(VALU_DEP_3) | instskip(SKIP_1) | instid1(VALU_DEP_4)
	v_fma_f32 v8, -v19, v55, v16
	v_add_nc_u32_e32 v5, -12, v3
	v_fma_f32 v16, -v21, v55, v17
	s_delay_alu instid0(VALU_DEP_4)
	v_fmac_f32_e32 v14, v20, v55
	s_waitcnt vmcnt(0)
	v_fmac_f32_e32 v8, v22, v56
	v_lshlrev_b64 v[30:31], 3, v[5:6]
	v_dual_fmac_f32 v16, v24, v56 :: v_dual_add_nc_u32 v5, 2, v46
	v_fmac_f32_e32 v14, v25, v56
	s_delay_alu instid0(VALU_DEP_4) | instskip(NEXT) | instid1(VALU_DEP_3)
	v_fma_f32 v8, -v23, v57, v8
	v_lshlrev_b64 v[26:27], 3, v[5:6]
	v_add_co_u32 v28, vcc_lo, s8, v30
	v_add_nc_u32_e32 v5, -10, v3
	v_add_co_ci_u32_e32 v29, vcc_lo, s9, v31, vcc_lo
	s_delay_alu instid0(VALU_DEP_4) | instskip(SKIP_1) | instid1(VALU_DEP_4)
	v_add_co_u32 v32, vcc_lo, s10, v26
	v_add_co_ci_u32_e32 v33, vcc_lo, s11, v27, vcc_lo
	v_lshlrev_b64 v[30:31], 3, v[5:6]
	v_dual_fmac_f32 v14, v24, v57 :: v_dual_add_nc_u32 v5, 3, v46
	global_load_b128 v[26:29], v[28:29], off
	global_load_b64 v[58:59], v[32:33], off
	v_fma_f32 v16, -v25, v57, v16
	v_lshlrev_b64 v[34:35], 3, v[5:6]
	v_add_co_u32 v30, vcc_lo, s8, v30
	v_add_co_ci_u32_e32 v31, vcc_lo, s9, v31, vcc_lo
	s_delay_alu instid0(VALU_DEP_3) | instskip(NEXT) | instid1(VALU_DEP_4)
	v_add_co_u32 v34, vcc_lo, s10, v34
	v_add_co_ci_u32_e32 v35, vcc_lo, s11, v35, vcc_lo
	global_load_b64 v[60:61], v[34:35], off
	global_load_b128 v[30:33], v[30:31], off
	s_waitcnt vmcnt(2)
	v_dual_fmac_f32 v8, v26, v58 :: v_dual_add_nc_u32 v5, -8, v3
	s_delay_alu instid0(VALU_DEP_1) | instskip(SKIP_4) | instid1(VALU_DEP_4)
	v_lshlrev_b64 v[36:37], 3, v[5:6]
	v_fmac_f32_e32 v14, v29, v58
	v_add_nc_u32_e32 v5, 4, v46
	v_fmac_f32_e32 v16, v28, v58
	v_fma_f32 v8, -v27, v59, v8
	v_fmac_f32_e32 v14, v28, v59
	s_delay_alu instid0(VALU_DEP_4) | instskip(SKIP_3) | instid1(VALU_DEP_3)
	v_lshlrev_b64 v[38:39], 3, v[5:6]
	v_add_nc_u32_e32 v5, -6, v3
	v_add_co_u32 v34, vcc_lo, s8, v36
	v_add_co_ci_u32_e32 v35, vcc_lo, s9, v37, vcc_lo
	v_lshlrev_b64 v[40:41], 3, v[5:6]
	s_waitcnt vmcnt(0)
	v_dual_fmac_f32 v8, v30, v60 :: v_dual_add_nc_u32 v5, 5, v46
	v_add_co_u32 v38, vcc_lo, s10, v38
	v_add_co_ci_u32_e32 v39, vcc_lo, s11, v39, vcc_lo
	s_delay_alu instid0(VALU_DEP_3)
	v_lshlrev_b64 v[42:43], 3, v[5:6]
	global_load_b128 v[34:37], v[34:35], off
	v_fma_f32 v16, -v29, v59, v16
	global_load_b64 v[62:63], v[38:39], off
	v_add_co_u32 v38, vcc_lo, s8, v40
	v_add_co_ci_u32_e32 v39, vcc_lo, s9, v41, vcc_lo
	v_add_co_u32 v42, vcc_lo, s10, v42
	v_add_co_ci_u32_e32 v43, vcc_lo, s11, v43, vcc_lo
	global_load_b128 v[38:41], v[38:39], off
	v_dual_fmac_f32 v16, v32, v60 :: v_dual_add_nc_u32 v5, -4, v3
	global_load_b64 v[64:65], v[42:43], off
	v_fmac_f32_e32 v14, v33, v60
	v_fma_f32 v8, -v31, v61, v8
	v_lshlrev_b64 v[44:45], 3, v[5:6]
	v_add_nc_u32_e32 v5, 6, v46
	v_fma_f32 v16, -v33, v61, v16
	v_fmac_f32_e32 v14, v32, v61
	s_delay_alu instid0(VALU_DEP_3) | instskip(SKIP_3) | instid1(VALU_DEP_4)
	v_lshlrev_b64 v[47:48], 3, v[5:6]
	v_add_co_u32 v42, vcc_lo, s8, v44
	v_add_co_ci_u32_e32 v43, vcc_lo, s9, v45, vcc_lo
	v_add_nc_u32_e32 v5, -2, v3
	v_add_co_u32 v47, vcc_lo, s10, v47
	v_add_co_ci_u32_e32 v48, vcc_lo, s11, v48, vcc_lo
	global_load_b128 v[42:45], v[42:43], off
	v_lshlrev_b64 v[52:53], 3, v[5:6]
	v_add_nc_u32_e32 v3, 0x48, v3
	global_load_b64 v[68:69], v[47:48], off
	s_waitcnt vmcnt(4)
	v_fmac_f32_e32 v16, v36, v62
	v_fmac_f32_e32 v14, v37, v62
	v_add_nc_u32_e32 v5, 7, v46
	v_fmac_f32_e32 v8, v34, v62
	s_delay_alu instid0(VALU_DEP_4) | instskip(NEXT) | instid1(VALU_DEP_4)
	v_fma_f32 v16, -v37, v63, v16
	v_dual_fmac_f32 v14, v36, v63 :: v_dual_fmac_f32 v13, v19, v54
	s_delay_alu instid0(VALU_DEP_4) | instskip(NEXT) | instid1(VALU_DEP_4)
	v_lshlrev_b64 v[66:67], 3, v[5:6]
	v_fma_f32 v8, -v35, v63, v8
	v_add_nc_u32_e32 v5, 8, v46
	v_add_co_u32 v46, vcc_lo, s8, v52
	s_waitcnt vmcnt(2)
	v_fmac_f32_e32 v16, v40, v64
	v_fmac_f32_e32 v8, v38, v64
	;; [unrolled: 1-line block ×3, first 2 shown]
	v_add_co_ci_u32_e32 v47, vcc_lo, s9, v53, vcc_lo
	v_add_co_u32 v52, vcc_lo, s10, v66
	s_delay_alu instid0(VALU_DEP_3)
	v_fmac_f32_e32 v13, v23, v56
	v_add_co_ci_u32_e32 v53, vcc_lo, s11, v67, vcc_lo
	global_load_b128 v[46:49], v[46:47], off
	global_load_b64 v[66:67], v[52:53], off
	v_lshlrev_b64 v[4:5], 3, v[5:6]
	v_fma_f32 v16, -v41, v65, v16
	v_dual_fmac_f32 v13, v22, v57 :: v_dual_fmac_f32 v14, v41, v64
	v_fma_f32 v8, -v39, v65, v8
	s_delay_alu instid0(VALU_DEP_4)
	v_add_co_u32 v4, vcc_lo, s10, v4
	s_waitcnt vmcnt(2)
	v_fmac_f32_e32 v16, v44, v68
	v_add_co_ci_u32_e32 v5, vcc_lo, s11, v5, vcc_lo
	global_load_b128 v[50:53], v[50:51], off
	global_load_b64 v[4:5], v[4:5], off
	v_dual_fmac_f32 v13, v27, v58 :: v_dual_fmac_f32 v14, v40, v65
	v_fma_f32 v16, -v45, v69, v16
	v_fmac_f32_e32 v8, v42, v68
	s_delay_alu instid0(VALU_DEP_3) | instskip(NEXT) | instid1(VALU_DEP_2)
	v_dual_fmac_f32 v13, v26, v59 :: v_dual_fmac_f32 v14, v45, v68
	v_fma_f32 v8, -v43, v69, v8
	s_delay_alu instid0(VALU_DEP_2) | instskip(SKIP_1) | instid1(VALU_DEP_1)
	v_dual_fmac_f32 v13, v31, v60 :: v_dual_fmac_f32 v14, v44, v69
	s_waitcnt vmcnt(2)
	v_dual_fmac_f32 v13, v30, v61 :: v_dual_fmac_f32 v16, v48, v66
	s_delay_alu instid0(VALU_DEP_1) | instskip(SKIP_2) | instid1(VALU_DEP_4)
	v_fmac_f32_e32 v13, v35, v62
	v_fmac_f32_e32 v8, v46, v66
	;; [unrolled: 1-line block ×3, first 2 shown]
	v_fma_f32 v17, -v49, v67, v16
	s_delay_alu instid0(VALU_DEP_4) | instskip(NEXT) | instid1(VALU_DEP_4)
	v_fmac_f32_e32 v13, v34, v63
	v_fma_f32 v8, -v47, v67, v8
	s_delay_alu instid0(VALU_DEP_4) | instskip(SKIP_1) | instid1(VALU_DEP_4)
	v_fmac_f32_e32 v14, v48, v67
	v_add_nc_u32_e32 v7, 4, v7
	v_fmac_f32_e32 v13, v39, v64
	s_waitcnt vmcnt(0)
	v_fmac_f32_e32 v17, v52, v4
	s_delay_alu instid0(VALU_DEP_2) | instskip(SKIP_2) | instid1(VALU_DEP_4)
	v_dual_fmac_f32 v14, v53, v4 :: v_dual_fmac_f32 v13, v38, v65
	v_cmp_ge_i32_e32 vcc_lo, v7, v15
	v_fmac_f32_e32 v8, v50, v4
	v_fma_f32 v17, -v53, v5, v17
	s_delay_alu instid0(VALU_DEP_4) | instskip(SKIP_1) | instid1(VALU_DEP_3)
	v_dual_fmac_f32 v14, v52, v5 :: v_dual_fmac_f32 v13, v43, v68
	s_or_b32 s5, vcc_lo, s5
	v_fma_f32 v16, -v51, v5, v8
	s_delay_alu instid0(VALU_DEP_2) | instskip(NEXT) | instid1(VALU_DEP_1)
	v_fmac_f32_e32 v13, v42, v69
	v_fmac_f32_e32 v13, v47, v66
	s_delay_alu instid0(VALU_DEP_1) | instskip(NEXT) | instid1(VALU_DEP_1)
	v_fmac_f32_e32 v13, v46, v67
	v_fmac_f32_e32 v13, v51, v4
	s_delay_alu instid0(VALU_DEP_1)
	v_fmac_f32_e32 v13, v50, v5
	s_and_not1_b32 exec_lo, exec_lo, s5
	s_cbranch_execnz .LBB187_12
; %bb.13:
	s_or_b32 exec_lo, exec_lo, s5
.LBB187_14:
	s_delay_alu instid0(SALU_CYCLE_1) | instskip(NEXT) | instid1(SALU_CYCLE_1)
	s_or_b32 exec_lo, exec_lo, s4
	s_and_not1_b32 vcc_lo, exec_lo, s3
	s_cbranch_vccz .LBB187_19
	s_branch .LBB187_24
.LBB187_15:
	v_dual_mov_b32 v1, s4 :: v_dual_mov_b32 v2, s5
	flat_load_b32 v9, v[1:2]
	v_cndmask_b32_e64 v1, 0, 1, s6
	v_mov_b32_e32 v10, s5
	s_and_not1_b32 vcc_lo, exec_lo, s6
	s_cbranch_vccnz .LBB187_2
.LBB187_16:
	v_dual_mov_b32 v2, s4 :: v_dual_mov_b32 v3, s5
	flat_load_b32 v10, v[2:3] offset:4
	v_cmp_ne_u32_e32 vcc_lo, 1, v1
	v_mov_b32_e32 v11, s2
	s_cbranch_vccnz .LBB187_3
.LBB187_17:
	v_dual_mov_b32 v2, s2 :: v_dual_mov_b32 v3, s3
	flat_load_b32 v11, v[2:3]
	v_cmp_ne_u32_e32 vcc_lo, 1, v1
	v_mov_b32_e32 v12, s3
	s_cbranch_vccz .LBB187_4
	s_branch .LBB187_5
.LBB187_18:
                                        ; implicit-def: $vgpr13
                                        ; implicit-def: $vgpr16
                                        ; implicit-def: $vgpr17
                                        ; implicit-def: $vgpr14
.LBB187_19:
	v_dual_mov_b32 v13, 0 :: v_dual_mov_b32 v16, 0
	v_dual_mov_b32 v17, 0 :: v_dual_mov_b32 v14, 0
	s_delay_alu instid0(VALU_DEP_3)
	s_and_saveexec_b32 s3, s2
	s_cbranch_execz .LBB187_23
; %bb.20:
	v_mad_u64_u32 v[4:5], null, v2, 18, 17
	v_dual_mov_b32 v7, 0 :: v_dual_mov_b32 v16, 0
	v_dual_mov_b32 v13, 0 :: v_dual_mov_b32 v14, 0
	v_mov_b32_e32 v17, 0
	s_mov_b32 s2, 0
.LBB187_21:                             ; =>This Inner Loop Header: Depth=1
	v_ashrrev_i32_e32 v3, 31, v2
	v_dual_mov_b32 v23, v7 :: v_dual_add_nc_u32 v18, -8, v4
	s_delay_alu instid0(VALU_DEP_2) | instskip(SKIP_1) | instid1(VALU_DEP_2)
	v_lshlrev_b64 v[5:6], 2, v[2:3]
	v_add_nc_u32_e32 v2, 4, v2
	v_add_co_u32 v5, vcc_lo, s6, v5
	s_delay_alu instid0(VALU_DEP_3) | instskip(SKIP_3) | instid1(VALU_DEP_2)
	v_add_co_ci_u32_e32 v6, vcc_lo, s7, v6, vcc_lo
	global_load_b32 v3, v[5:6], off
	v_subrev_nc_u32_e32 v6, 17, v4
	v_mov_b32_e32 v5, v7
	v_lshlrev_b64 v[20:21], 3, v[6:7]
	s_delay_alu instid0(VALU_DEP_2) | instskip(NEXT) | instid1(VALU_DEP_2)
	v_lshlrev_b64 v[5:6], 3, v[4:5]
	v_add_co_u32 v20, vcc_lo, s8, v20
	s_delay_alu instid0(VALU_DEP_3) | instskip(SKIP_2) | instid1(VALU_DEP_1)
	v_add_co_ci_u32_e32 v21, vcc_lo, s9, v21, vcc_lo
	s_waitcnt vmcnt(0)
	v_subrev_nc_u32_e32 v3, s12, v3
	v_lshl_add_u32 v22, v3, 3, v3
	v_mov_b32_e32 v19, v7
	s_delay_alu instid0(VALU_DEP_2) | instskip(NEXT) | instid1(VALU_DEP_2)
	v_lshlrev_b64 v[28:29], 3, v[22:23]
	v_lshlrev_b64 v[18:19], 3, v[18:19]
	s_delay_alu instid0(VALU_DEP_1) | instskip(NEXT) | instid1(VALU_DEP_2)
	v_add_co_u32 v24, vcc_lo, s8, v18
	v_add_co_ci_u32_e32 v25, vcc_lo, s9, v19, vcc_lo
	v_add_co_u32 v5, vcc_lo, s8, v5
	v_add_co_ci_u32_e32 v6, vcc_lo, s9, v6, vcc_lo
	;; [unrolled: 2-line block ×3, first 2 shown]
	s_clause 0x2
	global_load_b128 v[18:21], v[20:21], off
	global_load_b64 v[24:25], v[24:25], off
	global_load_b64 v[26:27], v[5:6], off
	v_add_nc_u32_e32 v6, 1, v22
	global_load_b64 v[28:29], v[28:29], off
	v_lshlrev_b64 v[30:31], 3, v[6:7]
	v_add_nc_u32_e32 v6, -7, v4
	s_delay_alu instid0(VALU_DEP_2) | instskip(NEXT) | instid1(VALU_DEP_3)
	v_add_co_u32 v30, vcc_lo, s10, v30
	v_add_co_ci_u32_e32 v31, vcc_lo, s11, v31, vcc_lo
	s_delay_alu instid0(VALU_DEP_3)
	v_lshlrev_b64 v[32:33], 3, v[6:7]
	global_load_b64 v[30:31], v[30:31], off
	v_add_co_u32 v32, vcc_lo, s8, v32
	v_add_co_ci_u32_e32 v33, vcc_lo, s9, v33, vcc_lo
	global_load_b64 v[32:33], v[32:33], off
	s_waitcnt vmcnt(2)
	v_fmac_f32_e32 v14, v25, v28
	v_fmac_f32_e32 v13, v19, v28
	;; [unrolled: 1-line block ×4, first 2 shown]
	s_delay_alu instid0(VALU_DEP_4) | instskip(NEXT) | instid1(VALU_DEP_4)
	v_fmac_f32_e32 v14, v24, v29
	v_dual_fmac_f32 v13, v18, v29 :: v_dual_add_nc_u32 v6, -15, v4
	s_delay_alu instid0(VALU_DEP_4) | instskip(NEXT) | instid1(VALU_DEP_4)
	v_fma_f32 v3, -v19, v29, v16
	v_fma_f32 v8, -v25, v29, v17
	s_delay_alu instid0(VALU_DEP_3) | instskip(SKIP_3) | instid1(VALU_DEP_2)
	v_lshlrev_b64 v[34:35], 3, v[6:7]
	v_add_nc_u32_e32 v6, 2, v22
	s_waitcnt vmcnt(1)
	v_fmac_f32_e32 v3, v20, v30
	v_lshlrev_b64 v[36:37], 3, v[6:7]
	v_add_nc_u32_e32 v6, -6, v4
	v_add_co_u32 v34, vcc_lo, s8, v34
	v_add_co_ci_u32_e32 v35, vcc_lo, s9, v35, vcc_lo
	s_delay_alu instid0(VALU_DEP_3) | instskip(SKIP_3) | instid1(VALU_DEP_3)
	v_lshlrev_b64 v[38:39], 3, v[6:7]
	v_dual_fmac_f32 v13, v21, v30 :: v_dual_add_nc_u32 v6, -14, v4
	v_add_co_u32 v36, vcc_lo, s10, v36
	v_add_co_ci_u32_e32 v37, vcc_lo, s11, v37, vcc_lo
	v_lshlrev_b64 v[40:41], 3, v[6:7]
	s_delay_alu instid0(VALU_DEP_4) | instskip(SKIP_2) | instid1(VALU_DEP_3)
	v_dual_fmac_f32 v13, v20, v31 :: v_dual_add_nc_u32 v6, 3, v22
	v_add_co_u32 v38, vcc_lo, s8, v38
	v_add_co_ci_u32_e32 v39, vcc_lo, s9, v39, vcc_lo
	v_lshlrev_b64 v[42:43], 3, v[6:7]
	global_load_b64 v[34:35], v[34:35], off
	global_load_b64 v[36:37], v[36:37], off
	v_add_co_u32 v40, vcc_lo, s8, v40
	v_add_co_ci_u32_e32 v41, vcc_lo, s9, v41, vcc_lo
	v_add_co_u32 v42, vcc_lo, s10, v42
	v_add_co_ci_u32_e32 v43, vcc_lo, s11, v43, vcc_lo
	s_clause 0x1
	global_load_b64 v[38:39], v[38:39], off
	global_load_b64 v[40:41], v[40:41], off
	v_fma_f32 v3, -v21, v31, v3
	global_load_b64 v[42:43], v[42:43], off
	s_waitcnt vmcnt(5)
	v_fmac_f32_e32 v8, v32, v30
	s_waitcnt vmcnt(3)
	v_dual_fmac_f32 v14, v33, v30 :: v_dual_fmac_f32 v13, v35, v36
	v_add_nc_u32_e32 v6, -5, v4
	v_fmac_f32_e32 v3, v34, v36
	v_fma_f32 v8, -v33, v31, v8
	s_delay_alu instid0(VALU_DEP_4) | instskip(NEXT) | instid1(VALU_DEP_4)
	v_fmac_f32_e32 v13, v34, v37
	v_lshlrev_b64 v[44:45], 3, v[6:7]
	s_delay_alu instid0(VALU_DEP_4) | instskip(SKIP_2) | instid1(VALU_DEP_2)
	v_fma_f32 v3, -v35, v37, v3
	v_add_nc_u32_e32 v6, -13, v4
	s_waitcnt vmcnt(0)
	v_dual_fmac_f32 v8, v38, v36 :: v_dual_fmac_f32 v3, v40, v42
	s_delay_alu instid0(VALU_DEP_2) | instskip(SKIP_4) | instid1(VALU_DEP_4)
	v_lshlrev_b64 v[46:47], 3, v[6:7]
	v_fmac_f32_e32 v13, v41, v42
	v_add_nc_u32_e32 v6, 4, v22
	v_add_co_u32 v44, vcc_lo, s8, v44
	v_add_co_ci_u32_e32 v45, vcc_lo, s9, v45, vcc_lo
	v_fmac_f32_e32 v13, v40, v43
	s_delay_alu instid0(VALU_DEP_4)
	v_lshlrev_b64 v[48:49], 3, v[6:7]
	v_add_co_u32 v46, vcc_lo, s8, v46
	v_add_co_ci_u32_e32 v47, vcc_lo, s9, v47, vcc_lo
	global_load_b64 v[44:45], v[44:45], off
	v_add_co_u32 v48, vcc_lo, s10, v48
	global_load_b64 v[46:47], v[46:47], off
	v_add_co_ci_u32_e32 v49, vcc_lo, s11, v49, vcc_lo
	v_fma_f32 v3, -v41, v43, v3
	v_fma_f32 v8, -v39, v37, v8
	global_load_b64 v[48:49], v[48:49], off
	s_waitcnt vmcnt(0)
	v_dual_fmac_f32 v14, v32, v31 :: v_dual_fmac_f32 v3, v46, v48
	s_delay_alu instid0(VALU_DEP_1) | instskip(SKIP_2) | instid1(VALU_DEP_4)
	v_fmac_f32_e32 v14, v39, v36
	v_fmac_f32_e32 v13, v47, v48
	v_add_nc_u32_e32 v6, -4, v4
	v_fma_f32 v3, -v47, v49, v3
	s_delay_alu instid0(VALU_DEP_4) | instskip(NEXT) | instid1(VALU_DEP_4)
	v_fmac_f32_e32 v14, v38, v37
	v_fmac_f32_e32 v13, v46, v49
	s_delay_alu instid0(VALU_DEP_4) | instskip(SKIP_1) | instid1(VALU_DEP_4)
	v_lshlrev_b64 v[50:51], 3, v[6:7]
	v_add_nc_u32_e32 v6, -12, v4
	v_fmac_f32_e32 v14, v45, v42
	s_delay_alu instid0(VALU_DEP_2) | instskip(NEXT) | instid1(VALU_DEP_4)
	v_lshlrev_b64 v[52:53], 3, v[6:7]
	v_add_co_u32 v50, vcc_lo, s8, v50
	v_add_co_ci_u32_e32 v51, vcc_lo, s9, v51, vcc_lo
	s_delay_alu instid0(VALU_DEP_4) | instskip(NEXT) | instid1(VALU_DEP_4)
	v_fmac_f32_e32 v14, v44, v43
	v_add_co_u32 v52, vcc_lo, s8, v52
	v_add_co_ci_u32_e32 v53, vcc_lo, s9, v53, vcc_lo
	s_clause 0x1
	global_load_b64 v[50:51], v[50:51], off
	global_load_b64 v[52:53], v[52:53], off
	v_add_nc_u32_e32 v6, 5, v22
	s_delay_alu instid0(VALU_DEP_1) | instskip(NEXT) | instid1(VALU_DEP_1)
	v_lshlrev_b64 v[54:55], 3, v[6:7]
	v_add_co_u32 v54, vcc_lo, s10, v54
	s_delay_alu instid0(VALU_DEP_2)
	v_add_co_ci_u32_e32 v55, vcc_lo, s11, v55, vcc_lo
	global_load_b64 v[54:55], v[54:55], off
	v_add_nc_u32_e32 v6, -3, v4
	s_waitcnt vmcnt(2)
	v_fmac_f32_e32 v14, v51, v48
	s_waitcnt vmcnt(0)
	s_delay_alu instid0(VALU_DEP_1) | instskip(SKIP_2) | instid1(VALU_DEP_3)
	v_dual_fmac_f32 v14, v50, v49 :: v_dual_fmac_f32 v13, v53, v54
	v_lshlrev_b64 v[56:57], 3, v[6:7]
	v_dual_fmac_f32 v3, v52, v54 :: v_dual_add_nc_u32 v6, -11, v4
	v_fmac_f32_e32 v13, v52, v55
	s_delay_alu instid0(VALU_DEP_2) | instskip(NEXT) | instid1(VALU_DEP_4)
	v_lshlrev_b64 v[58:59], 3, v[6:7]
	v_add_co_u32 v56, vcc_lo, s8, v56
	v_add_co_ci_u32_e32 v57, vcc_lo, s9, v57, vcc_lo
	v_fma_f32 v3, -v53, v55, v3
	s_delay_alu instid0(VALU_DEP_4)
	v_add_co_u32 v58, vcc_lo, s8, v58
	v_add_co_ci_u32_e32 v59, vcc_lo, s9, v59, vcc_lo
	s_clause 0x1
	global_load_b64 v[56:57], v[56:57], off
	global_load_b64 v[58:59], v[58:59], off
	v_add_nc_u32_e32 v6, 6, v22
	s_delay_alu instid0(VALU_DEP_1) | instskip(NEXT) | instid1(VALU_DEP_1)
	v_lshlrev_b64 v[60:61], 3, v[6:7]
	v_add_co_u32 v60, vcc_lo, s10, v60
	s_delay_alu instid0(VALU_DEP_2)
	v_add_co_ci_u32_e32 v61, vcc_lo, s11, v61, vcc_lo
	global_load_b64 v[60:61], v[60:61], off
	v_fmac_f32_e32 v8, v44, v42
	s_waitcnt vmcnt(2)
	v_fmac_f32_e32 v14, v57, v54
	s_waitcnt vmcnt(0)
	s_delay_alu instid0(VALU_DEP_1) | instskip(SKIP_2) | instid1(VALU_DEP_3)
	v_dual_fmac_f32 v14, v56, v55 :: v_dual_fmac_f32 v13, v59, v60
	v_fmac_f32_e32 v3, v58, v60
	v_fma_f32 v8, -v45, v43, v8
	v_fmac_f32_e32 v13, v58, v61
	s_delay_alu instid0(VALU_DEP_3) | instskip(SKIP_1) | instid1(VALU_DEP_4)
	v_fma_f32 v3, -v59, v61, v3
	v_add_nc_u32_e32 v6, -2, v4
	v_fmac_f32_e32 v8, v50, v48
	s_delay_alu instid0(VALU_DEP_2) | instskip(SKIP_1) | instid1(VALU_DEP_3)
	v_lshlrev_b64 v[62:63], 3, v[6:7]
	v_add_nc_u32_e32 v6, -10, v4
	v_fma_f32 v8, -v51, v49, v8
	s_delay_alu instid0(VALU_DEP_2) | instskip(NEXT) | instid1(VALU_DEP_4)
	v_lshlrev_b64 v[64:65], 3, v[6:7]
	v_add_co_u32 v62, vcc_lo, s8, v62
	v_add_co_ci_u32_e32 v63, vcc_lo, s9, v63, vcc_lo
	s_delay_alu instid0(VALU_DEP_4) | instskip(NEXT) | instid1(VALU_DEP_4)
	v_fmac_f32_e32 v8, v56, v54
	v_add_co_u32 v64, vcc_lo, s8, v64
	v_add_co_ci_u32_e32 v65, vcc_lo, s9, v65, vcc_lo
	global_load_b64 v[62:63], v[62:63], off
	v_fma_f32 v8, -v57, v55, v8
	global_load_b64 v[64:65], v[64:65], off
	v_add_nc_u32_e32 v6, 7, v22
	s_delay_alu instid0(VALU_DEP_1) | instskip(NEXT) | instid1(VALU_DEP_1)
	v_lshlrev_b64 v[66:67], 3, v[6:7]
	v_add_co_u32 v66, vcc_lo, s10, v66
	s_delay_alu instid0(VALU_DEP_2) | instskip(SKIP_4) | instid1(VALU_DEP_2)
	v_add_co_ci_u32_e32 v67, vcc_lo, s11, v67, vcc_lo
	global_load_b64 v[66:67], v[66:67], off
	s_waitcnt vmcnt(2)
	v_fmac_f32_e32 v8, v62, v60
	v_fmac_f32_e32 v14, v63, v60
	v_fma_f32 v8, -v63, v61, v8
	s_waitcnt vmcnt(0)
	s_delay_alu instid0(VALU_DEP_2) | instskip(SKIP_1) | instid1(VALU_DEP_2)
	v_dual_fmac_f32 v14, v62, v61 :: v_dual_fmac_f32 v3, v64, v66
	v_fmac_f32_e32 v13, v65, v66
	v_fma_f32 v3, -v65, v67, v3
	s_delay_alu instid0(VALU_DEP_2) | instskip(NEXT) | instid1(VALU_DEP_1)
	v_dual_fmac_f32 v13, v64, v67 :: v_dual_add_nc_u32 v6, -1, v4
	v_lshlrev_b64 v[68:69], 3, v[6:7]
	v_add_nc_u32_e32 v6, -9, v4
	v_add_nc_u32_e32 v4, 0x48, v4
	s_delay_alu instid0(VALU_DEP_2) | instskip(SKIP_3) | instid1(VALU_DEP_3)
	v_lshlrev_b64 v[70:71], 3, v[6:7]
	v_add_nc_u32_e32 v6, 8, v22
	v_add_co_u32 v22, vcc_lo, s8, v68
	v_add_co_ci_u32_e32 v23, vcc_lo, s9, v69, vcc_lo
	v_lshlrev_b64 v[5:6], 3, v[6:7]
	v_add_co_u32 v68, vcc_lo, s8, v70
	global_load_b64 v[22:23], v[22:23], off
	v_add_co_ci_u32_e32 v69, vcc_lo, s9, v71, vcc_lo
	v_add_co_u32 v5, vcc_lo, s10, v5
	v_add_co_ci_u32_e32 v6, vcc_lo, s11, v6, vcc_lo
	global_load_b64 v[68:69], v[68:69], off
	global_load_b64 v[5:6], v[5:6], off
	v_cmp_ge_i32_e32 vcc_lo, v2, v15
	s_or_b32 s2, vcc_lo, s2
	s_waitcnt vmcnt(2)
	v_fmac_f32_e32 v8, v22, v66
	v_fmac_f32_e32 v14, v23, v66
	s_delay_alu instid0(VALU_DEP_2) | instskip(SKIP_1) | instid1(VALU_DEP_2)
	v_fma_f32 v8, -v23, v67, v8
	s_waitcnt vmcnt(0)
	v_dual_fmac_f32 v14, v22, v67 :: v_dual_fmac_f32 v13, v69, v5
	v_fmac_f32_e32 v3, v68, v5
	s_delay_alu instid0(VALU_DEP_3) | instskip(NEXT) | instid1(VALU_DEP_3)
	v_fmac_f32_e32 v8, v26, v5
	v_dual_fmac_f32 v14, v27, v5 :: v_dual_fmac_f32 v13, v68, v6
	s_delay_alu instid0(VALU_DEP_3) | instskip(NEXT) | instid1(VALU_DEP_3)
	v_fma_f32 v16, -v69, v6, v3
	v_fma_f32 v17, -v27, v6, v8
	s_delay_alu instid0(VALU_DEP_3)
	v_fmac_f32_e32 v14, v26, v6
	s_and_not1_b32 exec_lo, exec_lo, s2
	s_cbranch_execnz .LBB187_21
; %bb.22:
	s_or_b32 exec_lo, exec_lo, s2
.LBB187_23:
	s_delay_alu instid0(SALU_CYCLE_1)
	s_or_b32 exec_lo, exec_lo, s3
.LBB187_24:
	v_mbcnt_lo_u32_b32 v2, -1, 0
	s_delay_alu instid0(VALU_DEP_1) | instskip(SKIP_1) | instid1(VALU_DEP_2)
	v_xor_b32_e32 v3, 2, v2
	v_xor_b32_e32 v7, 1, v2
	v_cmp_gt_i32_e32 vcc_lo, 32, v3
	v_cndmask_b32_e32 v3, v2, v3, vcc_lo
	s_delay_alu instid0(VALU_DEP_3) | instskip(NEXT) | instid1(VALU_DEP_2)
	v_cmp_gt_i32_e32 vcc_lo, 32, v7
	v_lshlrev_b32_e32 v3, 2, v3
	v_cndmask_b32_e32 v2, v2, v7, vcc_lo
	v_cmp_eq_u32_e32 vcc_lo, 3, v0
	ds_bpermute_b32 v6, v3, v17
	v_lshlrev_b32_e32 v7, 2, v2
	s_waitcnt lgkmcnt(0)
	v_add_f32_e32 v2, v17, v6
	ds_bpermute_b32 v4, v3, v16
	ds_bpermute_b32 v5, v3, v13
	ds_bpermute_b32 v3, v3, v14
	ds_bpermute_b32 v6, v7, v2
	s_waitcnt lgkmcnt(2)
	v_dual_add_f32 v4, v16, v4 :: v_dual_add_f32 v5, v13, v5
	s_waitcnt lgkmcnt(1)
	v_add_f32_e32 v3, v14, v3
	ds_bpermute_b32 v8, v7, v4
	ds_bpermute_b32 v13, v7, v5
	;; [unrolled: 1-line block ×3, first 2 shown]
	s_and_b32 exec_lo, exec_lo, vcc_lo
	s_cbranch_execz .LBB187_29
; %bb.25:
	s_load_b64 s[2:3], s[0:1], 0x38
	v_cmp_eq_f32_e32 vcc_lo, 0, v11
	v_cmp_eq_f32_e64 s0, 0, v12
	s_waitcnt lgkmcnt(0)
	v_dual_add_f32 v0, v4, v8 :: v_dual_add_f32 v3, v3, v7
	v_add_f32_e32 v4, v5, v13
	v_add_f32_e32 v2, v2, v6
	s_and_b32 s0, vcc_lo, s0
	s_delay_alu instid0(SALU_CYCLE_1) | instskip(NEXT) | instid1(SALU_CYCLE_1)
	s_and_saveexec_b32 s1, s0
	s_xor_b32 s0, exec_lo, s1
	s_cbranch_execz .LBB187_27
; %bb.26:
	v_mul_f32_e64 v5, v4, -v10
	v_mul_f32_e32 v6, v4, v9
	v_mul_f32_e64 v7, v3, -v10
	v_mul_f32_e32 v8, v3, v9
                                        ; implicit-def: $vgpr4
                                        ; implicit-def: $vgpr3
	s_delay_alu instid0(VALU_DEP_4) | instskip(NEXT) | instid1(VALU_DEP_4)
	v_fmac_f32_e32 v5, v9, v0
	v_dual_fmac_f32 v6, v10, v0 :: v_dual_lshlrev_b32 v11, 1, v1
	s_delay_alu instid0(VALU_DEP_4) | instskip(NEXT) | instid1(VALU_DEP_4)
	v_fmac_f32_e32 v7, v9, v2
	v_fmac_f32_e32 v8, v10, v2
                                        ; implicit-def: $vgpr9
                                        ; implicit-def: $vgpr10
                                        ; implicit-def: $vgpr2
	s_delay_alu instid0(VALU_DEP_3) | instskip(NEXT) | instid1(VALU_DEP_1)
	v_ashrrev_i32_e32 v12, 31, v11
	v_lshlrev_b64 v[11:12], 3, v[11:12]
	s_delay_alu instid0(VALU_DEP_1) | instskip(NEXT) | instid1(VALU_DEP_2)
	v_add_co_u32 v0, vcc_lo, s2, v11
	v_add_co_ci_u32_e32 v1, vcc_lo, s3, v12, vcc_lo
                                        ; implicit-def: $vgpr11
                                        ; implicit-def: $vgpr12
	global_store_b128 v[0:1], v[5:8], off
                                        ; implicit-def: $vgpr1
                                        ; implicit-def: $vgpr0
.LBB187_27:
	s_and_not1_saveexec_b32 s0, s0
	s_cbranch_execz .LBB187_29
; %bb.28:
	v_lshlrev_b32_e32 v5, 1, v1
	v_mul_f32_e64 v15, v4, -v10
	v_mul_f32_e32 v1, v4, v9
	v_mul_f32_e64 v4, v3, -v10
	v_mul_f32_e32 v3, v3, v9
	s_delay_alu instid0(VALU_DEP_4) | instskip(NEXT) | instid1(VALU_DEP_3)
	v_fmac_f32_e32 v15, v9, v0
	v_fmac_f32_e32 v4, v9, v2
	v_ashrrev_i32_e32 v6, 31, v5
	s_delay_alu instid0(VALU_DEP_4) | instskip(NEXT) | instid1(VALU_DEP_2)
	v_fmac_f32_e32 v3, v10, v2
	v_lshlrev_b64 v[5:6], 3, v[5:6]
	s_delay_alu instid0(VALU_DEP_1) | instskip(NEXT) | instid1(VALU_DEP_2)
	v_add_co_u32 v13, vcc_lo, s2, v5
	v_add_co_ci_u32_e32 v14, vcc_lo, s3, v6, vcc_lo
	global_load_b128 v[5:8], v[13:14], off
	s_waitcnt vmcnt(0)
	v_dual_fmac_f32 v4, v11, v7 :: v_dual_fmac_f32 v1, v10, v0
	v_fmac_f32_e32 v15, v11, v5
	v_fmac_f32_e32 v3, v12, v7
	s_delay_alu instid0(VALU_DEP_3) | instskip(NEXT) | instid1(VALU_DEP_4)
	v_fma_f32 v2, -v12, v8, v4
	v_fmac_f32_e32 v1, v12, v5
	s_delay_alu instid0(VALU_DEP_4) | instskip(NEXT) | instid1(VALU_DEP_4)
	v_fma_f32 v0, -v12, v6, v15
	v_fmac_f32_e32 v3, v11, v8
	s_delay_alu instid0(VALU_DEP_3)
	v_fmac_f32_e32 v1, v11, v6
	global_store_b128 v[13:14], v[0:3], off
.LBB187_29:
	s_nop 0
	s_sendmsg sendmsg(MSG_DEALLOC_VGPRS)
	s_endpgm
	.section	.rodata,"a",@progbits
	.p2align	6, 0x0
	.amdhsa_kernel _ZN9rocsparseL19gebsrmvn_2xn_kernelILj128ELj9ELj4E21rocsparse_complex_numIfEEEvi20rocsparse_direction_NS_24const_host_device_scalarIT2_EEPKiS8_PKS5_SA_S6_PS5_21rocsparse_index_base_b
		.amdhsa_group_segment_fixed_size 0
		.amdhsa_private_segment_fixed_size 0
		.amdhsa_kernarg_size 72
		.amdhsa_user_sgpr_count 15
		.amdhsa_user_sgpr_dispatch_ptr 0
		.amdhsa_user_sgpr_queue_ptr 0
		.amdhsa_user_sgpr_kernarg_segment_ptr 1
		.amdhsa_user_sgpr_dispatch_id 0
		.amdhsa_user_sgpr_private_segment_size 0
		.amdhsa_wavefront_size32 1
		.amdhsa_uses_dynamic_stack 0
		.amdhsa_enable_private_segment 0
		.amdhsa_system_sgpr_workgroup_id_x 1
		.amdhsa_system_sgpr_workgroup_id_y 0
		.amdhsa_system_sgpr_workgroup_id_z 0
		.amdhsa_system_sgpr_workgroup_info 0
		.amdhsa_system_vgpr_workitem_id 0
		.amdhsa_next_free_vgpr 72
		.amdhsa_next_free_sgpr 16
		.amdhsa_reserve_vcc 1
		.amdhsa_float_round_mode_32 0
		.amdhsa_float_round_mode_16_64 0
		.amdhsa_float_denorm_mode_32 3
		.amdhsa_float_denorm_mode_16_64 3
		.amdhsa_dx10_clamp 1
		.amdhsa_ieee_mode 1
		.amdhsa_fp16_overflow 0
		.amdhsa_workgroup_processor_mode 1
		.amdhsa_memory_ordered 1
		.amdhsa_forward_progress 0
		.amdhsa_shared_vgpr_count 0
		.amdhsa_exception_fp_ieee_invalid_op 0
		.amdhsa_exception_fp_denorm_src 0
		.amdhsa_exception_fp_ieee_div_zero 0
		.amdhsa_exception_fp_ieee_overflow 0
		.amdhsa_exception_fp_ieee_underflow 0
		.amdhsa_exception_fp_ieee_inexact 0
		.amdhsa_exception_int_div_zero 0
	.end_amdhsa_kernel
	.section	.text._ZN9rocsparseL19gebsrmvn_2xn_kernelILj128ELj9ELj4E21rocsparse_complex_numIfEEEvi20rocsparse_direction_NS_24const_host_device_scalarIT2_EEPKiS8_PKS5_SA_S6_PS5_21rocsparse_index_base_b,"axG",@progbits,_ZN9rocsparseL19gebsrmvn_2xn_kernelILj128ELj9ELj4E21rocsparse_complex_numIfEEEvi20rocsparse_direction_NS_24const_host_device_scalarIT2_EEPKiS8_PKS5_SA_S6_PS5_21rocsparse_index_base_b,comdat
.Lfunc_end187:
	.size	_ZN9rocsparseL19gebsrmvn_2xn_kernelILj128ELj9ELj4E21rocsparse_complex_numIfEEEvi20rocsparse_direction_NS_24const_host_device_scalarIT2_EEPKiS8_PKS5_SA_S6_PS5_21rocsparse_index_base_b, .Lfunc_end187-_ZN9rocsparseL19gebsrmvn_2xn_kernelILj128ELj9ELj4E21rocsparse_complex_numIfEEEvi20rocsparse_direction_NS_24const_host_device_scalarIT2_EEPKiS8_PKS5_SA_S6_PS5_21rocsparse_index_base_b
                                        ; -- End function
	.section	.AMDGPU.csdata,"",@progbits
; Kernel info:
; codeLenInByte = 3752
; NumSgprs: 18
; NumVgprs: 72
; ScratchSize: 0
; MemoryBound: 0
; FloatMode: 240
; IeeeMode: 1
; LDSByteSize: 0 bytes/workgroup (compile time only)
; SGPRBlocks: 2
; VGPRBlocks: 8
; NumSGPRsForWavesPerEU: 18
; NumVGPRsForWavesPerEU: 72
; Occupancy: 16
; WaveLimiterHint : 1
; COMPUTE_PGM_RSRC2:SCRATCH_EN: 0
; COMPUTE_PGM_RSRC2:USER_SGPR: 15
; COMPUTE_PGM_RSRC2:TRAP_HANDLER: 0
; COMPUTE_PGM_RSRC2:TGID_X_EN: 1
; COMPUTE_PGM_RSRC2:TGID_Y_EN: 0
; COMPUTE_PGM_RSRC2:TGID_Z_EN: 0
; COMPUTE_PGM_RSRC2:TIDIG_COMP_CNT: 0
	.section	.text._ZN9rocsparseL19gebsrmvn_2xn_kernelILj128ELj9ELj8E21rocsparse_complex_numIfEEEvi20rocsparse_direction_NS_24const_host_device_scalarIT2_EEPKiS8_PKS5_SA_S6_PS5_21rocsparse_index_base_b,"axG",@progbits,_ZN9rocsparseL19gebsrmvn_2xn_kernelILj128ELj9ELj8E21rocsparse_complex_numIfEEEvi20rocsparse_direction_NS_24const_host_device_scalarIT2_EEPKiS8_PKS5_SA_S6_PS5_21rocsparse_index_base_b,comdat
	.globl	_ZN9rocsparseL19gebsrmvn_2xn_kernelILj128ELj9ELj8E21rocsparse_complex_numIfEEEvi20rocsparse_direction_NS_24const_host_device_scalarIT2_EEPKiS8_PKS5_SA_S6_PS5_21rocsparse_index_base_b ; -- Begin function _ZN9rocsparseL19gebsrmvn_2xn_kernelILj128ELj9ELj8E21rocsparse_complex_numIfEEEvi20rocsparse_direction_NS_24const_host_device_scalarIT2_EEPKiS8_PKS5_SA_S6_PS5_21rocsparse_index_base_b
	.p2align	8
	.type	_ZN9rocsparseL19gebsrmvn_2xn_kernelILj128ELj9ELj8E21rocsparse_complex_numIfEEEvi20rocsparse_direction_NS_24const_host_device_scalarIT2_EEPKiS8_PKS5_SA_S6_PS5_21rocsparse_index_base_b,@function
_ZN9rocsparseL19gebsrmvn_2xn_kernelILj128ELj9ELj8E21rocsparse_complex_numIfEEEvi20rocsparse_direction_NS_24const_host_device_scalarIT2_EEPKiS8_PKS5_SA_S6_PS5_21rocsparse_index_base_b: ; @_ZN9rocsparseL19gebsrmvn_2xn_kernelILj128ELj9ELj8E21rocsparse_complex_numIfEEEvi20rocsparse_direction_NS_24const_host_device_scalarIT2_EEPKiS8_PKS5_SA_S6_PS5_21rocsparse_index_base_b
; %bb.0:
	s_clause 0x2
	s_load_b64 s[12:13], s[0:1], 0x40
	s_load_b64 s[4:5], s[0:1], 0x8
	;; [unrolled: 1-line block ×3, first 2 shown]
	s_waitcnt lgkmcnt(0)
	s_bitcmp1_b32 s13, 0
	v_mov_b32_e32 v9, s4
	s_cselect_b32 s6, -1, 0
	s_delay_alu instid0(SALU_CYCLE_1)
	s_and_b32 vcc_lo, exec_lo, s6
	s_xor_b32 s6, s6, -1
	s_cbranch_vccz .LBB188_15
; %bb.1:
	v_cndmask_b32_e64 v1, 0, 1, s6
	v_mov_b32_e32 v10, s5
	s_and_not1_b32 vcc_lo, exec_lo, s6
	s_cbranch_vccz .LBB188_16
.LBB188_2:
	s_delay_alu instid0(VALU_DEP_2)
	v_cmp_ne_u32_e32 vcc_lo, 1, v1
	v_mov_b32_e32 v11, s2
	s_cbranch_vccz .LBB188_17
.LBB188_3:
	v_cmp_ne_u32_e32 vcc_lo, 1, v1
	v_mov_b32_e32 v12, s3
	s_cbranch_vccnz .LBB188_5
.LBB188_4:
	v_dual_mov_b32 v1, s2 :: v_dual_mov_b32 v2, s3
	flat_load_b32 v12, v[1:2] offset:4
.LBB188_5:
	s_waitcnt vmcnt(0) lgkmcnt(0)
	v_cmp_eq_f32_e32 vcc_lo, 0, v9
	v_cmp_eq_f32_e64 s2, 0, v10
	s_delay_alu instid0(VALU_DEP_1)
	s_and_b32 s4, vcc_lo, s2
	s_mov_b32 s2, -1
	s_and_saveexec_b32 s3, s4
; %bb.6:
	v_cmp_neq_f32_e32 vcc_lo, 1.0, v11
	v_cmp_neq_f32_e64 s2, 0, v12
	s_delay_alu instid0(VALU_DEP_1) | instskip(NEXT) | instid1(SALU_CYCLE_1)
	s_or_b32 s2, vcc_lo, s2
	s_or_not1_b32 s2, s2, exec_lo
; %bb.7:
	s_or_b32 exec_lo, exec_lo, s3
	s_and_saveexec_b32 s3, s2
	s_cbranch_execz .LBB188_29
; %bb.8:
	s_load_b64 s[2:3], s[0:1], 0x0
	v_lshrrev_b32_e32 v1, 3, v0
	s_delay_alu instid0(VALU_DEP_1) | instskip(SKIP_1) | instid1(VALU_DEP_1)
	v_lshl_or_b32 v1, s15, 4, v1
	s_waitcnt lgkmcnt(0)
	v_cmp_gt_i32_e32 vcc_lo, s2, v1
	s_and_b32 exec_lo, exec_lo, vcc_lo
	s_cbranch_execz .LBB188_29
; %bb.9:
	s_load_b256 s[4:11], s[0:1], 0x10
	v_ashrrev_i32_e32 v2, 31, v1
	v_and_b32_e32 v0, 7, v0
	s_cmp_lg_u32 s3, 0
	s_delay_alu instid0(VALU_DEP_2) | instskip(SKIP_1) | instid1(VALU_DEP_1)
	v_lshlrev_b64 v[2:3], 2, v[1:2]
	s_waitcnt lgkmcnt(0)
	v_add_co_u32 v2, vcc_lo, s4, v2
	s_delay_alu instid0(VALU_DEP_2) | instskip(SKIP_4) | instid1(VALU_DEP_2)
	v_add_co_ci_u32_e32 v3, vcc_lo, s5, v3, vcc_lo
	global_load_b64 v[2:3], v[2:3], off
	s_waitcnt vmcnt(0)
	v_subrev_nc_u32_e32 v2, s12, v2
	v_subrev_nc_u32_e32 v15, s12, v3
	v_add_nc_u32_e32 v2, v2, v0
	s_delay_alu instid0(VALU_DEP_1)
	v_cmp_lt_i32_e64 s2, v2, v15
	s_cbranch_scc0 .LBB188_18
; %bb.10:
	v_dual_mov_b32 v13, 0 :: v_dual_mov_b32 v16, 0
	v_dual_mov_b32 v17, 0 :: v_dual_mov_b32 v14, 0
	s_mov_b32 s3, 0
	s_and_saveexec_b32 s4, s2
	s_cbranch_execz .LBB188_14
; %bb.11:
	v_mad_u64_u32 v[3:4], null, v2, 18, 16
	v_dual_mov_b32 v6, 0 :: v_dual_mov_b32 v7, v2
	v_dual_mov_b32 v13, 0 :: v_dual_mov_b32 v16, 0
	;; [unrolled: 1-line block ×3, first 2 shown]
	s_mov_b32 s5, 0
.LBB188_12:                             ; =>This Inner Loop Header: Depth=1
	s_delay_alu instid0(VALU_DEP_3) | instskip(NEXT) | instid1(VALU_DEP_1)
	v_ashrrev_i32_e32 v8, 31, v7
	v_lshlrev_b64 v[4:5], 2, v[7:8]
	s_delay_alu instid0(VALU_DEP_1) | instskip(NEXT) | instid1(VALU_DEP_2)
	v_add_co_u32 v4, vcc_lo, s6, v4
	v_add_co_ci_u32_e32 v5, vcc_lo, s7, v5, vcc_lo
	global_load_b32 v8, v[4:5], off
	v_dual_mov_b32 v4, v6 :: v_dual_add_nc_u32 v5, -16, v3
	s_delay_alu instid0(VALU_DEP_1) | instskip(SKIP_1) | instid1(VALU_DEP_3)
	v_lshlrev_b64 v[18:19], 3, v[5:6]
	v_add_nc_u32_e32 v5, -14, v3
	v_lshlrev_b64 v[20:21], 3, v[3:4]
	s_delay_alu instid0(VALU_DEP_2) | instskip(NEXT) | instid1(VALU_DEP_4)
	v_lshlrev_b64 v[4:5], 3, v[5:6]
	v_add_co_u32 v18, vcc_lo, s8, v18
	v_add_co_ci_u32_e32 v19, vcc_lo, s9, v19, vcc_lo
	s_delay_alu instid0(VALU_DEP_4)
	v_add_co_u32 v50, vcc_lo, s8, v20
	v_add_co_ci_u32_e32 v51, vcc_lo, s9, v21, vcc_lo
	v_add_co_u32 v4, vcc_lo, s8, v4
	v_add_co_ci_u32_e32 v5, vcc_lo, s9, v5, vcc_lo
	s_clause 0x1
	global_load_b128 v[18:21], v[18:19], off
	global_load_b128 v[22:25], v[4:5], off
	v_mov_b32_e32 v47, v6
	s_waitcnt vmcnt(2)
	v_subrev_nc_u32_e32 v4, s12, v8
	s_delay_alu instid0(VALU_DEP_1) | instskip(NEXT) | instid1(VALU_DEP_1)
	v_lshl_add_u32 v46, v4, 3, v4
	v_lshlrev_b64 v[26:27], 3, v[46:47]
	s_delay_alu instid0(VALU_DEP_1) | instskip(NEXT) | instid1(VALU_DEP_2)
	v_add_co_u32 v26, vcc_lo, s10, v26
	v_add_co_ci_u32_e32 v27, vcc_lo, s11, v27, vcc_lo
	global_load_b64 v[54:55], v[26:27], off
	v_add_nc_u32_e32 v5, 1, v46
	s_delay_alu instid0(VALU_DEP_1) | instskip(NEXT) | instid1(VALU_DEP_1)
	v_lshlrev_b64 v[28:29], 3, v[5:6]
	v_add_co_u32 v28, vcc_lo, s10, v28
	s_delay_alu instid0(VALU_DEP_2)
	v_add_co_ci_u32_e32 v29, vcc_lo, s11, v29, vcc_lo
	global_load_b64 v[56:57], v[28:29], off
	s_waitcnt vmcnt(1)
	v_fmac_f32_e32 v16, v18, v54
	v_fmac_f32_e32 v17, v20, v54
	v_fmac_f32_e32 v14, v21, v54
	s_delay_alu instid0(VALU_DEP_3) | instskip(SKIP_1) | instid1(VALU_DEP_4)
	v_fma_f32 v8, -v19, v55, v16
	v_add_nc_u32_e32 v5, -12, v3
	v_fma_f32 v16, -v21, v55, v17
	s_delay_alu instid0(VALU_DEP_4)
	v_fmac_f32_e32 v14, v20, v55
	s_waitcnt vmcnt(0)
	v_fmac_f32_e32 v8, v22, v56
	v_lshlrev_b64 v[30:31], 3, v[5:6]
	v_dual_fmac_f32 v16, v24, v56 :: v_dual_add_nc_u32 v5, 2, v46
	v_fmac_f32_e32 v14, v25, v56
	s_delay_alu instid0(VALU_DEP_4) | instskip(NEXT) | instid1(VALU_DEP_3)
	v_fma_f32 v8, -v23, v57, v8
	v_lshlrev_b64 v[26:27], 3, v[5:6]
	v_add_co_u32 v28, vcc_lo, s8, v30
	v_add_nc_u32_e32 v5, -10, v3
	v_add_co_ci_u32_e32 v29, vcc_lo, s9, v31, vcc_lo
	s_delay_alu instid0(VALU_DEP_4) | instskip(SKIP_1) | instid1(VALU_DEP_4)
	v_add_co_u32 v32, vcc_lo, s10, v26
	v_add_co_ci_u32_e32 v33, vcc_lo, s11, v27, vcc_lo
	v_lshlrev_b64 v[30:31], 3, v[5:6]
	v_dual_fmac_f32 v14, v24, v57 :: v_dual_add_nc_u32 v5, 3, v46
	global_load_b128 v[26:29], v[28:29], off
	global_load_b64 v[58:59], v[32:33], off
	v_fma_f32 v16, -v25, v57, v16
	v_lshlrev_b64 v[34:35], 3, v[5:6]
	v_add_co_u32 v30, vcc_lo, s8, v30
	v_add_co_ci_u32_e32 v31, vcc_lo, s9, v31, vcc_lo
	s_delay_alu instid0(VALU_DEP_3) | instskip(NEXT) | instid1(VALU_DEP_4)
	v_add_co_u32 v34, vcc_lo, s10, v34
	v_add_co_ci_u32_e32 v35, vcc_lo, s11, v35, vcc_lo
	global_load_b64 v[60:61], v[34:35], off
	global_load_b128 v[30:33], v[30:31], off
	s_waitcnt vmcnt(2)
	v_dual_fmac_f32 v8, v26, v58 :: v_dual_add_nc_u32 v5, -8, v3
	s_delay_alu instid0(VALU_DEP_1) | instskip(SKIP_4) | instid1(VALU_DEP_4)
	v_lshlrev_b64 v[36:37], 3, v[5:6]
	v_fmac_f32_e32 v14, v29, v58
	v_add_nc_u32_e32 v5, 4, v46
	v_fmac_f32_e32 v16, v28, v58
	v_fma_f32 v8, -v27, v59, v8
	v_fmac_f32_e32 v14, v28, v59
	s_delay_alu instid0(VALU_DEP_4) | instskip(SKIP_3) | instid1(VALU_DEP_3)
	v_lshlrev_b64 v[38:39], 3, v[5:6]
	v_add_nc_u32_e32 v5, -6, v3
	v_add_co_u32 v34, vcc_lo, s8, v36
	v_add_co_ci_u32_e32 v35, vcc_lo, s9, v37, vcc_lo
	v_lshlrev_b64 v[40:41], 3, v[5:6]
	s_waitcnt vmcnt(0)
	v_dual_fmac_f32 v8, v30, v60 :: v_dual_add_nc_u32 v5, 5, v46
	v_add_co_u32 v38, vcc_lo, s10, v38
	v_add_co_ci_u32_e32 v39, vcc_lo, s11, v39, vcc_lo
	s_delay_alu instid0(VALU_DEP_3)
	v_lshlrev_b64 v[42:43], 3, v[5:6]
	global_load_b128 v[34:37], v[34:35], off
	v_fma_f32 v16, -v29, v59, v16
	global_load_b64 v[62:63], v[38:39], off
	v_add_co_u32 v38, vcc_lo, s8, v40
	v_add_co_ci_u32_e32 v39, vcc_lo, s9, v41, vcc_lo
	v_add_co_u32 v42, vcc_lo, s10, v42
	v_add_co_ci_u32_e32 v43, vcc_lo, s11, v43, vcc_lo
	global_load_b128 v[38:41], v[38:39], off
	v_dual_fmac_f32 v16, v32, v60 :: v_dual_add_nc_u32 v5, -4, v3
	global_load_b64 v[64:65], v[42:43], off
	v_fmac_f32_e32 v14, v33, v60
	v_fma_f32 v8, -v31, v61, v8
	v_lshlrev_b64 v[44:45], 3, v[5:6]
	v_add_nc_u32_e32 v5, 6, v46
	v_fma_f32 v16, -v33, v61, v16
	v_fmac_f32_e32 v14, v32, v61
	s_delay_alu instid0(VALU_DEP_3) | instskip(SKIP_3) | instid1(VALU_DEP_4)
	v_lshlrev_b64 v[47:48], 3, v[5:6]
	v_add_co_u32 v42, vcc_lo, s8, v44
	v_add_co_ci_u32_e32 v43, vcc_lo, s9, v45, vcc_lo
	v_add_nc_u32_e32 v5, -2, v3
	v_add_co_u32 v47, vcc_lo, s10, v47
	v_add_co_ci_u32_e32 v48, vcc_lo, s11, v48, vcc_lo
	global_load_b128 v[42:45], v[42:43], off
	v_lshlrev_b64 v[52:53], 3, v[5:6]
	v_add_nc_u32_e32 v3, 0x90, v3
	global_load_b64 v[68:69], v[47:48], off
	s_waitcnt vmcnt(4)
	v_fmac_f32_e32 v16, v36, v62
	v_fmac_f32_e32 v14, v37, v62
	v_add_nc_u32_e32 v5, 7, v46
	v_fmac_f32_e32 v8, v34, v62
	s_delay_alu instid0(VALU_DEP_4) | instskip(NEXT) | instid1(VALU_DEP_4)
	v_fma_f32 v16, -v37, v63, v16
	v_dual_fmac_f32 v14, v36, v63 :: v_dual_fmac_f32 v13, v19, v54
	s_delay_alu instid0(VALU_DEP_4) | instskip(NEXT) | instid1(VALU_DEP_4)
	v_lshlrev_b64 v[66:67], 3, v[5:6]
	v_fma_f32 v8, -v35, v63, v8
	v_add_nc_u32_e32 v5, 8, v46
	v_add_co_u32 v46, vcc_lo, s8, v52
	s_waitcnt vmcnt(2)
	v_fmac_f32_e32 v16, v40, v64
	v_fmac_f32_e32 v8, v38, v64
	;; [unrolled: 1-line block ×3, first 2 shown]
	v_add_co_ci_u32_e32 v47, vcc_lo, s9, v53, vcc_lo
	v_add_co_u32 v52, vcc_lo, s10, v66
	s_delay_alu instid0(VALU_DEP_3)
	v_fmac_f32_e32 v13, v23, v56
	v_add_co_ci_u32_e32 v53, vcc_lo, s11, v67, vcc_lo
	global_load_b128 v[46:49], v[46:47], off
	global_load_b64 v[66:67], v[52:53], off
	v_lshlrev_b64 v[4:5], 3, v[5:6]
	v_fma_f32 v16, -v41, v65, v16
	v_dual_fmac_f32 v13, v22, v57 :: v_dual_fmac_f32 v14, v41, v64
	v_fma_f32 v8, -v39, v65, v8
	s_delay_alu instid0(VALU_DEP_4)
	v_add_co_u32 v4, vcc_lo, s10, v4
	s_waitcnt vmcnt(2)
	v_fmac_f32_e32 v16, v44, v68
	v_add_co_ci_u32_e32 v5, vcc_lo, s11, v5, vcc_lo
	global_load_b128 v[50:53], v[50:51], off
	global_load_b64 v[4:5], v[4:5], off
	v_dual_fmac_f32 v13, v27, v58 :: v_dual_fmac_f32 v14, v40, v65
	v_fma_f32 v16, -v45, v69, v16
	v_fmac_f32_e32 v8, v42, v68
	s_delay_alu instid0(VALU_DEP_3) | instskip(NEXT) | instid1(VALU_DEP_2)
	v_dual_fmac_f32 v13, v26, v59 :: v_dual_fmac_f32 v14, v45, v68
	v_fma_f32 v8, -v43, v69, v8
	s_delay_alu instid0(VALU_DEP_2) | instskip(SKIP_1) | instid1(VALU_DEP_1)
	v_dual_fmac_f32 v13, v31, v60 :: v_dual_fmac_f32 v14, v44, v69
	s_waitcnt vmcnt(2)
	v_dual_fmac_f32 v13, v30, v61 :: v_dual_fmac_f32 v16, v48, v66
	s_delay_alu instid0(VALU_DEP_1) | instskip(SKIP_2) | instid1(VALU_DEP_4)
	v_fmac_f32_e32 v13, v35, v62
	v_fmac_f32_e32 v8, v46, v66
	v_fmac_f32_e32 v14, v49, v66
	v_fma_f32 v17, -v49, v67, v16
	s_delay_alu instid0(VALU_DEP_4) | instskip(NEXT) | instid1(VALU_DEP_4)
	v_fmac_f32_e32 v13, v34, v63
	v_fma_f32 v8, -v47, v67, v8
	s_delay_alu instid0(VALU_DEP_4) | instskip(SKIP_1) | instid1(VALU_DEP_4)
	v_fmac_f32_e32 v14, v48, v67
	v_add_nc_u32_e32 v7, 8, v7
	v_fmac_f32_e32 v13, v39, v64
	s_waitcnt vmcnt(0)
	v_fmac_f32_e32 v17, v52, v4
	s_delay_alu instid0(VALU_DEP_2) | instskip(SKIP_2) | instid1(VALU_DEP_4)
	v_dual_fmac_f32 v14, v53, v4 :: v_dual_fmac_f32 v13, v38, v65
	v_cmp_ge_i32_e32 vcc_lo, v7, v15
	v_fmac_f32_e32 v8, v50, v4
	v_fma_f32 v17, -v53, v5, v17
	s_delay_alu instid0(VALU_DEP_4) | instskip(SKIP_1) | instid1(VALU_DEP_3)
	v_dual_fmac_f32 v14, v52, v5 :: v_dual_fmac_f32 v13, v43, v68
	s_or_b32 s5, vcc_lo, s5
	v_fma_f32 v16, -v51, v5, v8
	s_delay_alu instid0(VALU_DEP_2) | instskip(NEXT) | instid1(VALU_DEP_1)
	v_fmac_f32_e32 v13, v42, v69
	v_fmac_f32_e32 v13, v47, v66
	s_delay_alu instid0(VALU_DEP_1) | instskip(NEXT) | instid1(VALU_DEP_1)
	v_fmac_f32_e32 v13, v46, v67
	v_fmac_f32_e32 v13, v51, v4
	s_delay_alu instid0(VALU_DEP_1)
	v_fmac_f32_e32 v13, v50, v5
	s_and_not1_b32 exec_lo, exec_lo, s5
	s_cbranch_execnz .LBB188_12
; %bb.13:
	s_or_b32 exec_lo, exec_lo, s5
.LBB188_14:
	s_delay_alu instid0(SALU_CYCLE_1) | instskip(NEXT) | instid1(SALU_CYCLE_1)
	s_or_b32 exec_lo, exec_lo, s4
	s_and_not1_b32 vcc_lo, exec_lo, s3
	s_cbranch_vccz .LBB188_19
	s_branch .LBB188_24
.LBB188_15:
	v_dual_mov_b32 v1, s4 :: v_dual_mov_b32 v2, s5
	flat_load_b32 v9, v[1:2]
	v_cndmask_b32_e64 v1, 0, 1, s6
	v_mov_b32_e32 v10, s5
	s_and_not1_b32 vcc_lo, exec_lo, s6
	s_cbranch_vccnz .LBB188_2
.LBB188_16:
	v_dual_mov_b32 v2, s4 :: v_dual_mov_b32 v3, s5
	flat_load_b32 v10, v[2:3] offset:4
	v_cmp_ne_u32_e32 vcc_lo, 1, v1
	v_mov_b32_e32 v11, s2
	s_cbranch_vccnz .LBB188_3
.LBB188_17:
	v_dual_mov_b32 v2, s2 :: v_dual_mov_b32 v3, s3
	flat_load_b32 v11, v[2:3]
	v_cmp_ne_u32_e32 vcc_lo, 1, v1
	v_mov_b32_e32 v12, s3
	s_cbranch_vccz .LBB188_4
	s_branch .LBB188_5
.LBB188_18:
                                        ; implicit-def: $vgpr13
                                        ; implicit-def: $vgpr16
                                        ; implicit-def: $vgpr17
                                        ; implicit-def: $vgpr14
.LBB188_19:
	v_dual_mov_b32 v13, 0 :: v_dual_mov_b32 v16, 0
	v_dual_mov_b32 v17, 0 :: v_dual_mov_b32 v14, 0
	s_delay_alu instid0(VALU_DEP_3)
	s_and_saveexec_b32 s3, s2
	s_cbranch_execz .LBB188_23
; %bb.20:
	v_mad_u64_u32 v[4:5], null, v2, 18, 17
	v_dual_mov_b32 v7, 0 :: v_dual_mov_b32 v16, 0
	v_dual_mov_b32 v13, 0 :: v_dual_mov_b32 v14, 0
	v_mov_b32_e32 v17, 0
	s_mov_b32 s2, 0
.LBB188_21:                             ; =>This Inner Loop Header: Depth=1
	v_ashrrev_i32_e32 v3, 31, v2
	v_dual_mov_b32 v23, v7 :: v_dual_add_nc_u32 v18, -8, v4
	s_delay_alu instid0(VALU_DEP_2) | instskip(SKIP_1) | instid1(VALU_DEP_2)
	v_lshlrev_b64 v[5:6], 2, v[2:3]
	v_add_nc_u32_e32 v2, 8, v2
	v_add_co_u32 v5, vcc_lo, s6, v5
	s_delay_alu instid0(VALU_DEP_3) | instskip(SKIP_3) | instid1(VALU_DEP_2)
	v_add_co_ci_u32_e32 v6, vcc_lo, s7, v6, vcc_lo
	global_load_b32 v3, v[5:6], off
	v_subrev_nc_u32_e32 v6, 17, v4
	v_mov_b32_e32 v5, v7
	v_lshlrev_b64 v[20:21], 3, v[6:7]
	s_delay_alu instid0(VALU_DEP_2) | instskip(NEXT) | instid1(VALU_DEP_2)
	v_lshlrev_b64 v[5:6], 3, v[4:5]
	v_add_co_u32 v20, vcc_lo, s8, v20
	s_delay_alu instid0(VALU_DEP_3) | instskip(SKIP_2) | instid1(VALU_DEP_1)
	v_add_co_ci_u32_e32 v21, vcc_lo, s9, v21, vcc_lo
	s_waitcnt vmcnt(0)
	v_subrev_nc_u32_e32 v3, s12, v3
	v_lshl_add_u32 v22, v3, 3, v3
	v_mov_b32_e32 v19, v7
	s_delay_alu instid0(VALU_DEP_2) | instskip(NEXT) | instid1(VALU_DEP_2)
	v_lshlrev_b64 v[28:29], 3, v[22:23]
	v_lshlrev_b64 v[18:19], 3, v[18:19]
	s_delay_alu instid0(VALU_DEP_1) | instskip(NEXT) | instid1(VALU_DEP_2)
	v_add_co_u32 v24, vcc_lo, s8, v18
	v_add_co_ci_u32_e32 v25, vcc_lo, s9, v19, vcc_lo
	v_add_co_u32 v5, vcc_lo, s8, v5
	v_add_co_ci_u32_e32 v6, vcc_lo, s9, v6, vcc_lo
	;; [unrolled: 2-line block ×3, first 2 shown]
	s_clause 0x2
	global_load_b128 v[18:21], v[20:21], off
	global_load_b64 v[24:25], v[24:25], off
	global_load_b64 v[26:27], v[5:6], off
	v_add_nc_u32_e32 v6, 1, v22
	global_load_b64 v[28:29], v[28:29], off
	v_lshlrev_b64 v[30:31], 3, v[6:7]
	v_add_nc_u32_e32 v6, -7, v4
	s_delay_alu instid0(VALU_DEP_2) | instskip(NEXT) | instid1(VALU_DEP_3)
	v_add_co_u32 v30, vcc_lo, s10, v30
	v_add_co_ci_u32_e32 v31, vcc_lo, s11, v31, vcc_lo
	s_delay_alu instid0(VALU_DEP_3)
	v_lshlrev_b64 v[32:33], 3, v[6:7]
	global_load_b64 v[30:31], v[30:31], off
	v_add_co_u32 v32, vcc_lo, s8, v32
	v_add_co_ci_u32_e32 v33, vcc_lo, s9, v33, vcc_lo
	global_load_b64 v[32:33], v[32:33], off
	s_waitcnt vmcnt(2)
	v_fmac_f32_e32 v14, v25, v28
	v_fmac_f32_e32 v13, v19, v28
	v_fmac_f32_e32 v16, v18, v28
	v_fmac_f32_e32 v17, v24, v28
	s_delay_alu instid0(VALU_DEP_4) | instskip(NEXT) | instid1(VALU_DEP_4)
	v_fmac_f32_e32 v14, v24, v29
	v_dual_fmac_f32 v13, v18, v29 :: v_dual_add_nc_u32 v6, -15, v4
	s_delay_alu instid0(VALU_DEP_4) | instskip(NEXT) | instid1(VALU_DEP_4)
	v_fma_f32 v3, -v19, v29, v16
	v_fma_f32 v8, -v25, v29, v17
	s_delay_alu instid0(VALU_DEP_3) | instskip(SKIP_3) | instid1(VALU_DEP_2)
	v_lshlrev_b64 v[34:35], 3, v[6:7]
	v_add_nc_u32_e32 v6, 2, v22
	s_waitcnt vmcnt(1)
	v_fmac_f32_e32 v3, v20, v30
	v_lshlrev_b64 v[36:37], 3, v[6:7]
	v_add_nc_u32_e32 v6, -6, v4
	v_add_co_u32 v34, vcc_lo, s8, v34
	v_add_co_ci_u32_e32 v35, vcc_lo, s9, v35, vcc_lo
	s_delay_alu instid0(VALU_DEP_3) | instskip(SKIP_3) | instid1(VALU_DEP_3)
	v_lshlrev_b64 v[38:39], 3, v[6:7]
	v_dual_fmac_f32 v13, v21, v30 :: v_dual_add_nc_u32 v6, -14, v4
	v_add_co_u32 v36, vcc_lo, s10, v36
	v_add_co_ci_u32_e32 v37, vcc_lo, s11, v37, vcc_lo
	v_lshlrev_b64 v[40:41], 3, v[6:7]
	s_delay_alu instid0(VALU_DEP_4) | instskip(SKIP_2) | instid1(VALU_DEP_3)
	v_dual_fmac_f32 v13, v20, v31 :: v_dual_add_nc_u32 v6, 3, v22
	v_add_co_u32 v38, vcc_lo, s8, v38
	v_add_co_ci_u32_e32 v39, vcc_lo, s9, v39, vcc_lo
	v_lshlrev_b64 v[42:43], 3, v[6:7]
	global_load_b64 v[34:35], v[34:35], off
	global_load_b64 v[36:37], v[36:37], off
	v_add_co_u32 v40, vcc_lo, s8, v40
	v_add_co_ci_u32_e32 v41, vcc_lo, s9, v41, vcc_lo
	v_add_co_u32 v42, vcc_lo, s10, v42
	v_add_co_ci_u32_e32 v43, vcc_lo, s11, v43, vcc_lo
	s_clause 0x1
	global_load_b64 v[38:39], v[38:39], off
	global_load_b64 v[40:41], v[40:41], off
	v_fma_f32 v3, -v21, v31, v3
	global_load_b64 v[42:43], v[42:43], off
	s_waitcnt vmcnt(5)
	v_fmac_f32_e32 v8, v32, v30
	s_waitcnt vmcnt(3)
	v_dual_fmac_f32 v14, v33, v30 :: v_dual_fmac_f32 v13, v35, v36
	v_add_nc_u32_e32 v6, -5, v4
	v_fmac_f32_e32 v3, v34, v36
	v_fma_f32 v8, -v33, v31, v8
	s_delay_alu instid0(VALU_DEP_4) | instskip(NEXT) | instid1(VALU_DEP_4)
	v_fmac_f32_e32 v13, v34, v37
	v_lshlrev_b64 v[44:45], 3, v[6:7]
	s_delay_alu instid0(VALU_DEP_4) | instskip(SKIP_2) | instid1(VALU_DEP_2)
	v_fma_f32 v3, -v35, v37, v3
	v_add_nc_u32_e32 v6, -13, v4
	s_waitcnt vmcnt(0)
	v_dual_fmac_f32 v8, v38, v36 :: v_dual_fmac_f32 v3, v40, v42
	s_delay_alu instid0(VALU_DEP_2) | instskip(SKIP_4) | instid1(VALU_DEP_4)
	v_lshlrev_b64 v[46:47], 3, v[6:7]
	v_fmac_f32_e32 v13, v41, v42
	v_add_nc_u32_e32 v6, 4, v22
	v_add_co_u32 v44, vcc_lo, s8, v44
	v_add_co_ci_u32_e32 v45, vcc_lo, s9, v45, vcc_lo
	v_fmac_f32_e32 v13, v40, v43
	s_delay_alu instid0(VALU_DEP_4)
	v_lshlrev_b64 v[48:49], 3, v[6:7]
	v_add_co_u32 v46, vcc_lo, s8, v46
	v_add_co_ci_u32_e32 v47, vcc_lo, s9, v47, vcc_lo
	global_load_b64 v[44:45], v[44:45], off
	v_add_co_u32 v48, vcc_lo, s10, v48
	global_load_b64 v[46:47], v[46:47], off
	v_add_co_ci_u32_e32 v49, vcc_lo, s11, v49, vcc_lo
	v_fma_f32 v3, -v41, v43, v3
	v_fma_f32 v8, -v39, v37, v8
	global_load_b64 v[48:49], v[48:49], off
	s_waitcnt vmcnt(0)
	v_dual_fmac_f32 v14, v32, v31 :: v_dual_fmac_f32 v3, v46, v48
	s_delay_alu instid0(VALU_DEP_1) | instskip(SKIP_2) | instid1(VALU_DEP_4)
	v_fmac_f32_e32 v14, v39, v36
	v_fmac_f32_e32 v13, v47, v48
	v_add_nc_u32_e32 v6, -4, v4
	v_fma_f32 v3, -v47, v49, v3
	s_delay_alu instid0(VALU_DEP_4) | instskip(NEXT) | instid1(VALU_DEP_4)
	v_fmac_f32_e32 v14, v38, v37
	v_fmac_f32_e32 v13, v46, v49
	s_delay_alu instid0(VALU_DEP_4) | instskip(SKIP_1) | instid1(VALU_DEP_4)
	v_lshlrev_b64 v[50:51], 3, v[6:7]
	v_add_nc_u32_e32 v6, -12, v4
	v_fmac_f32_e32 v14, v45, v42
	s_delay_alu instid0(VALU_DEP_2) | instskip(NEXT) | instid1(VALU_DEP_4)
	v_lshlrev_b64 v[52:53], 3, v[6:7]
	v_add_co_u32 v50, vcc_lo, s8, v50
	v_add_co_ci_u32_e32 v51, vcc_lo, s9, v51, vcc_lo
	s_delay_alu instid0(VALU_DEP_4) | instskip(NEXT) | instid1(VALU_DEP_4)
	v_fmac_f32_e32 v14, v44, v43
	v_add_co_u32 v52, vcc_lo, s8, v52
	v_add_co_ci_u32_e32 v53, vcc_lo, s9, v53, vcc_lo
	s_clause 0x1
	global_load_b64 v[50:51], v[50:51], off
	global_load_b64 v[52:53], v[52:53], off
	v_add_nc_u32_e32 v6, 5, v22
	s_delay_alu instid0(VALU_DEP_1) | instskip(NEXT) | instid1(VALU_DEP_1)
	v_lshlrev_b64 v[54:55], 3, v[6:7]
	v_add_co_u32 v54, vcc_lo, s10, v54
	s_delay_alu instid0(VALU_DEP_2)
	v_add_co_ci_u32_e32 v55, vcc_lo, s11, v55, vcc_lo
	global_load_b64 v[54:55], v[54:55], off
	v_add_nc_u32_e32 v6, -3, v4
	s_waitcnt vmcnt(2)
	v_fmac_f32_e32 v14, v51, v48
	s_waitcnt vmcnt(0)
	s_delay_alu instid0(VALU_DEP_1) | instskip(SKIP_2) | instid1(VALU_DEP_3)
	v_dual_fmac_f32 v14, v50, v49 :: v_dual_fmac_f32 v13, v53, v54
	v_lshlrev_b64 v[56:57], 3, v[6:7]
	v_dual_fmac_f32 v3, v52, v54 :: v_dual_add_nc_u32 v6, -11, v4
	v_fmac_f32_e32 v13, v52, v55
	s_delay_alu instid0(VALU_DEP_2) | instskip(NEXT) | instid1(VALU_DEP_4)
	v_lshlrev_b64 v[58:59], 3, v[6:7]
	v_add_co_u32 v56, vcc_lo, s8, v56
	v_add_co_ci_u32_e32 v57, vcc_lo, s9, v57, vcc_lo
	v_fma_f32 v3, -v53, v55, v3
	s_delay_alu instid0(VALU_DEP_4)
	v_add_co_u32 v58, vcc_lo, s8, v58
	v_add_co_ci_u32_e32 v59, vcc_lo, s9, v59, vcc_lo
	s_clause 0x1
	global_load_b64 v[56:57], v[56:57], off
	global_load_b64 v[58:59], v[58:59], off
	v_add_nc_u32_e32 v6, 6, v22
	s_delay_alu instid0(VALU_DEP_1) | instskip(NEXT) | instid1(VALU_DEP_1)
	v_lshlrev_b64 v[60:61], 3, v[6:7]
	v_add_co_u32 v60, vcc_lo, s10, v60
	s_delay_alu instid0(VALU_DEP_2)
	v_add_co_ci_u32_e32 v61, vcc_lo, s11, v61, vcc_lo
	global_load_b64 v[60:61], v[60:61], off
	v_fmac_f32_e32 v8, v44, v42
	s_waitcnt vmcnt(2)
	v_fmac_f32_e32 v14, v57, v54
	s_waitcnt vmcnt(0)
	s_delay_alu instid0(VALU_DEP_1) | instskip(SKIP_2) | instid1(VALU_DEP_3)
	v_dual_fmac_f32 v14, v56, v55 :: v_dual_fmac_f32 v13, v59, v60
	v_fmac_f32_e32 v3, v58, v60
	v_fma_f32 v8, -v45, v43, v8
	v_fmac_f32_e32 v13, v58, v61
	s_delay_alu instid0(VALU_DEP_3) | instskip(SKIP_1) | instid1(VALU_DEP_4)
	v_fma_f32 v3, -v59, v61, v3
	v_add_nc_u32_e32 v6, -2, v4
	v_fmac_f32_e32 v8, v50, v48
	s_delay_alu instid0(VALU_DEP_2) | instskip(SKIP_1) | instid1(VALU_DEP_3)
	v_lshlrev_b64 v[62:63], 3, v[6:7]
	v_add_nc_u32_e32 v6, -10, v4
	v_fma_f32 v8, -v51, v49, v8
	s_delay_alu instid0(VALU_DEP_2) | instskip(NEXT) | instid1(VALU_DEP_4)
	v_lshlrev_b64 v[64:65], 3, v[6:7]
	v_add_co_u32 v62, vcc_lo, s8, v62
	v_add_co_ci_u32_e32 v63, vcc_lo, s9, v63, vcc_lo
	s_delay_alu instid0(VALU_DEP_4) | instskip(NEXT) | instid1(VALU_DEP_4)
	v_fmac_f32_e32 v8, v56, v54
	v_add_co_u32 v64, vcc_lo, s8, v64
	v_add_co_ci_u32_e32 v65, vcc_lo, s9, v65, vcc_lo
	global_load_b64 v[62:63], v[62:63], off
	v_fma_f32 v8, -v57, v55, v8
	global_load_b64 v[64:65], v[64:65], off
	v_add_nc_u32_e32 v6, 7, v22
	s_delay_alu instid0(VALU_DEP_1) | instskip(NEXT) | instid1(VALU_DEP_1)
	v_lshlrev_b64 v[66:67], 3, v[6:7]
	v_add_co_u32 v66, vcc_lo, s10, v66
	s_delay_alu instid0(VALU_DEP_2) | instskip(SKIP_4) | instid1(VALU_DEP_2)
	v_add_co_ci_u32_e32 v67, vcc_lo, s11, v67, vcc_lo
	global_load_b64 v[66:67], v[66:67], off
	s_waitcnt vmcnt(2)
	v_fmac_f32_e32 v8, v62, v60
	v_fmac_f32_e32 v14, v63, v60
	v_fma_f32 v8, -v63, v61, v8
	s_waitcnt vmcnt(0)
	s_delay_alu instid0(VALU_DEP_2) | instskip(SKIP_1) | instid1(VALU_DEP_2)
	v_dual_fmac_f32 v14, v62, v61 :: v_dual_fmac_f32 v3, v64, v66
	v_fmac_f32_e32 v13, v65, v66
	v_fma_f32 v3, -v65, v67, v3
	s_delay_alu instid0(VALU_DEP_2) | instskip(NEXT) | instid1(VALU_DEP_1)
	v_dual_fmac_f32 v13, v64, v67 :: v_dual_add_nc_u32 v6, -1, v4
	v_lshlrev_b64 v[68:69], 3, v[6:7]
	v_add_nc_u32_e32 v6, -9, v4
	v_add_nc_u32_e32 v4, 0x90, v4
	s_delay_alu instid0(VALU_DEP_2) | instskip(SKIP_3) | instid1(VALU_DEP_3)
	v_lshlrev_b64 v[70:71], 3, v[6:7]
	v_add_nc_u32_e32 v6, 8, v22
	v_add_co_u32 v22, vcc_lo, s8, v68
	v_add_co_ci_u32_e32 v23, vcc_lo, s9, v69, vcc_lo
	v_lshlrev_b64 v[5:6], 3, v[6:7]
	v_add_co_u32 v68, vcc_lo, s8, v70
	global_load_b64 v[22:23], v[22:23], off
	v_add_co_ci_u32_e32 v69, vcc_lo, s9, v71, vcc_lo
	v_add_co_u32 v5, vcc_lo, s10, v5
	v_add_co_ci_u32_e32 v6, vcc_lo, s11, v6, vcc_lo
	global_load_b64 v[68:69], v[68:69], off
	global_load_b64 v[5:6], v[5:6], off
	v_cmp_ge_i32_e32 vcc_lo, v2, v15
	s_or_b32 s2, vcc_lo, s2
	s_waitcnt vmcnt(2)
	v_fmac_f32_e32 v8, v22, v66
	v_fmac_f32_e32 v14, v23, v66
	s_delay_alu instid0(VALU_DEP_2) | instskip(SKIP_1) | instid1(VALU_DEP_2)
	v_fma_f32 v8, -v23, v67, v8
	s_waitcnt vmcnt(0)
	v_dual_fmac_f32 v14, v22, v67 :: v_dual_fmac_f32 v13, v69, v5
	v_fmac_f32_e32 v3, v68, v5
	s_delay_alu instid0(VALU_DEP_3) | instskip(NEXT) | instid1(VALU_DEP_3)
	v_fmac_f32_e32 v8, v26, v5
	v_dual_fmac_f32 v14, v27, v5 :: v_dual_fmac_f32 v13, v68, v6
	s_delay_alu instid0(VALU_DEP_3) | instskip(NEXT) | instid1(VALU_DEP_3)
	v_fma_f32 v16, -v69, v6, v3
	v_fma_f32 v17, -v27, v6, v8
	s_delay_alu instid0(VALU_DEP_3)
	v_fmac_f32_e32 v14, v26, v6
	s_and_not1_b32 exec_lo, exec_lo, s2
	s_cbranch_execnz .LBB188_21
; %bb.22:
	s_or_b32 exec_lo, exec_lo, s2
.LBB188_23:
	s_delay_alu instid0(SALU_CYCLE_1)
	s_or_b32 exec_lo, exec_lo, s3
.LBB188_24:
	v_mbcnt_lo_u32_b32 v2, -1, 0
	s_delay_alu instid0(VALU_DEP_1) | instskip(SKIP_2) | instid1(VALU_DEP_3)
	v_xor_b32_e32 v3, 4, v2
	v_xor_b32_e32 v7, 2, v2
	;; [unrolled: 1-line block ×3, first 2 shown]
	v_cmp_gt_i32_e32 vcc_lo, 32, v3
	v_cndmask_b32_e32 v3, v2, v3, vcc_lo
	s_delay_alu instid0(VALU_DEP_4) | instskip(NEXT) | instid1(VALU_DEP_2)
	v_cmp_gt_i32_e32 vcc_lo, 32, v7
	v_lshlrev_b32_e32 v3, 2, v3
	ds_bpermute_b32 v6, v3, v17
	s_waitcnt lgkmcnt(0)
	v_add_f32_e32 v6, v17, v6
	ds_bpermute_b32 v4, v3, v16
	ds_bpermute_b32 v5, v3, v13
	;; [unrolled: 1-line block ×3, first 2 shown]
	s_waitcnt lgkmcnt(2)
	v_dual_add_f32 v4, v16, v4 :: v_dual_cndmask_b32 v7, v2, v7
	s_waitcnt lgkmcnt(0)
	v_add_f32_e32 v3, v14, v3
	v_cmp_gt_i32_e32 vcc_lo, 32, v15
	v_add_f32_e32 v5, v13, v5
	v_lshlrev_b32_e32 v7, 2, v7
	v_cndmask_b32_e32 v2, v2, v15, vcc_lo
	v_cmp_eq_u32_e32 vcc_lo, 7, v0
	ds_bpermute_b32 v14, v7, v6
	v_lshlrev_b32_e32 v15, 2, v2
	s_waitcnt lgkmcnt(0)
	v_add_f32_e32 v2, v6, v14
	ds_bpermute_b32 v8, v7, v4
	ds_bpermute_b32 v13, v7, v5
	;; [unrolled: 1-line block ×4, first 2 shown]
	s_waitcnt lgkmcnt(2)
	v_dual_add_f32 v4, v4, v8 :: v_dual_add_f32 v5, v5, v13
	s_waitcnt lgkmcnt(1)
	v_add_f32_e32 v3, v3, v7
	ds_bpermute_b32 v8, v15, v4
	ds_bpermute_b32 v13, v15, v5
	;; [unrolled: 1-line block ×3, first 2 shown]
	s_and_b32 exec_lo, exec_lo, vcc_lo
	s_cbranch_execz .LBB188_29
; %bb.25:
	s_load_b64 s[2:3], s[0:1], 0x38
	v_cmp_eq_f32_e32 vcc_lo, 0, v11
	v_cmp_eq_f32_e64 s0, 0, v12
	s_waitcnt lgkmcnt(0)
	v_dual_add_f32 v0, v4, v8 :: v_dual_add_f32 v3, v3, v7
	v_add_f32_e32 v4, v5, v13
	v_add_f32_e32 v2, v2, v6
	s_and_b32 s0, vcc_lo, s0
	s_delay_alu instid0(SALU_CYCLE_1) | instskip(NEXT) | instid1(SALU_CYCLE_1)
	s_and_saveexec_b32 s1, s0
	s_xor_b32 s0, exec_lo, s1
	s_cbranch_execz .LBB188_27
; %bb.26:
	v_mul_f32_e64 v5, v4, -v10
	v_mul_f32_e32 v6, v4, v9
	v_mul_f32_e64 v7, v3, -v10
	v_mul_f32_e32 v8, v3, v9
                                        ; implicit-def: $vgpr4
                                        ; implicit-def: $vgpr3
	s_delay_alu instid0(VALU_DEP_4) | instskip(NEXT) | instid1(VALU_DEP_4)
	v_fmac_f32_e32 v5, v9, v0
	v_dual_fmac_f32 v6, v10, v0 :: v_dual_lshlrev_b32 v11, 1, v1
	s_delay_alu instid0(VALU_DEP_4) | instskip(NEXT) | instid1(VALU_DEP_4)
	v_fmac_f32_e32 v7, v9, v2
	v_fmac_f32_e32 v8, v10, v2
                                        ; implicit-def: $vgpr9
                                        ; implicit-def: $vgpr10
                                        ; implicit-def: $vgpr2
	s_delay_alu instid0(VALU_DEP_3) | instskip(NEXT) | instid1(VALU_DEP_1)
	v_ashrrev_i32_e32 v12, 31, v11
	v_lshlrev_b64 v[11:12], 3, v[11:12]
	s_delay_alu instid0(VALU_DEP_1) | instskip(NEXT) | instid1(VALU_DEP_2)
	v_add_co_u32 v0, vcc_lo, s2, v11
	v_add_co_ci_u32_e32 v1, vcc_lo, s3, v12, vcc_lo
                                        ; implicit-def: $vgpr11
                                        ; implicit-def: $vgpr12
	global_store_b128 v[0:1], v[5:8], off
                                        ; implicit-def: $vgpr1
                                        ; implicit-def: $vgpr0
.LBB188_27:
	s_and_not1_saveexec_b32 s0, s0
	s_cbranch_execz .LBB188_29
; %bb.28:
	v_lshlrev_b32_e32 v5, 1, v1
	v_mul_f32_e64 v15, v4, -v10
	v_mul_f32_e32 v1, v4, v9
	v_mul_f32_e64 v4, v3, -v10
	v_mul_f32_e32 v3, v3, v9
	s_delay_alu instid0(VALU_DEP_4) | instskip(NEXT) | instid1(VALU_DEP_3)
	v_fmac_f32_e32 v15, v9, v0
	v_fmac_f32_e32 v4, v9, v2
	v_ashrrev_i32_e32 v6, 31, v5
	s_delay_alu instid0(VALU_DEP_4) | instskip(NEXT) | instid1(VALU_DEP_2)
	v_fmac_f32_e32 v3, v10, v2
	v_lshlrev_b64 v[5:6], 3, v[5:6]
	s_delay_alu instid0(VALU_DEP_1) | instskip(NEXT) | instid1(VALU_DEP_2)
	v_add_co_u32 v13, vcc_lo, s2, v5
	v_add_co_ci_u32_e32 v14, vcc_lo, s3, v6, vcc_lo
	global_load_b128 v[5:8], v[13:14], off
	s_waitcnt vmcnt(0)
	v_dual_fmac_f32 v4, v11, v7 :: v_dual_fmac_f32 v1, v10, v0
	v_fmac_f32_e32 v15, v11, v5
	v_fmac_f32_e32 v3, v12, v7
	s_delay_alu instid0(VALU_DEP_3) | instskip(NEXT) | instid1(VALU_DEP_4)
	v_fma_f32 v2, -v12, v8, v4
	v_fmac_f32_e32 v1, v12, v5
	s_delay_alu instid0(VALU_DEP_4) | instskip(NEXT) | instid1(VALU_DEP_4)
	v_fma_f32 v0, -v12, v6, v15
	v_fmac_f32_e32 v3, v11, v8
	s_delay_alu instid0(VALU_DEP_3)
	v_fmac_f32_e32 v1, v11, v6
	global_store_b128 v[13:14], v[0:3], off
.LBB188_29:
	s_nop 0
	s_sendmsg sendmsg(MSG_DEALLOC_VGPRS)
	s_endpgm
	.section	.rodata,"a",@progbits
	.p2align	6, 0x0
	.amdhsa_kernel _ZN9rocsparseL19gebsrmvn_2xn_kernelILj128ELj9ELj8E21rocsparse_complex_numIfEEEvi20rocsparse_direction_NS_24const_host_device_scalarIT2_EEPKiS8_PKS5_SA_S6_PS5_21rocsparse_index_base_b
		.amdhsa_group_segment_fixed_size 0
		.amdhsa_private_segment_fixed_size 0
		.amdhsa_kernarg_size 72
		.amdhsa_user_sgpr_count 15
		.amdhsa_user_sgpr_dispatch_ptr 0
		.amdhsa_user_sgpr_queue_ptr 0
		.amdhsa_user_sgpr_kernarg_segment_ptr 1
		.amdhsa_user_sgpr_dispatch_id 0
		.amdhsa_user_sgpr_private_segment_size 0
		.amdhsa_wavefront_size32 1
		.amdhsa_uses_dynamic_stack 0
		.amdhsa_enable_private_segment 0
		.amdhsa_system_sgpr_workgroup_id_x 1
		.amdhsa_system_sgpr_workgroup_id_y 0
		.amdhsa_system_sgpr_workgroup_id_z 0
		.amdhsa_system_sgpr_workgroup_info 0
		.amdhsa_system_vgpr_workitem_id 0
		.amdhsa_next_free_vgpr 72
		.amdhsa_next_free_sgpr 16
		.amdhsa_reserve_vcc 1
		.amdhsa_float_round_mode_32 0
		.amdhsa_float_round_mode_16_64 0
		.amdhsa_float_denorm_mode_32 3
		.amdhsa_float_denorm_mode_16_64 3
		.amdhsa_dx10_clamp 1
		.amdhsa_ieee_mode 1
		.amdhsa_fp16_overflow 0
		.amdhsa_workgroup_processor_mode 1
		.amdhsa_memory_ordered 1
		.amdhsa_forward_progress 0
		.amdhsa_shared_vgpr_count 0
		.amdhsa_exception_fp_ieee_invalid_op 0
		.amdhsa_exception_fp_denorm_src 0
		.amdhsa_exception_fp_ieee_div_zero 0
		.amdhsa_exception_fp_ieee_overflow 0
		.amdhsa_exception_fp_ieee_underflow 0
		.amdhsa_exception_fp_ieee_inexact 0
		.amdhsa_exception_int_div_zero 0
	.end_amdhsa_kernel
	.section	.text._ZN9rocsparseL19gebsrmvn_2xn_kernelILj128ELj9ELj8E21rocsparse_complex_numIfEEEvi20rocsparse_direction_NS_24const_host_device_scalarIT2_EEPKiS8_PKS5_SA_S6_PS5_21rocsparse_index_base_b,"axG",@progbits,_ZN9rocsparseL19gebsrmvn_2xn_kernelILj128ELj9ELj8E21rocsparse_complex_numIfEEEvi20rocsparse_direction_NS_24const_host_device_scalarIT2_EEPKiS8_PKS5_SA_S6_PS5_21rocsparse_index_base_b,comdat
.Lfunc_end188:
	.size	_ZN9rocsparseL19gebsrmvn_2xn_kernelILj128ELj9ELj8E21rocsparse_complex_numIfEEEvi20rocsparse_direction_NS_24const_host_device_scalarIT2_EEPKiS8_PKS5_SA_S6_PS5_21rocsparse_index_base_b, .Lfunc_end188-_ZN9rocsparseL19gebsrmvn_2xn_kernelILj128ELj9ELj8E21rocsparse_complex_numIfEEEvi20rocsparse_direction_NS_24const_host_device_scalarIT2_EEPKiS8_PKS5_SA_S6_PS5_21rocsparse_index_base_b
                                        ; -- End function
	.section	.AMDGPU.csdata,"",@progbits
; Kernel info:
; codeLenInByte = 3828
; NumSgprs: 18
; NumVgprs: 72
; ScratchSize: 0
; MemoryBound: 0
; FloatMode: 240
; IeeeMode: 1
; LDSByteSize: 0 bytes/workgroup (compile time only)
; SGPRBlocks: 2
; VGPRBlocks: 8
; NumSGPRsForWavesPerEU: 18
; NumVGPRsForWavesPerEU: 72
; Occupancy: 16
; WaveLimiterHint : 1
; COMPUTE_PGM_RSRC2:SCRATCH_EN: 0
; COMPUTE_PGM_RSRC2:USER_SGPR: 15
; COMPUTE_PGM_RSRC2:TRAP_HANDLER: 0
; COMPUTE_PGM_RSRC2:TGID_X_EN: 1
; COMPUTE_PGM_RSRC2:TGID_Y_EN: 0
; COMPUTE_PGM_RSRC2:TGID_Z_EN: 0
; COMPUTE_PGM_RSRC2:TIDIG_COMP_CNT: 0
	.section	.text._ZN9rocsparseL19gebsrmvn_2xn_kernelILj128ELj9ELj16E21rocsparse_complex_numIfEEEvi20rocsparse_direction_NS_24const_host_device_scalarIT2_EEPKiS8_PKS5_SA_S6_PS5_21rocsparse_index_base_b,"axG",@progbits,_ZN9rocsparseL19gebsrmvn_2xn_kernelILj128ELj9ELj16E21rocsparse_complex_numIfEEEvi20rocsparse_direction_NS_24const_host_device_scalarIT2_EEPKiS8_PKS5_SA_S6_PS5_21rocsparse_index_base_b,comdat
	.globl	_ZN9rocsparseL19gebsrmvn_2xn_kernelILj128ELj9ELj16E21rocsparse_complex_numIfEEEvi20rocsparse_direction_NS_24const_host_device_scalarIT2_EEPKiS8_PKS5_SA_S6_PS5_21rocsparse_index_base_b ; -- Begin function _ZN9rocsparseL19gebsrmvn_2xn_kernelILj128ELj9ELj16E21rocsparse_complex_numIfEEEvi20rocsparse_direction_NS_24const_host_device_scalarIT2_EEPKiS8_PKS5_SA_S6_PS5_21rocsparse_index_base_b
	.p2align	8
	.type	_ZN9rocsparseL19gebsrmvn_2xn_kernelILj128ELj9ELj16E21rocsparse_complex_numIfEEEvi20rocsparse_direction_NS_24const_host_device_scalarIT2_EEPKiS8_PKS5_SA_S6_PS5_21rocsparse_index_base_b,@function
_ZN9rocsparseL19gebsrmvn_2xn_kernelILj128ELj9ELj16E21rocsparse_complex_numIfEEEvi20rocsparse_direction_NS_24const_host_device_scalarIT2_EEPKiS8_PKS5_SA_S6_PS5_21rocsparse_index_base_b: ; @_ZN9rocsparseL19gebsrmvn_2xn_kernelILj128ELj9ELj16E21rocsparse_complex_numIfEEEvi20rocsparse_direction_NS_24const_host_device_scalarIT2_EEPKiS8_PKS5_SA_S6_PS5_21rocsparse_index_base_b
; %bb.0:
	s_clause 0x2
	s_load_b64 s[12:13], s[0:1], 0x40
	s_load_b64 s[4:5], s[0:1], 0x8
	;; [unrolled: 1-line block ×3, first 2 shown]
	s_waitcnt lgkmcnt(0)
	s_bitcmp1_b32 s13, 0
	v_mov_b32_e32 v9, s4
	s_cselect_b32 s6, -1, 0
	s_delay_alu instid0(SALU_CYCLE_1)
	s_and_b32 vcc_lo, exec_lo, s6
	s_xor_b32 s6, s6, -1
	s_cbranch_vccz .LBB189_15
; %bb.1:
	v_cndmask_b32_e64 v1, 0, 1, s6
	v_mov_b32_e32 v10, s5
	s_and_not1_b32 vcc_lo, exec_lo, s6
	s_cbranch_vccz .LBB189_16
.LBB189_2:
	s_delay_alu instid0(VALU_DEP_2)
	v_cmp_ne_u32_e32 vcc_lo, 1, v1
	v_mov_b32_e32 v11, s2
	s_cbranch_vccz .LBB189_17
.LBB189_3:
	v_cmp_ne_u32_e32 vcc_lo, 1, v1
	v_mov_b32_e32 v12, s3
	s_cbranch_vccnz .LBB189_5
.LBB189_4:
	v_dual_mov_b32 v1, s2 :: v_dual_mov_b32 v2, s3
	flat_load_b32 v12, v[1:2] offset:4
.LBB189_5:
	s_waitcnt vmcnt(0) lgkmcnt(0)
	v_cmp_eq_f32_e32 vcc_lo, 0, v9
	v_cmp_eq_f32_e64 s2, 0, v10
	s_delay_alu instid0(VALU_DEP_1)
	s_and_b32 s4, vcc_lo, s2
	s_mov_b32 s2, -1
	s_and_saveexec_b32 s3, s4
; %bb.6:
	v_cmp_neq_f32_e32 vcc_lo, 1.0, v11
	v_cmp_neq_f32_e64 s2, 0, v12
	s_delay_alu instid0(VALU_DEP_1) | instskip(NEXT) | instid1(SALU_CYCLE_1)
	s_or_b32 s2, vcc_lo, s2
	s_or_not1_b32 s2, s2, exec_lo
; %bb.7:
	s_or_b32 exec_lo, exec_lo, s3
	s_and_saveexec_b32 s3, s2
	s_cbranch_execz .LBB189_29
; %bb.8:
	s_load_b64 s[2:3], s[0:1], 0x0
	v_lshrrev_b32_e32 v1, 4, v0
	s_delay_alu instid0(VALU_DEP_1) | instskip(SKIP_1) | instid1(VALU_DEP_1)
	v_lshl_or_b32 v1, s15, 3, v1
	s_waitcnt lgkmcnt(0)
	v_cmp_gt_i32_e32 vcc_lo, s2, v1
	s_and_b32 exec_lo, exec_lo, vcc_lo
	s_cbranch_execz .LBB189_29
; %bb.9:
	s_load_b256 s[4:11], s[0:1], 0x10
	v_ashrrev_i32_e32 v2, 31, v1
	v_and_b32_e32 v0, 15, v0
	s_cmp_lg_u32 s3, 0
	s_delay_alu instid0(VALU_DEP_2) | instskip(SKIP_1) | instid1(VALU_DEP_1)
	v_lshlrev_b64 v[2:3], 2, v[1:2]
	s_waitcnt lgkmcnt(0)
	v_add_co_u32 v2, vcc_lo, s4, v2
	s_delay_alu instid0(VALU_DEP_2) | instskip(SKIP_4) | instid1(VALU_DEP_2)
	v_add_co_ci_u32_e32 v3, vcc_lo, s5, v3, vcc_lo
	global_load_b64 v[2:3], v[2:3], off
	s_waitcnt vmcnt(0)
	v_subrev_nc_u32_e32 v2, s12, v2
	v_subrev_nc_u32_e32 v15, s12, v3
	v_add_nc_u32_e32 v2, v2, v0
	s_delay_alu instid0(VALU_DEP_1)
	v_cmp_lt_i32_e64 s2, v2, v15
	s_cbranch_scc0 .LBB189_18
; %bb.10:
	v_dual_mov_b32 v13, 0 :: v_dual_mov_b32 v16, 0
	v_dual_mov_b32 v17, 0 :: v_dual_mov_b32 v14, 0
	s_mov_b32 s3, 0
	s_and_saveexec_b32 s4, s2
	s_cbranch_execz .LBB189_14
; %bb.11:
	v_mad_u64_u32 v[3:4], null, v2, 18, 16
	v_dual_mov_b32 v6, 0 :: v_dual_mov_b32 v7, v2
	v_dual_mov_b32 v13, 0 :: v_dual_mov_b32 v16, 0
	;; [unrolled: 1-line block ×3, first 2 shown]
	s_mov_b32 s5, 0
.LBB189_12:                             ; =>This Inner Loop Header: Depth=1
	s_delay_alu instid0(VALU_DEP_3) | instskip(NEXT) | instid1(VALU_DEP_1)
	v_ashrrev_i32_e32 v8, 31, v7
	v_lshlrev_b64 v[4:5], 2, v[7:8]
	s_delay_alu instid0(VALU_DEP_1) | instskip(NEXT) | instid1(VALU_DEP_2)
	v_add_co_u32 v4, vcc_lo, s6, v4
	v_add_co_ci_u32_e32 v5, vcc_lo, s7, v5, vcc_lo
	global_load_b32 v8, v[4:5], off
	v_dual_mov_b32 v4, v6 :: v_dual_add_nc_u32 v5, -16, v3
	s_delay_alu instid0(VALU_DEP_1) | instskip(SKIP_1) | instid1(VALU_DEP_3)
	v_lshlrev_b64 v[18:19], 3, v[5:6]
	v_add_nc_u32_e32 v5, -14, v3
	v_lshlrev_b64 v[20:21], 3, v[3:4]
	s_delay_alu instid0(VALU_DEP_2) | instskip(NEXT) | instid1(VALU_DEP_4)
	v_lshlrev_b64 v[4:5], 3, v[5:6]
	v_add_co_u32 v18, vcc_lo, s8, v18
	v_add_co_ci_u32_e32 v19, vcc_lo, s9, v19, vcc_lo
	s_delay_alu instid0(VALU_DEP_4)
	v_add_co_u32 v50, vcc_lo, s8, v20
	v_add_co_ci_u32_e32 v51, vcc_lo, s9, v21, vcc_lo
	v_add_co_u32 v4, vcc_lo, s8, v4
	v_add_co_ci_u32_e32 v5, vcc_lo, s9, v5, vcc_lo
	s_clause 0x1
	global_load_b128 v[18:21], v[18:19], off
	global_load_b128 v[22:25], v[4:5], off
	v_mov_b32_e32 v47, v6
	s_waitcnt vmcnt(2)
	v_subrev_nc_u32_e32 v4, s12, v8
	s_delay_alu instid0(VALU_DEP_1) | instskip(NEXT) | instid1(VALU_DEP_1)
	v_lshl_add_u32 v46, v4, 3, v4
	v_lshlrev_b64 v[26:27], 3, v[46:47]
	s_delay_alu instid0(VALU_DEP_1) | instskip(NEXT) | instid1(VALU_DEP_2)
	v_add_co_u32 v26, vcc_lo, s10, v26
	v_add_co_ci_u32_e32 v27, vcc_lo, s11, v27, vcc_lo
	global_load_b64 v[54:55], v[26:27], off
	v_add_nc_u32_e32 v5, 1, v46
	s_delay_alu instid0(VALU_DEP_1) | instskip(NEXT) | instid1(VALU_DEP_1)
	v_lshlrev_b64 v[28:29], 3, v[5:6]
	v_add_co_u32 v28, vcc_lo, s10, v28
	s_delay_alu instid0(VALU_DEP_2)
	v_add_co_ci_u32_e32 v29, vcc_lo, s11, v29, vcc_lo
	global_load_b64 v[56:57], v[28:29], off
	s_waitcnt vmcnt(1)
	v_fmac_f32_e32 v16, v18, v54
	v_fmac_f32_e32 v17, v20, v54
	v_fmac_f32_e32 v14, v21, v54
	s_delay_alu instid0(VALU_DEP_3) | instskip(SKIP_1) | instid1(VALU_DEP_4)
	v_fma_f32 v8, -v19, v55, v16
	v_add_nc_u32_e32 v5, -12, v3
	v_fma_f32 v16, -v21, v55, v17
	s_delay_alu instid0(VALU_DEP_4)
	v_fmac_f32_e32 v14, v20, v55
	s_waitcnt vmcnt(0)
	v_fmac_f32_e32 v8, v22, v56
	v_lshlrev_b64 v[30:31], 3, v[5:6]
	v_dual_fmac_f32 v16, v24, v56 :: v_dual_add_nc_u32 v5, 2, v46
	v_fmac_f32_e32 v14, v25, v56
	s_delay_alu instid0(VALU_DEP_4) | instskip(NEXT) | instid1(VALU_DEP_3)
	v_fma_f32 v8, -v23, v57, v8
	v_lshlrev_b64 v[26:27], 3, v[5:6]
	v_add_co_u32 v28, vcc_lo, s8, v30
	v_add_nc_u32_e32 v5, -10, v3
	v_add_co_ci_u32_e32 v29, vcc_lo, s9, v31, vcc_lo
	s_delay_alu instid0(VALU_DEP_4) | instskip(SKIP_1) | instid1(VALU_DEP_4)
	v_add_co_u32 v32, vcc_lo, s10, v26
	v_add_co_ci_u32_e32 v33, vcc_lo, s11, v27, vcc_lo
	v_lshlrev_b64 v[30:31], 3, v[5:6]
	v_dual_fmac_f32 v14, v24, v57 :: v_dual_add_nc_u32 v5, 3, v46
	global_load_b128 v[26:29], v[28:29], off
	global_load_b64 v[58:59], v[32:33], off
	v_fma_f32 v16, -v25, v57, v16
	v_lshlrev_b64 v[34:35], 3, v[5:6]
	v_add_co_u32 v30, vcc_lo, s8, v30
	v_add_co_ci_u32_e32 v31, vcc_lo, s9, v31, vcc_lo
	s_delay_alu instid0(VALU_DEP_3) | instskip(NEXT) | instid1(VALU_DEP_4)
	v_add_co_u32 v34, vcc_lo, s10, v34
	v_add_co_ci_u32_e32 v35, vcc_lo, s11, v35, vcc_lo
	global_load_b64 v[60:61], v[34:35], off
	global_load_b128 v[30:33], v[30:31], off
	s_waitcnt vmcnt(2)
	v_dual_fmac_f32 v8, v26, v58 :: v_dual_add_nc_u32 v5, -8, v3
	s_delay_alu instid0(VALU_DEP_1) | instskip(SKIP_4) | instid1(VALU_DEP_4)
	v_lshlrev_b64 v[36:37], 3, v[5:6]
	v_fmac_f32_e32 v14, v29, v58
	v_add_nc_u32_e32 v5, 4, v46
	v_fmac_f32_e32 v16, v28, v58
	v_fma_f32 v8, -v27, v59, v8
	v_fmac_f32_e32 v14, v28, v59
	s_delay_alu instid0(VALU_DEP_4) | instskip(SKIP_3) | instid1(VALU_DEP_3)
	v_lshlrev_b64 v[38:39], 3, v[5:6]
	v_add_nc_u32_e32 v5, -6, v3
	v_add_co_u32 v34, vcc_lo, s8, v36
	v_add_co_ci_u32_e32 v35, vcc_lo, s9, v37, vcc_lo
	v_lshlrev_b64 v[40:41], 3, v[5:6]
	s_waitcnt vmcnt(0)
	v_dual_fmac_f32 v8, v30, v60 :: v_dual_add_nc_u32 v5, 5, v46
	v_add_co_u32 v38, vcc_lo, s10, v38
	v_add_co_ci_u32_e32 v39, vcc_lo, s11, v39, vcc_lo
	s_delay_alu instid0(VALU_DEP_3)
	v_lshlrev_b64 v[42:43], 3, v[5:6]
	global_load_b128 v[34:37], v[34:35], off
	v_fma_f32 v16, -v29, v59, v16
	global_load_b64 v[62:63], v[38:39], off
	v_add_co_u32 v38, vcc_lo, s8, v40
	v_add_co_ci_u32_e32 v39, vcc_lo, s9, v41, vcc_lo
	v_add_co_u32 v42, vcc_lo, s10, v42
	v_add_co_ci_u32_e32 v43, vcc_lo, s11, v43, vcc_lo
	global_load_b128 v[38:41], v[38:39], off
	v_dual_fmac_f32 v16, v32, v60 :: v_dual_add_nc_u32 v5, -4, v3
	global_load_b64 v[64:65], v[42:43], off
	v_fmac_f32_e32 v14, v33, v60
	v_fma_f32 v8, -v31, v61, v8
	v_lshlrev_b64 v[44:45], 3, v[5:6]
	v_add_nc_u32_e32 v5, 6, v46
	v_fma_f32 v16, -v33, v61, v16
	v_fmac_f32_e32 v14, v32, v61
	s_delay_alu instid0(VALU_DEP_3) | instskip(SKIP_3) | instid1(VALU_DEP_4)
	v_lshlrev_b64 v[47:48], 3, v[5:6]
	v_add_co_u32 v42, vcc_lo, s8, v44
	v_add_co_ci_u32_e32 v43, vcc_lo, s9, v45, vcc_lo
	v_add_nc_u32_e32 v5, -2, v3
	v_add_co_u32 v47, vcc_lo, s10, v47
	v_add_co_ci_u32_e32 v48, vcc_lo, s11, v48, vcc_lo
	global_load_b128 v[42:45], v[42:43], off
	v_lshlrev_b64 v[52:53], 3, v[5:6]
	v_add_nc_u32_e32 v3, 0x120, v3
	global_load_b64 v[68:69], v[47:48], off
	s_waitcnt vmcnt(4)
	v_fmac_f32_e32 v16, v36, v62
	v_fmac_f32_e32 v14, v37, v62
	v_add_nc_u32_e32 v5, 7, v46
	v_fmac_f32_e32 v8, v34, v62
	s_delay_alu instid0(VALU_DEP_4) | instskip(NEXT) | instid1(VALU_DEP_4)
	v_fma_f32 v16, -v37, v63, v16
	v_dual_fmac_f32 v14, v36, v63 :: v_dual_fmac_f32 v13, v19, v54
	s_delay_alu instid0(VALU_DEP_4) | instskip(NEXT) | instid1(VALU_DEP_4)
	v_lshlrev_b64 v[66:67], 3, v[5:6]
	v_fma_f32 v8, -v35, v63, v8
	v_add_nc_u32_e32 v5, 8, v46
	v_add_co_u32 v46, vcc_lo, s8, v52
	s_waitcnt vmcnt(2)
	v_fmac_f32_e32 v16, v40, v64
	v_fmac_f32_e32 v8, v38, v64
	;; [unrolled: 1-line block ×3, first 2 shown]
	v_add_co_ci_u32_e32 v47, vcc_lo, s9, v53, vcc_lo
	v_add_co_u32 v52, vcc_lo, s10, v66
	s_delay_alu instid0(VALU_DEP_3)
	v_fmac_f32_e32 v13, v23, v56
	v_add_co_ci_u32_e32 v53, vcc_lo, s11, v67, vcc_lo
	global_load_b128 v[46:49], v[46:47], off
	global_load_b64 v[66:67], v[52:53], off
	v_lshlrev_b64 v[4:5], 3, v[5:6]
	v_fma_f32 v16, -v41, v65, v16
	v_dual_fmac_f32 v13, v22, v57 :: v_dual_fmac_f32 v14, v41, v64
	v_fma_f32 v8, -v39, v65, v8
	s_delay_alu instid0(VALU_DEP_4)
	v_add_co_u32 v4, vcc_lo, s10, v4
	s_waitcnt vmcnt(2)
	v_fmac_f32_e32 v16, v44, v68
	v_add_co_ci_u32_e32 v5, vcc_lo, s11, v5, vcc_lo
	global_load_b128 v[50:53], v[50:51], off
	global_load_b64 v[4:5], v[4:5], off
	v_dual_fmac_f32 v13, v27, v58 :: v_dual_fmac_f32 v14, v40, v65
	v_fma_f32 v16, -v45, v69, v16
	v_fmac_f32_e32 v8, v42, v68
	s_delay_alu instid0(VALU_DEP_3) | instskip(NEXT) | instid1(VALU_DEP_2)
	v_dual_fmac_f32 v13, v26, v59 :: v_dual_fmac_f32 v14, v45, v68
	v_fma_f32 v8, -v43, v69, v8
	s_delay_alu instid0(VALU_DEP_2) | instskip(SKIP_1) | instid1(VALU_DEP_1)
	v_dual_fmac_f32 v13, v31, v60 :: v_dual_fmac_f32 v14, v44, v69
	s_waitcnt vmcnt(2)
	v_dual_fmac_f32 v13, v30, v61 :: v_dual_fmac_f32 v16, v48, v66
	s_delay_alu instid0(VALU_DEP_1) | instskip(SKIP_2) | instid1(VALU_DEP_4)
	v_fmac_f32_e32 v13, v35, v62
	v_fmac_f32_e32 v8, v46, v66
	;; [unrolled: 1-line block ×3, first 2 shown]
	v_fma_f32 v17, -v49, v67, v16
	s_delay_alu instid0(VALU_DEP_4) | instskip(NEXT) | instid1(VALU_DEP_4)
	v_fmac_f32_e32 v13, v34, v63
	v_fma_f32 v8, -v47, v67, v8
	s_delay_alu instid0(VALU_DEP_4) | instskip(SKIP_1) | instid1(VALU_DEP_4)
	v_fmac_f32_e32 v14, v48, v67
	v_add_nc_u32_e32 v7, 16, v7
	v_fmac_f32_e32 v13, v39, v64
	s_waitcnt vmcnt(0)
	v_fmac_f32_e32 v17, v52, v4
	s_delay_alu instid0(VALU_DEP_2) | instskip(SKIP_2) | instid1(VALU_DEP_4)
	v_dual_fmac_f32 v14, v53, v4 :: v_dual_fmac_f32 v13, v38, v65
	v_cmp_ge_i32_e32 vcc_lo, v7, v15
	v_fmac_f32_e32 v8, v50, v4
	v_fma_f32 v17, -v53, v5, v17
	s_delay_alu instid0(VALU_DEP_4) | instskip(SKIP_1) | instid1(VALU_DEP_3)
	v_dual_fmac_f32 v14, v52, v5 :: v_dual_fmac_f32 v13, v43, v68
	s_or_b32 s5, vcc_lo, s5
	v_fma_f32 v16, -v51, v5, v8
	s_delay_alu instid0(VALU_DEP_2) | instskip(NEXT) | instid1(VALU_DEP_1)
	v_fmac_f32_e32 v13, v42, v69
	v_fmac_f32_e32 v13, v47, v66
	s_delay_alu instid0(VALU_DEP_1) | instskip(NEXT) | instid1(VALU_DEP_1)
	v_fmac_f32_e32 v13, v46, v67
	v_fmac_f32_e32 v13, v51, v4
	s_delay_alu instid0(VALU_DEP_1)
	v_fmac_f32_e32 v13, v50, v5
	s_and_not1_b32 exec_lo, exec_lo, s5
	s_cbranch_execnz .LBB189_12
; %bb.13:
	s_or_b32 exec_lo, exec_lo, s5
.LBB189_14:
	s_delay_alu instid0(SALU_CYCLE_1) | instskip(NEXT) | instid1(SALU_CYCLE_1)
	s_or_b32 exec_lo, exec_lo, s4
	s_and_not1_b32 vcc_lo, exec_lo, s3
	s_cbranch_vccz .LBB189_19
	s_branch .LBB189_24
.LBB189_15:
	v_dual_mov_b32 v1, s4 :: v_dual_mov_b32 v2, s5
	flat_load_b32 v9, v[1:2]
	v_cndmask_b32_e64 v1, 0, 1, s6
	v_mov_b32_e32 v10, s5
	s_and_not1_b32 vcc_lo, exec_lo, s6
	s_cbranch_vccnz .LBB189_2
.LBB189_16:
	v_dual_mov_b32 v2, s4 :: v_dual_mov_b32 v3, s5
	flat_load_b32 v10, v[2:3] offset:4
	v_cmp_ne_u32_e32 vcc_lo, 1, v1
	v_mov_b32_e32 v11, s2
	s_cbranch_vccnz .LBB189_3
.LBB189_17:
	v_dual_mov_b32 v2, s2 :: v_dual_mov_b32 v3, s3
	flat_load_b32 v11, v[2:3]
	v_cmp_ne_u32_e32 vcc_lo, 1, v1
	v_mov_b32_e32 v12, s3
	s_cbranch_vccz .LBB189_4
	s_branch .LBB189_5
.LBB189_18:
                                        ; implicit-def: $vgpr13
                                        ; implicit-def: $vgpr16
                                        ; implicit-def: $vgpr17
                                        ; implicit-def: $vgpr14
.LBB189_19:
	v_dual_mov_b32 v13, 0 :: v_dual_mov_b32 v16, 0
	v_dual_mov_b32 v17, 0 :: v_dual_mov_b32 v14, 0
	s_delay_alu instid0(VALU_DEP_3)
	s_and_saveexec_b32 s3, s2
	s_cbranch_execz .LBB189_23
; %bb.20:
	v_mad_u64_u32 v[4:5], null, v2, 18, 17
	v_dual_mov_b32 v7, 0 :: v_dual_mov_b32 v16, 0
	v_dual_mov_b32 v13, 0 :: v_dual_mov_b32 v14, 0
	v_mov_b32_e32 v17, 0
	s_mov_b32 s2, 0
.LBB189_21:                             ; =>This Inner Loop Header: Depth=1
	v_ashrrev_i32_e32 v3, 31, v2
	v_dual_mov_b32 v23, v7 :: v_dual_add_nc_u32 v18, -8, v4
	s_delay_alu instid0(VALU_DEP_2) | instskip(SKIP_1) | instid1(VALU_DEP_2)
	v_lshlrev_b64 v[5:6], 2, v[2:3]
	v_add_nc_u32_e32 v2, 16, v2
	v_add_co_u32 v5, vcc_lo, s6, v5
	s_delay_alu instid0(VALU_DEP_3) | instskip(SKIP_3) | instid1(VALU_DEP_2)
	v_add_co_ci_u32_e32 v6, vcc_lo, s7, v6, vcc_lo
	global_load_b32 v3, v[5:6], off
	v_subrev_nc_u32_e32 v6, 17, v4
	v_mov_b32_e32 v5, v7
	v_lshlrev_b64 v[20:21], 3, v[6:7]
	s_delay_alu instid0(VALU_DEP_2) | instskip(NEXT) | instid1(VALU_DEP_2)
	v_lshlrev_b64 v[5:6], 3, v[4:5]
	v_add_co_u32 v20, vcc_lo, s8, v20
	s_delay_alu instid0(VALU_DEP_3) | instskip(SKIP_2) | instid1(VALU_DEP_1)
	v_add_co_ci_u32_e32 v21, vcc_lo, s9, v21, vcc_lo
	s_waitcnt vmcnt(0)
	v_subrev_nc_u32_e32 v3, s12, v3
	v_lshl_add_u32 v22, v3, 3, v3
	v_mov_b32_e32 v19, v7
	s_delay_alu instid0(VALU_DEP_2) | instskip(NEXT) | instid1(VALU_DEP_2)
	v_lshlrev_b64 v[28:29], 3, v[22:23]
	v_lshlrev_b64 v[18:19], 3, v[18:19]
	s_delay_alu instid0(VALU_DEP_1) | instskip(NEXT) | instid1(VALU_DEP_2)
	v_add_co_u32 v24, vcc_lo, s8, v18
	v_add_co_ci_u32_e32 v25, vcc_lo, s9, v19, vcc_lo
	v_add_co_u32 v5, vcc_lo, s8, v5
	v_add_co_ci_u32_e32 v6, vcc_lo, s9, v6, vcc_lo
	;; [unrolled: 2-line block ×3, first 2 shown]
	s_clause 0x2
	global_load_b128 v[18:21], v[20:21], off
	global_load_b64 v[24:25], v[24:25], off
	global_load_b64 v[26:27], v[5:6], off
	v_add_nc_u32_e32 v6, 1, v22
	global_load_b64 v[28:29], v[28:29], off
	v_lshlrev_b64 v[30:31], 3, v[6:7]
	v_add_nc_u32_e32 v6, -7, v4
	s_delay_alu instid0(VALU_DEP_2) | instskip(NEXT) | instid1(VALU_DEP_3)
	v_add_co_u32 v30, vcc_lo, s10, v30
	v_add_co_ci_u32_e32 v31, vcc_lo, s11, v31, vcc_lo
	s_delay_alu instid0(VALU_DEP_3)
	v_lshlrev_b64 v[32:33], 3, v[6:7]
	global_load_b64 v[30:31], v[30:31], off
	v_add_co_u32 v32, vcc_lo, s8, v32
	v_add_co_ci_u32_e32 v33, vcc_lo, s9, v33, vcc_lo
	global_load_b64 v[32:33], v[32:33], off
	s_waitcnt vmcnt(2)
	v_fmac_f32_e32 v14, v25, v28
	v_fmac_f32_e32 v13, v19, v28
	;; [unrolled: 1-line block ×4, first 2 shown]
	s_delay_alu instid0(VALU_DEP_4) | instskip(NEXT) | instid1(VALU_DEP_4)
	v_fmac_f32_e32 v14, v24, v29
	v_dual_fmac_f32 v13, v18, v29 :: v_dual_add_nc_u32 v6, -15, v4
	s_delay_alu instid0(VALU_DEP_4) | instskip(NEXT) | instid1(VALU_DEP_4)
	v_fma_f32 v3, -v19, v29, v16
	v_fma_f32 v8, -v25, v29, v17
	s_delay_alu instid0(VALU_DEP_3) | instskip(SKIP_3) | instid1(VALU_DEP_2)
	v_lshlrev_b64 v[34:35], 3, v[6:7]
	v_add_nc_u32_e32 v6, 2, v22
	s_waitcnt vmcnt(1)
	v_fmac_f32_e32 v3, v20, v30
	v_lshlrev_b64 v[36:37], 3, v[6:7]
	v_add_nc_u32_e32 v6, -6, v4
	v_add_co_u32 v34, vcc_lo, s8, v34
	v_add_co_ci_u32_e32 v35, vcc_lo, s9, v35, vcc_lo
	s_delay_alu instid0(VALU_DEP_3) | instskip(SKIP_3) | instid1(VALU_DEP_3)
	v_lshlrev_b64 v[38:39], 3, v[6:7]
	v_dual_fmac_f32 v13, v21, v30 :: v_dual_add_nc_u32 v6, -14, v4
	v_add_co_u32 v36, vcc_lo, s10, v36
	v_add_co_ci_u32_e32 v37, vcc_lo, s11, v37, vcc_lo
	v_lshlrev_b64 v[40:41], 3, v[6:7]
	s_delay_alu instid0(VALU_DEP_4) | instskip(SKIP_2) | instid1(VALU_DEP_3)
	v_dual_fmac_f32 v13, v20, v31 :: v_dual_add_nc_u32 v6, 3, v22
	v_add_co_u32 v38, vcc_lo, s8, v38
	v_add_co_ci_u32_e32 v39, vcc_lo, s9, v39, vcc_lo
	v_lshlrev_b64 v[42:43], 3, v[6:7]
	global_load_b64 v[34:35], v[34:35], off
	global_load_b64 v[36:37], v[36:37], off
	v_add_co_u32 v40, vcc_lo, s8, v40
	v_add_co_ci_u32_e32 v41, vcc_lo, s9, v41, vcc_lo
	v_add_co_u32 v42, vcc_lo, s10, v42
	v_add_co_ci_u32_e32 v43, vcc_lo, s11, v43, vcc_lo
	s_clause 0x1
	global_load_b64 v[38:39], v[38:39], off
	global_load_b64 v[40:41], v[40:41], off
	v_fma_f32 v3, -v21, v31, v3
	global_load_b64 v[42:43], v[42:43], off
	s_waitcnt vmcnt(5)
	v_fmac_f32_e32 v8, v32, v30
	s_waitcnt vmcnt(3)
	v_dual_fmac_f32 v14, v33, v30 :: v_dual_fmac_f32 v13, v35, v36
	v_add_nc_u32_e32 v6, -5, v4
	v_fmac_f32_e32 v3, v34, v36
	v_fma_f32 v8, -v33, v31, v8
	s_delay_alu instid0(VALU_DEP_4) | instskip(NEXT) | instid1(VALU_DEP_4)
	v_fmac_f32_e32 v13, v34, v37
	v_lshlrev_b64 v[44:45], 3, v[6:7]
	s_delay_alu instid0(VALU_DEP_4) | instskip(SKIP_2) | instid1(VALU_DEP_2)
	v_fma_f32 v3, -v35, v37, v3
	v_add_nc_u32_e32 v6, -13, v4
	s_waitcnt vmcnt(0)
	v_dual_fmac_f32 v8, v38, v36 :: v_dual_fmac_f32 v3, v40, v42
	s_delay_alu instid0(VALU_DEP_2) | instskip(SKIP_4) | instid1(VALU_DEP_4)
	v_lshlrev_b64 v[46:47], 3, v[6:7]
	v_fmac_f32_e32 v13, v41, v42
	v_add_nc_u32_e32 v6, 4, v22
	v_add_co_u32 v44, vcc_lo, s8, v44
	v_add_co_ci_u32_e32 v45, vcc_lo, s9, v45, vcc_lo
	v_fmac_f32_e32 v13, v40, v43
	s_delay_alu instid0(VALU_DEP_4)
	v_lshlrev_b64 v[48:49], 3, v[6:7]
	v_add_co_u32 v46, vcc_lo, s8, v46
	v_add_co_ci_u32_e32 v47, vcc_lo, s9, v47, vcc_lo
	global_load_b64 v[44:45], v[44:45], off
	v_add_co_u32 v48, vcc_lo, s10, v48
	global_load_b64 v[46:47], v[46:47], off
	v_add_co_ci_u32_e32 v49, vcc_lo, s11, v49, vcc_lo
	v_fma_f32 v3, -v41, v43, v3
	v_fma_f32 v8, -v39, v37, v8
	global_load_b64 v[48:49], v[48:49], off
	s_waitcnt vmcnt(0)
	v_dual_fmac_f32 v14, v32, v31 :: v_dual_fmac_f32 v3, v46, v48
	s_delay_alu instid0(VALU_DEP_1) | instskip(SKIP_2) | instid1(VALU_DEP_4)
	v_fmac_f32_e32 v14, v39, v36
	v_fmac_f32_e32 v13, v47, v48
	v_add_nc_u32_e32 v6, -4, v4
	v_fma_f32 v3, -v47, v49, v3
	s_delay_alu instid0(VALU_DEP_4) | instskip(NEXT) | instid1(VALU_DEP_4)
	v_fmac_f32_e32 v14, v38, v37
	v_fmac_f32_e32 v13, v46, v49
	s_delay_alu instid0(VALU_DEP_4) | instskip(SKIP_1) | instid1(VALU_DEP_4)
	v_lshlrev_b64 v[50:51], 3, v[6:7]
	v_add_nc_u32_e32 v6, -12, v4
	v_fmac_f32_e32 v14, v45, v42
	s_delay_alu instid0(VALU_DEP_2) | instskip(NEXT) | instid1(VALU_DEP_4)
	v_lshlrev_b64 v[52:53], 3, v[6:7]
	v_add_co_u32 v50, vcc_lo, s8, v50
	v_add_co_ci_u32_e32 v51, vcc_lo, s9, v51, vcc_lo
	s_delay_alu instid0(VALU_DEP_4) | instskip(NEXT) | instid1(VALU_DEP_4)
	v_fmac_f32_e32 v14, v44, v43
	v_add_co_u32 v52, vcc_lo, s8, v52
	v_add_co_ci_u32_e32 v53, vcc_lo, s9, v53, vcc_lo
	s_clause 0x1
	global_load_b64 v[50:51], v[50:51], off
	global_load_b64 v[52:53], v[52:53], off
	v_add_nc_u32_e32 v6, 5, v22
	s_delay_alu instid0(VALU_DEP_1) | instskip(NEXT) | instid1(VALU_DEP_1)
	v_lshlrev_b64 v[54:55], 3, v[6:7]
	v_add_co_u32 v54, vcc_lo, s10, v54
	s_delay_alu instid0(VALU_DEP_2)
	v_add_co_ci_u32_e32 v55, vcc_lo, s11, v55, vcc_lo
	global_load_b64 v[54:55], v[54:55], off
	v_add_nc_u32_e32 v6, -3, v4
	s_waitcnt vmcnt(2)
	v_fmac_f32_e32 v14, v51, v48
	s_waitcnt vmcnt(0)
	s_delay_alu instid0(VALU_DEP_1) | instskip(SKIP_2) | instid1(VALU_DEP_3)
	v_dual_fmac_f32 v14, v50, v49 :: v_dual_fmac_f32 v13, v53, v54
	v_lshlrev_b64 v[56:57], 3, v[6:7]
	v_dual_fmac_f32 v3, v52, v54 :: v_dual_add_nc_u32 v6, -11, v4
	v_fmac_f32_e32 v13, v52, v55
	s_delay_alu instid0(VALU_DEP_2) | instskip(NEXT) | instid1(VALU_DEP_4)
	v_lshlrev_b64 v[58:59], 3, v[6:7]
	v_add_co_u32 v56, vcc_lo, s8, v56
	v_add_co_ci_u32_e32 v57, vcc_lo, s9, v57, vcc_lo
	v_fma_f32 v3, -v53, v55, v3
	s_delay_alu instid0(VALU_DEP_4)
	v_add_co_u32 v58, vcc_lo, s8, v58
	v_add_co_ci_u32_e32 v59, vcc_lo, s9, v59, vcc_lo
	s_clause 0x1
	global_load_b64 v[56:57], v[56:57], off
	global_load_b64 v[58:59], v[58:59], off
	v_add_nc_u32_e32 v6, 6, v22
	s_delay_alu instid0(VALU_DEP_1) | instskip(NEXT) | instid1(VALU_DEP_1)
	v_lshlrev_b64 v[60:61], 3, v[6:7]
	v_add_co_u32 v60, vcc_lo, s10, v60
	s_delay_alu instid0(VALU_DEP_2)
	v_add_co_ci_u32_e32 v61, vcc_lo, s11, v61, vcc_lo
	global_load_b64 v[60:61], v[60:61], off
	v_fmac_f32_e32 v8, v44, v42
	s_waitcnt vmcnt(2)
	v_fmac_f32_e32 v14, v57, v54
	s_waitcnt vmcnt(0)
	s_delay_alu instid0(VALU_DEP_1) | instskip(SKIP_2) | instid1(VALU_DEP_3)
	v_dual_fmac_f32 v14, v56, v55 :: v_dual_fmac_f32 v13, v59, v60
	v_fmac_f32_e32 v3, v58, v60
	v_fma_f32 v8, -v45, v43, v8
	v_fmac_f32_e32 v13, v58, v61
	s_delay_alu instid0(VALU_DEP_3) | instskip(SKIP_1) | instid1(VALU_DEP_4)
	v_fma_f32 v3, -v59, v61, v3
	v_add_nc_u32_e32 v6, -2, v4
	v_fmac_f32_e32 v8, v50, v48
	s_delay_alu instid0(VALU_DEP_2) | instskip(SKIP_1) | instid1(VALU_DEP_3)
	v_lshlrev_b64 v[62:63], 3, v[6:7]
	v_add_nc_u32_e32 v6, -10, v4
	v_fma_f32 v8, -v51, v49, v8
	s_delay_alu instid0(VALU_DEP_2) | instskip(NEXT) | instid1(VALU_DEP_4)
	v_lshlrev_b64 v[64:65], 3, v[6:7]
	v_add_co_u32 v62, vcc_lo, s8, v62
	v_add_co_ci_u32_e32 v63, vcc_lo, s9, v63, vcc_lo
	s_delay_alu instid0(VALU_DEP_4) | instskip(NEXT) | instid1(VALU_DEP_4)
	v_fmac_f32_e32 v8, v56, v54
	v_add_co_u32 v64, vcc_lo, s8, v64
	v_add_co_ci_u32_e32 v65, vcc_lo, s9, v65, vcc_lo
	global_load_b64 v[62:63], v[62:63], off
	v_fma_f32 v8, -v57, v55, v8
	global_load_b64 v[64:65], v[64:65], off
	v_add_nc_u32_e32 v6, 7, v22
	s_delay_alu instid0(VALU_DEP_1) | instskip(NEXT) | instid1(VALU_DEP_1)
	v_lshlrev_b64 v[66:67], 3, v[6:7]
	v_add_co_u32 v66, vcc_lo, s10, v66
	s_delay_alu instid0(VALU_DEP_2) | instskip(SKIP_4) | instid1(VALU_DEP_2)
	v_add_co_ci_u32_e32 v67, vcc_lo, s11, v67, vcc_lo
	global_load_b64 v[66:67], v[66:67], off
	s_waitcnt vmcnt(2)
	v_fmac_f32_e32 v8, v62, v60
	v_fmac_f32_e32 v14, v63, v60
	v_fma_f32 v8, -v63, v61, v8
	s_waitcnt vmcnt(0)
	s_delay_alu instid0(VALU_DEP_2) | instskip(SKIP_1) | instid1(VALU_DEP_2)
	v_dual_fmac_f32 v14, v62, v61 :: v_dual_fmac_f32 v3, v64, v66
	v_fmac_f32_e32 v13, v65, v66
	v_fma_f32 v3, -v65, v67, v3
	s_delay_alu instid0(VALU_DEP_2) | instskip(NEXT) | instid1(VALU_DEP_1)
	v_dual_fmac_f32 v13, v64, v67 :: v_dual_add_nc_u32 v6, -1, v4
	v_lshlrev_b64 v[68:69], 3, v[6:7]
	v_add_nc_u32_e32 v6, -9, v4
	v_add_nc_u32_e32 v4, 0x120, v4
	s_delay_alu instid0(VALU_DEP_2) | instskip(SKIP_3) | instid1(VALU_DEP_3)
	v_lshlrev_b64 v[70:71], 3, v[6:7]
	v_add_nc_u32_e32 v6, 8, v22
	v_add_co_u32 v22, vcc_lo, s8, v68
	v_add_co_ci_u32_e32 v23, vcc_lo, s9, v69, vcc_lo
	v_lshlrev_b64 v[5:6], 3, v[6:7]
	v_add_co_u32 v68, vcc_lo, s8, v70
	global_load_b64 v[22:23], v[22:23], off
	v_add_co_ci_u32_e32 v69, vcc_lo, s9, v71, vcc_lo
	v_add_co_u32 v5, vcc_lo, s10, v5
	v_add_co_ci_u32_e32 v6, vcc_lo, s11, v6, vcc_lo
	global_load_b64 v[68:69], v[68:69], off
	global_load_b64 v[5:6], v[5:6], off
	v_cmp_ge_i32_e32 vcc_lo, v2, v15
	s_or_b32 s2, vcc_lo, s2
	s_waitcnt vmcnt(2)
	v_fmac_f32_e32 v8, v22, v66
	v_fmac_f32_e32 v14, v23, v66
	s_delay_alu instid0(VALU_DEP_2) | instskip(SKIP_1) | instid1(VALU_DEP_2)
	v_fma_f32 v8, -v23, v67, v8
	s_waitcnt vmcnt(0)
	v_dual_fmac_f32 v14, v22, v67 :: v_dual_fmac_f32 v13, v69, v5
	v_fmac_f32_e32 v3, v68, v5
	s_delay_alu instid0(VALU_DEP_3) | instskip(NEXT) | instid1(VALU_DEP_3)
	v_fmac_f32_e32 v8, v26, v5
	v_dual_fmac_f32 v14, v27, v5 :: v_dual_fmac_f32 v13, v68, v6
	s_delay_alu instid0(VALU_DEP_3) | instskip(NEXT) | instid1(VALU_DEP_3)
	v_fma_f32 v16, -v69, v6, v3
	v_fma_f32 v17, -v27, v6, v8
	s_delay_alu instid0(VALU_DEP_3)
	v_fmac_f32_e32 v14, v26, v6
	s_and_not1_b32 exec_lo, exec_lo, s2
	s_cbranch_execnz .LBB189_21
; %bb.22:
	s_or_b32 exec_lo, exec_lo, s2
.LBB189_23:
	s_delay_alu instid0(SALU_CYCLE_1)
	s_or_b32 exec_lo, exec_lo, s3
.LBB189_24:
	v_mbcnt_lo_u32_b32 v2, -1, 0
	s_delay_alu instid0(VALU_DEP_1) | instskip(SKIP_2) | instid1(VALU_DEP_3)
	v_xor_b32_e32 v3, 8, v2
	v_xor_b32_e32 v7, 4, v2
	;; [unrolled: 1-line block ×3, first 2 shown]
	v_cmp_gt_i32_e32 vcc_lo, 32, v3
	v_cndmask_b32_e32 v3, v2, v3, vcc_lo
	s_delay_alu instid0(VALU_DEP_4) | instskip(NEXT) | instid1(VALU_DEP_2)
	v_cmp_gt_i32_e32 vcc_lo, 32, v7
	v_lshlrev_b32_e32 v3, 2, v3
	ds_bpermute_b32 v6, v3, v17
	s_waitcnt lgkmcnt(0)
	v_add_f32_e32 v6, v17, v6
	ds_bpermute_b32 v4, v3, v16
	ds_bpermute_b32 v5, v3, v13
	;; [unrolled: 1-line block ×3, first 2 shown]
	s_waitcnt lgkmcnt(2)
	v_dual_add_f32 v4, v16, v4 :: v_dual_cndmask_b32 v7, v2, v7
	s_waitcnt lgkmcnt(0)
	v_add_f32_e32 v3, v14, v3
	v_add_f32_e32 v5, v13, v5
	v_cmp_gt_i32_e32 vcc_lo, 32, v15
	v_lshlrev_b32_e32 v7, 2, v7
	v_cndmask_b32_e32 v15, v2, v15, vcc_lo
	ds_bpermute_b32 v14, v7, v6
	s_waitcnt lgkmcnt(0)
	v_add_f32_e32 v6, v6, v14
	ds_bpermute_b32 v8, v7, v4
	ds_bpermute_b32 v13, v7, v5
	;; [unrolled: 1-line block ×3, first 2 shown]
	s_waitcnt lgkmcnt(2)
	v_dual_add_f32 v4, v4, v8 :: v_dual_lshlrev_b32 v15, 2, v15
	s_waitcnt lgkmcnt(0)
	v_add_f32_e32 v3, v3, v7
	ds_bpermute_b32 v7, v15, v4
	v_add_f32_e32 v5, v5, v13
	ds_bpermute_b32 v13, v15, v6
	ds_bpermute_b32 v14, v15, v3
	s_waitcnt lgkmcnt(2)
	v_add_f32_e32 v4, v4, v7
	ds_bpermute_b32 v8, v15, v5
	v_xor_b32_e32 v15, 1, v2
	s_waitcnt lgkmcnt(1)
	v_add_f32_e32 v3, v3, v14
	s_delay_alu instid0(VALU_DEP_2) | instskip(SKIP_2) | instid1(VALU_DEP_2)
	v_cmp_gt_i32_e32 vcc_lo, 32, v15
	v_cndmask_b32_e32 v2, v2, v15, vcc_lo
	v_cmp_eq_u32_e32 vcc_lo, 15, v0
	v_dual_add_f32 v2, v6, v13 :: v_dual_lshlrev_b32 v15, 2, v2
	s_waitcnt lgkmcnt(0)
	v_add_f32_e32 v5, v5, v8
	ds_bpermute_b32 v8, v15, v4
	ds_bpermute_b32 v6, v15, v2
	;; [unrolled: 1-line block ×4, first 2 shown]
	s_and_b32 exec_lo, exec_lo, vcc_lo
	s_cbranch_execz .LBB189_29
; %bb.25:
	s_load_b64 s[2:3], s[0:1], 0x38
	v_cmp_eq_f32_e32 vcc_lo, 0, v11
	v_cmp_eq_f32_e64 s0, 0, v12
	s_waitcnt lgkmcnt(0)
	v_dual_add_f32 v0, v4, v8 :: v_dual_add_f32 v3, v3, v7
	v_add_f32_e32 v4, v5, v13
	v_add_f32_e32 v2, v2, v6
	s_and_b32 s0, vcc_lo, s0
	s_delay_alu instid0(SALU_CYCLE_1) | instskip(NEXT) | instid1(SALU_CYCLE_1)
	s_and_saveexec_b32 s1, s0
	s_xor_b32 s0, exec_lo, s1
	s_cbranch_execz .LBB189_27
; %bb.26:
	v_mul_f32_e64 v5, v4, -v10
	v_mul_f32_e32 v6, v4, v9
	v_mul_f32_e64 v7, v3, -v10
	v_mul_f32_e32 v8, v3, v9
                                        ; implicit-def: $vgpr4
                                        ; implicit-def: $vgpr3
	s_delay_alu instid0(VALU_DEP_4) | instskip(NEXT) | instid1(VALU_DEP_4)
	v_fmac_f32_e32 v5, v9, v0
	v_dual_fmac_f32 v6, v10, v0 :: v_dual_lshlrev_b32 v11, 1, v1
	s_delay_alu instid0(VALU_DEP_4) | instskip(NEXT) | instid1(VALU_DEP_4)
	v_fmac_f32_e32 v7, v9, v2
	v_fmac_f32_e32 v8, v10, v2
                                        ; implicit-def: $vgpr9
                                        ; implicit-def: $vgpr10
                                        ; implicit-def: $vgpr2
	s_delay_alu instid0(VALU_DEP_3) | instskip(NEXT) | instid1(VALU_DEP_1)
	v_ashrrev_i32_e32 v12, 31, v11
	v_lshlrev_b64 v[11:12], 3, v[11:12]
	s_delay_alu instid0(VALU_DEP_1) | instskip(NEXT) | instid1(VALU_DEP_2)
	v_add_co_u32 v0, vcc_lo, s2, v11
	v_add_co_ci_u32_e32 v1, vcc_lo, s3, v12, vcc_lo
                                        ; implicit-def: $vgpr11
                                        ; implicit-def: $vgpr12
	global_store_b128 v[0:1], v[5:8], off
                                        ; implicit-def: $vgpr1
                                        ; implicit-def: $vgpr0
.LBB189_27:
	s_and_not1_saveexec_b32 s0, s0
	s_cbranch_execz .LBB189_29
; %bb.28:
	v_lshlrev_b32_e32 v5, 1, v1
	v_mul_f32_e64 v15, v4, -v10
	v_mul_f32_e32 v1, v4, v9
	v_mul_f32_e64 v4, v3, -v10
	v_mul_f32_e32 v3, v3, v9
	s_delay_alu instid0(VALU_DEP_4) | instskip(NEXT) | instid1(VALU_DEP_3)
	v_fmac_f32_e32 v15, v9, v0
	v_fmac_f32_e32 v4, v9, v2
	v_ashrrev_i32_e32 v6, 31, v5
	s_delay_alu instid0(VALU_DEP_4) | instskip(NEXT) | instid1(VALU_DEP_2)
	v_fmac_f32_e32 v3, v10, v2
	v_lshlrev_b64 v[5:6], 3, v[5:6]
	s_delay_alu instid0(VALU_DEP_1) | instskip(NEXT) | instid1(VALU_DEP_2)
	v_add_co_u32 v13, vcc_lo, s2, v5
	v_add_co_ci_u32_e32 v14, vcc_lo, s3, v6, vcc_lo
	global_load_b128 v[5:8], v[13:14], off
	s_waitcnt vmcnt(0)
	v_dual_fmac_f32 v4, v11, v7 :: v_dual_fmac_f32 v1, v10, v0
	v_fmac_f32_e32 v15, v11, v5
	v_fmac_f32_e32 v3, v12, v7
	s_delay_alu instid0(VALU_DEP_3) | instskip(NEXT) | instid1(VALU_DEP_4)
	v_fma_f32 v2, -v12, v8, v4
	v_fmac_f32_e32 v1, v12, v5
	s_delay_alu instid0(VALU_DEP_4) | instskip(NEXT) | instid1(VALU_DEP_4)
	v_fma_f32 v0, -v12, v6, v15
	v_fmac_f32_e32 v3, v11, v8
	s_delay_alu instid0(VALU_DEP_3)
	v_fmac_f32_e32 v1, v11, v6
	global_store_b128 v[13:14], v[0:3], off
.LBB189_29:
	s_nop 0
	s_sendmsg sendmsg(MSG_DEALLOC_VGPRS)
	s_endpgm
	.section	.rodata,"a",@progbits
	.p2align	6, 0x0
	.amdhsa_kernel _ZN9rocsparseL19gebsrmvn_2xn_kernelILj128ELj9ELj16E21rocsparse_complex_numIfEEEvi20rocsparse_direction_NS_24const_host_device_scalarIT2_EEPKiS8_PKS5_SA_S6_PS5_21rocsparse_index_base_b
		.amdhsa_group_segment_fixed_size 0
		.amdhsa_private_segment_fixed_size 0
		.amdhsa_kernarg_size 72
		.amdhsa_user_sgpr_count 15
		.amdhsa_user_sgpr_dispatch_ptr 0
		.amdhsa_user_sgpr_queue_ptr 0
		.amdhsa_user_sgpr_kernarg_segment_ptr 1
		.amdhsa_user_sgpr_dispatch_id 0
		.amdhsa_user_sgpr_private_segment_size 0
		.amdhsa_wavefront_size32 1
		.amdhsa_uses_dynamic_stack 0
		.amdhsa_enable_private_segment 0
		.amdhsa_system_sgpr_workgroup_id_x 1
		.amdhsa_system_sgpr_workgroup_id_y 0
		.amdhsa_system_sgpr_workgroup_id_z 0
		.amdhsa_system_sgpr_workgroup_info 0
		.amdhsa_system_vgpr_workitem_id 0
		.amdhsa_next_free_vgpr 72
		.amdhsa_next_free_sgpr 16
		.amdhsa_reserve_vcc 1
		.amdhsa_float_round_mode_32 0
		.amdhsa_float_round_mode_16_64 0
		.amdhsa_float_denorm_mode_32 3
		.amdhsa_float_denorm_mode_16_64 3
		.amdhsa_dx10_clamp 1
		.amdhsa_ieee_mode 1
		.amdhsa_fp16_overflow 0
		.amdhsa_workgroup_processor_mode 1
		.amdhsa_memory_ordered 1
		.amdhsa_forward_progress 0
		.amdhsa_shared_vgpr_count 0
		.amdhsa_exception_fp_ieee_invalid_op 0
		.amdhsa_exception_fp_denorm_src 0
		.amdhsa_exception_fp_ieee_div_zero 0
		.amdhsa_exception_fp_ieee_overflow 0
		.amdhsa_exception_fp_ieee_underflow 0
		.amdhsa_exception_fp_ieee_inexact 0
		.amdhsa_exception_int_div_zero 0
	.end_amdhsa_kernel
	.section	.text._ZN9rocsparseL19gebsrmvn_2xn_kernelILj128ELj9ELj16E21rocsparse_complex_numIfEEEvi20rocsparse_direction_NS_24const_host_device_scalarIT2_EEPKiS8_PKS5_SA_S6_PS5_21rocsparse_index_base_b,"axG",@progbits,_ZN9rocsparseL19gebsrmvn_2xn_kernelILj128ELj9ELj16E21rocsparse_complex_numIfEEEvi20rocsparse_direction_NS_24const_host_device_scalarIT2_EEPKiS8_PKS5_SA_S6_PS5_21rocsparse_index_base_b,comdat
.Lfunc_end189:
	.size	_ZN9rocsparseL19gebsrmvn_2xn_kernelILj128ELj9ELj16E21rocsparse_complex_numIfEEEvi20rocsparse_direction_NS_24const_host_device_scalarIT2_EEPKiS8_PKS5_SA_S6_PS5_21rocsparse_index_base_b, .Lfunc_end189-_ZN9rocsparseL19gebsrmvn_2xn_kernelILj128ELj9ELj16E21rocsparse_complex_numIfEEEvi20rocsparse_direction_NS_24const_host_device_scalarIT2_EEPKiS8_PKS5_SA_S6_PS5_21rocsparse_index_base_b
                                        ; -- End function
	.section	.AMDGPU.csdata,"",@progbits
; Kernel info:
; codeLenInByte = 3908
; NumSgprs: 18
; NumVgprs: 72
; ScratchSize: 0
; MemoryBound: 0
; FloatMode: 240
; IeeeMode: 1
; LDSByteSize: 0 bytes/workgroup (compile time only)
; SGPRBlocks: 2
; VGPRBlocks: 8
; NumSGPRsForWavesPerEU: 18
; NumVGPRsForWavesPerEU: 72
; Occupancy: 16
; WaveLimiterHint : 1
; COMPUTE_PGM_RSRC2:SCRATCH_EN: 0
; COMPUTE_PGM_RSRC2:USER_SGPR: 15
; COMPUTE_PGM_RSRC2:TRAP_HANDLER: 0
; COMPUTE_PGM_RSRC2:TGID_X_EN: 1
; COMPUTE_PGM_RSRC2:TGID_Y_EN: 0
; COMPUTE_PGM_RSRC2:TGID_Z_EN: 0
; COMPUTE_PGM_RSRC2:TIDIG_COMP_CNT: 0
	.section	.text._ZN9rocsparseL19gebsrmvn_2xn_kernelILj128ELj9ELj32E21rocsparse_complex_numIfEEEvi20rocsparse_direction_NS_24const_host_device_scalarIT2_EEPKiS8_PKS5_SA_S6_PS5_21rocsparse_index_base_b,"axG",@progbits,_ZN9rocsparseL19gebsrmvn_2xn_kernelILj128ELj9ELj32E21rocsparse_complex_numIfEEEvi20rocsparse_direction_NS_24const_host_device_scalarIT2_EEPKiS8_PKS5_SA_S6_PS5_21rocsparse_index_base_b,comdat
	.globl	_ZN9rocsparseL19gebsrmvn_2xn_kernelILj128ELj9ELj32E21rocsparse_complex_numIfEEEvi20rocsparse_direction_NS_24const_host_device_scalarIT2_EEPKiS8_PKS5_SA_S6_PS5_21rocsparse_index_base_b ; -- Begin function _ZN9rocsparseL19gebsrmvn_2xn_kernelILj128ELj9ELj32E21rocsparse_complex_numIfEEEvi20rocsparse_direction_NS_24const_host_device_scalarIT2_EEPKiS8_PKS5_SA_S6_PS5_21rocsparse_index_base_b
	.p2align	8
	.type	_ZN9rocsparseL19gebsrmvn_2xn_kernelILj128ELj9ELj32E21rocsparse_complex_numIfEEEvi20rocsparse_direction_NS_24const_host_device_scalarIT2_EEPKiS8_PKS5_SA_S6_PS5_21rocsparse_index_base_b,@function
_ZN9rocsparseL19gebsrmvn_2xn_kernelILj128ELj9ELj32E21rocsparse_complex_numIfEEEvi20rocsparse_direction_NS_24const_host_device_scalarIT2_EEPKiS8_PKS5_SA_S6_PS5_21rocsparse_index_base_b: ; @_ZN9rocsparseL19gebsrmvn_2xn_kernelILj128ELj9ELj32E21rocsparse_complex_numIfEEEvi20rocsparse_direction_NS_24const_host_device_scalarIT2_EEPKiS8_PKS5_SA_S6_PS5_21rocsparse_index_base_b
; %bb.0:
	s_clause 0x2
	s_load_b64 s[12:13], s[0:1], 0x40
	s_load_b64 s[4:5], s[0:1], 0x8
	;; [unrolled: 1-line block ×3, first 2 shown]
	s_waitcnt lgkmcnt(0)
	s_bitcmp1_b32 s13, 0
	v_mov_b32_e32 v9, s4
	s_cselect_b32 s6, -1, 0
	s_delay_alu instid0(SALU_CYCLE_1)
	s_and_b32 vcc_lo, exec_lo, s6
	s_xor_b32 s6, s6, -1
	s_cbranch_vccz .LBB190_15
; %bb.1:
	v_cndmask_b32_e64 v1, 0, 1, s6
	v_mov_b32_e32 v10, s5
	s_and_not1_b32 vcc_lo, exec_lo, s6
	s_cbranch_vccz .LBB190_16
.LBB190_2:
	s_delay_alu instid0(VALU_DEP_2)
	v_cmp_ne_u32_e32 vcc_lo, 1, v1
	v_mov_b32_e32 v11, s2
	s_cbranch_vccz .LBB190_17
.LBB190_3:
	v_cmp_ne_u32_e32 vcc_lo, 1, v1
	v_mov_b32_e32 v12, s3
	s_cbranch_vccnz .LBB190_5
.LBB190_4:
	v_dual_mov_b32 v1, s2 :: v_dual_mov_b32 v2, s3
	flat_load_b32 v12, v[1:2] offset:4
.LBB190_5:
	s_waitcnt vmcnt(0) lgkmcnt(0)
	v_cmp_eq_f32_e32 vcc_lo, 0, v9
	v_cmp_eq_f32_e64 s2, 0, v10
	s_delay_alu instid0(VALU_DEP_1)
	s_and_b32 s4, vcc_lo, s2
	s_mov_b32 s2, -1
	s_and_saveexec_b32 s3, s4
; %bb.6:
	v_cmp_neq_f32_e32 vcc_lo, 1.0, v11
	v_cmp_neq_f32_e64 s2, 0, v12
	s_delay_alu instid0(VALU_DEP_1) | instskip(NEXT) | instid1(SALU_CYCLE_1)
	s_or_b32 s2, vcc_lo, s2
	s_or_not1_b32 s2, s2, exec_lo
; %bb.7:
	s_or_b32 exec_lo, exec_lo, s3
	s_and_saveexec_b32 s3, s2
	s_cbranch_execz .LBB190_29
; %bb.8:
	s_load_b64 s[2:3], s[0:1], 0x0
	v_lshrrev_b32_e32 v1, 5, v0
	s_delay_alu instid0(VALU_DEP_1) | instskip(SKIP_1) | instid1(VALU_DEP_1)
	v_lshl_or_b32 v1, s15, 2, v1
	s_waitcnt lgkmcnt(0)
	v_cmp_gt_i32_e32 vcc_lo, s2, v1
	s_and_b32 exec_lo, exec_lo, vcc_lo
	s_cbranch_execz .LBB190_29
; %bb.9:
	s_load_b256 s[4:11], s[0:1], 0x10
	v_ashrrev_i32_e32 v2, 31, v1
	v_and_b32_e32 v0, 31, v0
	s_cmp_lg_u32 s3, 0
	s_delay_alu instid0(VALU_DEP_2) | instskip(SKIP_1) | instid1(VALU_DEP_1)
	v_lshlrev_b64 v[2:3], 2, v[1:2]
	s_waitcnt lgkmcnt(0)
	v_add_co_u32 v2, vcc_lo, s4, v2
	s_delay_alu instid0(VALU_DEP_2) | instskip(SKIP_4) | instid1(VALU_DEP_2)
	v_add_co_ci_u32_e32 v3, vcc_lo, s5, v3, vcc_lo
	global_load_b64 v[2:3], v[2:3], off
	s_waitcnt vmcnt(0)
	v_subrev_nc_u32_e32 v2, s12, v2
	v_subrev_nc_u32_e32 v15, s12, v3
	v_add_nc_u32_e32 v2, v2, v0
	s_delay_alu instid0(VALU_DEP_1)
	v_cmp_lt_i32_e64 s2, v2, v15
	s_cbranch_scc0 .LBB190_18
; %bb.10:
	v_dual_mov_b32 v13, 0 :: v_dual_mov_b32 v16, 0
	v_dual_mov_b32 v17, 0 :: v_dual_mov_b32 v14, 0
	s_mov_b32 s3, 0
	s_and_saveexec_b32 s4, s2
	s_cbranch_execz .LBB190_14
; %bb.11:
	v_mad_u64_u32 v[3:4], null, v2, 18, 16
	v_dual_mov_b32 v6, 0 :: v_dual_mov_b32 v7, v2
	v_dual_mov_b32 v13, 0 :: v_dual_mov_b32 v16, 0
	;; [unrolled: 1-line block ×3, first 2 shown]
	s_mov_b32 s5, 0
.LBB190_12:                             ; =>This Inner Loop Header: Depth=1
	s_delay_alu instid0(VALU_DEP_3) | instskip(NEXT) | instid1(VALU_DEP_1)
	v_ashrrev_i32_e32 v8, 31, v7
	v_lshlrev_b64 v[4:5], 2, v[7:8]
	s_delay_alu instid0(VALU_DEP_1) | instskip(NEXT) | instid1(VALU_DEP_2)
	v_add_co_u32 v4, vcc_lo, s6, v4
	v_add_co_ci_u32_e32 v5, vcc_lo, s7, v5, vcc_lo
	global_load_b32 v8, v[4:5], off
	v_dual_mov_b32 v4, v6 :: v_dual_add_nc_u32 v5, -16, v3
	s_delay_alu instid0(VALU_DEP_1) | instskip(SKIP_1) | instid1(VALU_DEP_3)
	v_lshlrev_b64 v[18:19], 3, v[5:6]
	v_add_nc_u32_e32 v5, -14, v3
	v_lshlrev_b64 v[20:21], 3, v[3:4]
	s_delay_alu instid0(VALU_DEP_2) | instskip(NEXT) | instid1(VALU_DEP_4)
	v_lshlrev_b64 v[4:5], 3, v[5:6]
	v_add_co_u32 v18, vcc_lo, s8, v18
	v_add_co_ci_u32_e32 v19, vcc_lo, s9, v19, vcc_lo
	s_delay_alu instid0(VALU_DEP_4)
	v_add_co_u32 v50, vcc_lo, s8, v20
	v_add_co_ci_u32_e32 v51, vcc_lo, s9, v21, vcc_lo
	v_add_co_u32 v4, vcc_lo, s8, v4
	v_add_co_ci_u32_e32 v5, vcc_lo, s9, v5, vcc_lo
	s_clause 0x1
	global_load_b128 v[18:21], v[18:19], off
	global_load_b128 v[22:25], v[4:5], off
	v_mov_b32_e32 v47, v6
	s_waitcnt vmcnt(2)
	v_subrev_nc_u32_e32 v4, s12, v8
	s_delay_alu instid0(VALU_DEP_1) | instskip(NEXT) | instid1(VALU_DEP_1)
	v_lshl_add_u32 v46, v4, 3, v4
	v_lshlrev_b64 v[26:27], 3, v[46:47]
	s_delay_alu instid0(VALU_DEP_1) | instskip(NEXT) | instid1(VALU_DEP_2)
	v_add_co_u32 v26, vcc_lo, s10, v26
	v_add_co_ci_u32_e32 v27, vcc_lo, s11, v27, vcc_lo
	global_load_b64 v[54:55], v[26:27], off
	v_add_nc_u32_e32 v5, 1, v46
	s_delay_alu instid0(VALU_DEP_1) | instskip(NEXT) | instid1(VALU_DEP_1)
	v_lshlrev_b64 v[28:29], 3, v[5:6]
	v_add_co_u32 v28, vcc_lo, s10, v28
	s_delay_alu instid0(VALU_DEP_2)
	v_add_co_ci_u32_e32 v29, vcc_lo, s11, v29, vcc_lo
	global_load_b64 v[56:57], v[28:29], off
	s_waitcnt vmcnt(1)
	v_fmac_f32_e32 v16, v18, v54
	v_fmac_f32_e32 v17, v20, v54
	;; [unrolled: 1-line block ×3, first 2 shown]
	s_delay_alu instid0(VALU_DEP_3) | instskip(SKIP_1) | instid1(VALU_DEP_4)
	v_fma_f32 v8, -v19, v55, v16
	v_add_nc_u32_e32 v5, -12, v3
	v_fma_f32 v16, -v21, v55, v17
	s_delay_alu instid0(VALU_DEP_4)
	v_fmac_f32_e32 v14, v20, v55
	s_waitcnt vmcnt(0)
	v_fmac_f32_e32 v8, v22, v56
	v_lshlrev_b64 v[30:31], 3, v[5:6]
	v_dual_fmac_f32 v16, v24, v56 :: v_dual_add_nc_u32 v5, 2, v46
	v_fmac_f32_e32 v14, v25, v56
	s_delay_alu instid0(VALU_DEP_4) | instskip(NEXT) | instid1(VALU_DEP_3)
	v_fma_f32 v8, -v23, v57, v8
	v_lshlrev_b64 v[26:27], 3, v[5:6]
	v_add_co_u32 v28, vcc_lo, s8, v30
	v_add_nc_u32_e32 v5, -10, v3
	v_add_co_ci_u32_e32 v29, vcc_lo, s9, v31, vcc_lo
	s_delay_alu instid0(VALU_DEP_4) | instskip(SKIP_1) | instid1(VALU_DEP_4)
	v_add_co_u32 v32, vcc_lo, s10, v26
	v_add_co_ci_u32_e32 v33, vcc_lo, s11, v27, vcc_lo
	v_lshlrev_b64 v[30:31], 3, v[5:6]
	v_dual_fmac_f32 v14, v24, v57 :: v_dual_add_nc_u32 v5, 3, v46
	global_load_b128 v[26:29], v[28:29], off
	global_load_b64 v[58:59], v[32:33], off
	v_fma_f32 v16, -v25, v57, v16
	v_lshlrev_b64 v[34:35], 3, v[5:6]
	v_add_co_u32 v30, vcc_lo, s8, v30
	v_add_co_ci_u32_e32 v31, vcc_lo, s9, v31, vcc_lo
	s_delay_alu instid0(VALU_DEP_3) | instskip(NEXT) | instid1(VALU_DEP_4)
	v_add_co_u32 v34, vcc_lo, s10, v34
	v_add_co_ci_u32_e32 v35, vcc_lo, s11, v35, vcc_lo
	global_load_b64 v[60:61], v[34:35], off
	global_load_b128 v[30:33], v[30:31], off
	s_waitcnt vmcnt(2)
	v_dual_fmac_f32 v8, v26, v58 :: v_dual_add_nc_u32 v5, -8, v3
	s_delay_alu instid0(VALU_DEP_1) | instskip(SKIP_4) | instid1(VALU_DEP_4)
	v_lshlrev_b64 v[36:37], 3, v[5:6]
	v_fmac_f32_e32 v14, v29, v58
	v_add_nc_u32_e32 v5, 4, v46
	v_fmac_f32_e32 v16, v28, v58
	v_fma_f32 v8, -v27, v59, v8
	v_fmac_f32_e32 v14, v28, v59
	s_delay_alu instid0(VALU_DEP_4) | instskip(SKIP_3) | instid1(VALU_DEP_3)
	v_lshlrev_b64 v[38:39], 3, v[5:6]
	v_add_nc_u32_e32 v5, -6, v3
	v_add_co_u32 v34, vcc_lo, s8, v36
	v_add_co_ci_u32_e32 v35, vcc_lo, s9, v37, vcc_lo
	v_lshlrev_b64 v[40:41], 3, v[5:6]
	s_waitcnt vmcnt(0)
	v_dual_fmac_f32 v8, v30, v60 :: v_dual_add_nc_u32 v5, 5, v46
	v_add_co_u32 v38, vcc_lo, s10, v38
	v_add_co_ci_u32_e32 v39, vcc_lo, s11, v39, vcc_lo
	s_delay_alu instid0(VALU_DEP_3)
	v_lshlrev_b64 v[42:43], 3, v[5:6]
	global_load_b128 v[34:37], v[34:35], off
	v_fma_f32 v16, -v29, v59, v16
	global_load_b64 v[62:63], v[38:39], off
	v_add_co_u32 v38, vcc_lo, s8, v40
	v_add_co_ci_u32_e32 v39, vcc_lo, s9, v41, vcc_lo
	v_add_co_u32 v42, vcc_lo, s10, v42
	v_add_co_ci_u32_e32 v43, vcc_lo, s11, v43, vcc_lo
	global_load_b128 v[38:41], v[38:39], off
	v_dual_fmac_f32 v16, v32, v60 :: v_dual_add_nc_u32 v5, -4, v3
	global_load_b64 v[64:65], v[42:43], off
	v_fmac_f32_e32 v14, v33, v60
	v_fma_f32 v8, -v31, v61, v8
	v_lshlrev_b64 v[44:45], 3, v[5:6]
	v_add_nc_u32_e32 v5, 6, v46
	v_fma_f32 v16, -v33, v61, v16
	v_fmac_f32_e32 v14, v32, v61
	s_delay_alu instid0(VALU_DEP_3) | instskip(SKIP_3) | instid1(VALU_DEP_4)
	v_lshlrev_b64 v[47:48], 3, v[5:6]
	v_add_co_u32 v42, vcc_lo, s8, v44
	v_add_co_ci_u32_e32 v43, vcc_lo, s9, v45, vcc_lo
	v_add_nc_u32_e32 v5, -2, v3
	v_add_co_u32 v47, vcc_lo, s10, v47
	v_add_co_ci_u32_e32 v48, vcc_lo, s11, v48, vcc_lo
	global_load_b128 v[42:45], v[42:43], off
	v_lshlrev_b64 v[52:53], 3, v[5:6]
	v_add_nc_u32_e32 v3, 0x240, v3
	global_load_b64 v[68:69], v[47:48], off
	s_waitcnt vmcnt(4)
	v_fmac_f32_e32 v16, v36, v62
	v_fmac_f32_e32 v14, v37, v62
	v_add_nc_u32_e32 v5, 7, v46
	v_fmac_f32_e32 v8, v34, v62
	s_delay_alu instid0(VALU_DEP_4) | instskip(NEXT) | instid1(VALU_DEP_4)
	v_fma_f32 v16, -v37, v63, v16
	v_dual_fmac_f32 v14, v36, v63 :: v_dual_fmac_f32 v13, v19, v54
	s_delay_alu instid0(VALU_DEP_4) | instskip(NEXT) | instid1(VALU_DEP_4)
	v_lshlrev_b64 v[66:67], 3, v[5:6]
	v_fma_f32 v8, -v35, v63, v8
	v_add_nc_u32_e32 v5, 8, v46
	v_add_co_u32 v46, vcc_lo, s8, v52
	s_waitcnt vmcnt(2)
	v_fmac_f32_e32 v16, v40, v64
	v_fmac_f32_e32 v8, v38, v64
	;; [unrolled: 1-line block ×3, first 2 shown]
	v_add_co_ci_u32_e32 v47, vcc_lo, s9, v53, vcc_lo
	v_add_co_u32 v52, vcc_lo, s10, v66
	s_delay_alu instid0(VALU_DEP_3)
	v_fmac_f32_e32 v13, v23, v56
	v_add_co_ci_u32_e32 v53, vcc_lo, s11, v67, vcc_lo
	global_load_b128 v[46:49], v[46:47], off
	global_load_b64 v[66:67], v[52:53], off
	v_lshlrev_b64 v[4:5], 3, v[5:6]
	v_fma_f32 v16, -v41, v65, v16
	v_dual_fmac_f32 v13, v22, v57 :: v_dual_fmac_f32 v14, v41, v64
	v_fma_f32 v8, -v39, v65, v8
	s_delay_alu instid0(VALU_DEP_4)
	v_add_co_u32 v4, vcc_lo, s10, v4
	s_waitcnt vmcnt(2)
	v_fmac_f32_e32 v16, v44, v68
	v_add_co_ci_u32_e32 v5, vcc_lo, s11, v5, vcc_lo
	global_load_b128 v[50:53], v[50:51], off
	global_load_b64 v[4:5], v[4:5], off
	v_dual_fmac_f32 v13, v27, v58 :: v_dual_fmac_f32 v14, v40, v65
	v_fma_f32 v16, -v45, v69, v16
	v_fmac_f32_e32 v8, v42, v68
	s_delay_alu instid0(VALU_DEP_3) | instskip(NEXT) | instid1(VALU_DEP_2)
	v_dual_fmac_f32 v13, v26, v59 :: v_dual_fmac_f32 v14, v45, v68
	v_fma_f32 v8, -v43, v69, v8
	s_delay_alu instid0(VALU_DEP_2) | instskip(SKIP_1) | instid1(VALU_DEP_1)
	v_dual_fmac_f32 v13, v31, v60 :: v_dual_fmac_f32 v14, v44, v69
	s_waitcnt vmcnt(2)
	v_dual_fmac_f32 v13, v30, v61 :: v_dual_fmac_f32 v16, v48, v66
	s_delay_alu instid0(VALU_DEP_1) | instskip(SKIP_2) | instid1(VALU_DEP_4)
	v_fmac_f32_e32 v13, v35, v62
	v_fmac_f32_e32 v8, v46, v66
	;; [unrolled: 1-line block ×3, first 2 shown]
	v_fma_f32 v17, -v49, v67, v16
	s_delay_alu instid0(VALU_DEP_4) | instskip(NEXT) | instid1(VALU_DEP_4)
	v_fmac_f32_e32 v13, v34, v63
	v_fma_f32 v8, -v47, v67, v8
	s_delay_alu instid0(VALU_DEP_4) | instskip(SKIP_1) | instid1(VALU_DEP_4)
	v_fmac_f32_e32 v14, v48, v67
	v_add_nc_u32_e32 v7, 32, v7
	v_fmac_f32_e32 v13, v39, v64
	s_waitcnt vmcnt(0)
	v_fmac_f32_e32 v17, v52, v4
	s_delay_alu instid0(VALU_DEP_2) | instskip(SKIP_2) | instid1(VALU_DEP_4)
	v_dual_fmac_f32 v14, v53, v4 :: v_dual_fmac_f32 v13, v38, v65
	v_cmp_ge_i32_e32 vcc_lo, v7, v15
	v_fmac_f32_e32 v8, v50, v4
	v_fma_f32 v17, -v53, v5, v17
	s_delay_alu instid0(VALU_DEP_4) | instskip(SKIP_1) | instid1(VALU_DEP_3)
	v_dual_fmac_f32 v14, v52, v5 :: v_dual_fmac_f32 v13, v43, v68
	s_or_b32 s5, vcc_lo, s5
	v_fma_f32 v16, -v51, v5, v8
	s_delay_alu instid0(VALU_DEP_2) | instskip(NEXT) | instid1(VALU_DEP_1)
	v_fmac_f32_e32 v13, v42, v69
	v_fmac_f32_e32 v13, v47, v66
	s_delay_alu instid0(VALU_DEP_1) | instskip(NEXT) | instid1(VALU_DEP_1)
	v_fmac_f32_e32 v13, v46, v67
	v_fmac_f32_e32 v13, v51, v4
	s_delay_alu instid0(VALU_DEP_1)
	v_fmac_f32_e32 v13, v50, v5
	s_and_not1_b32 exec_lo, exec_lo, s5
	s_cbranch_execnz .LBB190_12
; %bb.13:
	s_or_b32 exec_lo, exec_lo, s5
.LBB190_14:
	s_delay_alu instid0(SALU_CYCLE_1) | instskip(NEXT) | instid1(SALU_CYCLE_1)
	s_or_b32 exec_lo, exec_lo, s4
	s_and_not1_b32 vcc_lo, exec_lo, s3
	s_cbranch_vccz .LBB190_19
	s_branch .LBB190_24
.LBB190_15:
	v_dual_mov_b32 v1, s4 :: v_dual_mov_b32 v2, s5
	flat_load_b32 v9, v[1:2]
	v_cndmask_b32_e64 v1, 0, 1, s6
	v_mov_b32_e32 v10, s5
	s_and_not1_b32 vcc_lo, exec_lo, s6
	s_cbranch_vccnz .LBB190_2
.LBB190_16:
	v_dual_mov_b32 v2, s4 :: v_dual_mov_b32 v3, s5
	flat_load_b32 v10, v[2:3] offset:4
	v_cmp_ne_u32_e32 vcc_lo, 1, v1
	v_mov_b32_e32 v11, s2
	s_cbranch_vccnz .LBB190_3
.LBB190_17:
	v_dual_mov_b32 v2, s2 :: v_dual_mov_b32 v3, s3
	flat_load_b32 v11, v[2:3]
	v_cmp_ne_u32_e32 vcc_lo, 1, v1
	v_mov_b32_e32 v12, s3
	s_cbranch_vccz .LBB190_4
	s_branch .LBB190_5
.LBB190_18:
                                        ; implicit-def: $vgpr13
                                        ; implicit-def: $vgpr16
                                        ; implicit-def: $vgpr17
                                        ; implicit-def: $vgpr14
.LBB190_19:
	v_dual_mov_b32 v13, 0 :: v_dual_mov_b32 v16, 0
	v_dual_mov_b32 v17, 0 :: v_dual_mov_b32 v14, 0
	s_delay_alu instid0(VALU_DEP_3)
	s_and_saveexec_b32 s3, s2
	s_cbranch_execz .LBB190_23
; %bb.20:
	v_mad_u64_u32 v[4:5], null, v2, 18, 17
	v_dual_mov_b32 v7, 0 :: v_dual_mov_b32 v16, 0
	v_dual_mov_b32 v13, 0 :: v_dual_mov_b32 v14, 0
	v_mov_b32_e32 v17, 0
	s_mov_b32 s2, 0
.LBB190_21:                             ; =>This Inner Loop Header: Depth=1
	v_ashrrev_i32_e32 v3, 31, v2
	v_dual_mov_b32 v23, v7 :: v_dual_add_nc_u32 v18, -8, v4
	s_delay_alu instid0(VALU_DEP_2) | instskip(SKIP_1) | instid1(VALU_DEP_2)
	v_lshlrev_b64 v[5:6], 2, v[2:3]
	v_add_nc_u32_e32 v2, 32, v2
	v_add_co_u32 v5, vcc_lo, s6, v5
	s_delay_alu instid0(VALU_DEP_3) | instskip(SKIP_3) | instid1(VALU_DEP_2)
	v_add_co_ci_u32_e32 v6, vcc_lo, s7, v6, vcc_lo
	global_load_b32 v3, v[5:6], off
	v_subrev_nc_u32_e32 v6, 17, v4
	v_mov_b32_e32 v5, v7
	v_lshlrev_b64 v[20:21], 3, v[6:7]
	s_delay_alu instid0(VALU_DEP_2) | instskip(NEXT) | instid1(VALU_DEP_2)
	v_lshlrev_b64 v[5:6], 3, v[4:5]
	v_add_co_u32 v20, vcc_lo, s8, v20
	s_delay_alu instid0(VALU_DEP_3) | instskip(SKIP_2) | instid1(VALU_DEP_1)
	v_add_co_ci_u32_e32 v21, vcc_lo, s9, v21, vcc_lo
	s_waitcnt vmcnt(0)
	v_subrev_nc_u32_e32 v3, s12, v3
	v_lshl_add_u32 v22, v3, 3, v3
	v_mov_b32_e32 v19, v7
	s_delay_alu instid0(VALU_DEP_2) | instskip(NEXT) | instid1(VALU_DEP_2)
	v_lshlrev_b64 v[28:29], 3, v[22:23]
	v_lshlrev_b64 v[18:19], 3, v[18:19]
	s_delay_alu instid0(VALU_DEP_1) | instskip(NEXT) | instid1(VALU_DEP_2)
	v_add_co_u32 v24, vcc_lo, s8, v18
	v_add_co_ci_u32_e32 v25, vcc_lo, s9, v19, vcc_lo
	v_add_co_u32 v5, vcc_lo, s8, v5
	v_add_co_ci_u32_e32 v6, vcc_lo, s9, v6, vcc_lo
	;; [unrolled: 2-line block ×3, first 2 shown]
	s_clause 0x2
	global_load_b128 v[18:21], v[20:21], off
	global_load_b64 v[24:25], v[24:25], off
	global_load_b64 v[26:27], v[5:6], off
	v_add_nc_u32_e32 v6, 1, v22
	global_load_b64 v[28:29], v[28:29], off
	v_lshlrev_b64 v[30:31], 3, v[6:7]
	v_add_nc_u32_e32 v6, -7, v4
	s_delay_alu instid0(VALU_DEP_2) | instskip(NEXT) | instid1(VALU_DEP_3)
	v_add_co_u32 v30, vcc_lo, s10, v30
	v_add_co_ci_u32_e32 v31, vcc_lo, s11, v31, vcc_lo
	s_delay_alu instid0(VALU_DEP_3)
	v_lshlrev_b64 v[32:33], 3, v[6:7]
	global_load_b64 v[30:31], v[30:31], off
	v_add_co_u32 v32, vcc_lo, s8, v32
	v_add_co_ci_u32_e32 v33, vcc_lo, s9, v33, vcc_lo
	global_load_b64 v[32:33], v[32:33], off
	s_waitcnt vmcnt(2)
	v_fmac_f32_e32 v14, v25, v28
	v_fmac_f32_e32 v13, v19, v28
	;; [unrolled: 1-line block ×4, first 2 shown]
	s_delay_alu instid0(VALU_DEP_4) | instskip(NEXT) | instid1(VALU_DEP_4)
	v_fmac_f32_e32 v14, v24, v29
	v_dual_fmac_f32 v13, v18, v29 :: v_dual_add_nc_u32 v6, -15, v4
	s_delay_alu instid0(VALU_DEP_4) | instskip(NEXT) | instid1(VALU_DEP_4)
	v_fma_f32 v3, -v19, v29, v16
	v_fma_f32 v8, -v25, v29, v17
	s_delay_alu instid0(VALU_DEP_3) | instskip(SKIP_3) | instid1(VALU_DEP_2)
	v_lshlrev_b64 v[34:35], 3, v[6:7]
	v_add_nc_u32_e32 v6, 2, v22
	s_waitcnt vmcnt(1)
	v_fmac_f32_e32 v3, v20, v30
	v_lshlrev_b64 v[36:37], 3, v[6:7]
	v_add_nc_u32_e32 v6, -6, v4
	v_add_co_u32 v34, vcc_lo, s8, v34
	v_add_co_ci_u32_e32 v35, vcc_lo, s9, v35, vcc_lo
	s_delay_alu instid0(VALU_DEP_3) | instskip(SKIP_3) | instid1(VALU_DEP_3)
	v_lshlrev_b64 v[38:39], 3, v[6:7]
	v_dual_fmac_f32 v13, v21, v30 :: v_dual_add_nc_u32 v6, -14, v4
	v_add_co_u32 v36, vcc_lo, s10, v36
	v_add_co_ci_u32_e32 v37, vcc_lo, s11, v37, vcc_lo
	v_lshlrev_b64 v[40:41], 3, v[6:7]
	s_delay_alu instid0(VALU_DEP_4) | instskip(SKIP_2) | instid1(VALU_DEP_3)
	v_dual_fmac_f32 v13, v20, v31 :: v_dual_add_nc_u32 v6, 3, v22
	v_add_co_u32 v38, vcc_lo, s8, v38
	v_add_co_ci_u32_e32 v39, vcc_lo, s9, v39, vcc_lo
	v_lshlrev_b64 v[42:43], 3, v[6:7]
	global_load_b64 v[34:35], v[34:35], off
	global_load_b64 v[36:37], v[36:37], off
	v_add_co_u32 v40, vcc_lo, s8, v40
	v_add_co_ci_u32_e32 v41, vcc_lo, s9, v41, vcc_lo
	v_add_co_u32 v42, vcc_lo, s10, v42
	v_add_co_ci_u32_e32 v43, vcc_lo, s11, v43, vcc_lo
	s_clause 0x1
	global_load_b64 v[38:39], v[38:39], off
	global_load_b64 v[40:41], v[40:41], off
	v_fma_f32 v3, -v21, v31, v3
	global_load_b64 v[42:43], v[42:43], off
	s_waitcnt vmcnt(5)
	v_fmac_f32_e32 v8, v32, v30
	s_waitcnt vmcnt(3)
	v_dual_fmac_f32 v14, v33, v30 :: v_dual_fmac_f32 v13, v35, v36
	v_add_nc_u32_e32 v6, -5, v4
	v_fmac_f32_e32 v3, v34, v36
	v_fma_f32 v8, -v33, v31, v8
	s_delay_alu instid0(VALU_DEP_4) | instskip(NEXT) | instid1(VALU_DEP_4)
	v_fmac_f32_e32 v13, v34, v37
	v_lshlrev_b64 v[44:45], 3, v[6:7]
	s_delay_alu instid0(VALU_DEP_4) | instskip(SKIP_2) | instid1(VALU_DEP_2)
	v_fma_f32 v3, -v35, v37, v3
	v_add_nc_u32_e32 v6, -13, v4
	s_waitcnt vmcnt(0)
	v_dual_fmac_f32 v8, v38, v36 :: v_dual_fmac_f32 v3, v40, v42
	s_delay_alu instid0(VALU_DEP_2) | instskip(SKIP_4) | instid1(VALU_DEP_4)
	v_lshlrev_b64 v[46:47], 3, v[6:7]
	v_fmac_f32_e32 v13, v41, v42
	v_add_nc_u32_e32 v6, 4, v22
	v_add_co_u32 v44, vcc_lo, s8, v44
	v_add_co_ci_u32_e32 v45, vcc_lo, s9, v45, vcc_lo
	v_fmac_f32_e32 v13, v40, v43
	s_delay_alu instid0(VALU_DEP_4)
	v_lshlrev_b64 v[48:49], 3, v[6:7]
	v_add_co_u32 v46, vcc_lo, s8, v46
	v_add_co_ci_u32_e32 v47, vcc_lo, s9, v47, vcc_lo
	global_load_b64 v[44:45], v[44:45], off
	v_add_co_u32 v48, vcc_lo, s10, v48
	global_load_b64 v[46:47], v[46:47], off
	v_add_co_ci_u32_e32 v49, vcc_lo, s11, v49, vcc_lo
	v_fma_f32 v3, -v41, v43, v3
	v_fma_f32 v8, -v39, v37, v8
	global_load_b64 v[48:49], v[48:49], off
	s_waitcnt vmcnt(0)
	v_dual_fmac_f32 v14, v32, v31 :: v_dual_fmac_f32 v3, v46, v48
	s_delay_alu instid0(VALU_DEP_1) | instskip(SKIP_2) | instid1(VALU_DEP_4)
	v_fmac_f32_e32 v14, v39, v36
	v_fmac_f32_e32 v13, v47, v48
	v_add_nc_u32_e32 v6, -4, v4
	v_fma_f32 v3, -v47, v49, v3
	s_delay_alu instid0(VALU_DEP_4) | instskip(NEXT) | instid1(VALU_DEP_4)
	v_fmac_f32_e32 v14, v38, v37
	v_fmac_f32_e32 v13, v46, v49
	s_delay_alu instid0(VALU_DEP_4) | instskip(SKIP_1) | instid1(VALU_DEP_4)
	v_lshlrev_b64 v[50:51], 3, v[6:7]
	v_add_nc_u32_e32 v6, -12, v4
	v_fmac_f32_e32 v14, v45, v42
	s_delay_alu instid0(VALU_DEP_2) | instskip(NEXT) | instid1(VALU_DEP_4)
	v_lshlrev_b64 v[52:53], 3, v[6:7]
	v_add_co_u32 v50, vcc_lo, s8, v50
	v_add_co_ci_u32_e32 v51, vcc_lo, s9, v51, vcc_lo
	s_delay_alu instid0(VALU_DEP_4) | instskip(NEXT) | instid1(VALU_DEP_4)
	v_fmac_f32_e32 v14, v44, v43
	v_add_co_u32 v52, vcc_lo, s8, v52
	v_add_co_ci_u32_e32 v53, vcc_lo, s9, v53, vcc_lo
	s_clause 0x1
	global_load_b64 v[50:51], v[50:51], off
	global_load_b64 v[52:53], v[52:53], off
	v_add_nc_u32_e32 v6, 5, v22
	s_delay_alu instid0(VALU_DEP_1) | instskip(NEXT) | instid1(VALU_DEP_1)
	v_lshlrev_b64 v[54:55], 3, v[6:7]
	v_add_co_u32 v54, vcc_lo, s10, v54
	s_delay_alu instid0(VALU_DEP_2)
	v_add_co_ci_u32_e32 v55, vcc_lo, s11, v55, vcc_lo
	global_load_b64 v[54:55], v[54:55], off
	v_add_nc_u32_e32 v6, -3, v4
	s_waitcnt vmcnt(2)
	v_fmac_f32_e32 v14, v51, v48
	s_waitcnt vmcnt(0)
	s_delay_alu instid0(VALU_DEP_1) | instskip(SKIP_2) | instid1(VALU_DEP_3)
	v_dual_fmac_f32 v14, v50, v49 :: v_dual_fmac_f32 v13, v53, v54
	v_lshlrev_b64 v[56:57], 3, v[6:7]
	v_dual_fmac_f32 v3, v52, v54 :: v_dual_add_nc_u32 v6, -11, v4
	v_fmac_f32_e32 v13, v52, v55
	s_delay_alu instid0(VALU_DEP_2) | instskip(NEXT) | instid1(VALU_DEP_4)
	v_lshlrev_b64 v[58:59], 3, v[6:7]
	v_add_co_u32 v56, vcc_lo, s8, v56
	v_add_co_ci_u32_e32 v57, vcc_lo, s9, v57, vcc_lo
	v_fma_f32 v3, -v53, v55, v3
	s_delay_alu instid0(VALU_DEP_4)
	v_add_co_u32 v58, vcc_lo, s8, v58
	v_add_co_ci_u32_e32 v59, vcc_lo, s9, v59, vcc_lo
	s_clause 0x1
	global_load_b64 v[56:57], v[56:57], off
	global_load_b64 v[58:59], v[58:59], off
	v_add_nc_u32_e32 v6, 6, v22
	s_delay_alu instid0(VALU_DEP_1) | instskip(NEXT) | instid1(VALU_DEP_1)
	v_lshlrev_b64 v[60:61], 3, v[6:7]
	v_add_co_u32 v60, vcc_lo, s10, v60
	s_delay_alu instid0(VALU_DEP_2)
	v_add_co_ci_u32_e32 v61, vcc_lo, s11, v61, vcc_lo
	global_load_b64 v[60:61], v[60:61], off
	v_fmac_f32_e32 v8, v44, v42
	s_waitcnt vmcnt(2)
	v_fmac_f32_e32 v14, v57, v54
	s_waitcnt vmcnt(0)
	s_delay_alu instid0(VALU_DEP_1) | instskip(SKIP_2) | instid1(VALU_DEP_3)
	v_dual_fmac_f32 v14, v56, v55 :: v_dual_fmac_f32 v13, v59, v60
	v_fmac_f32_e32 v3, v58, v60
	v_fma_f32 v8, -v45, v43, v8
	v_fmac_f32_e32 v13, v58, v61
	s_delay_alu instid0(VALU_DEP_3) | instskip(SKIP_1) | instid1(VALU_DEP_4)
	v_fma_f32 v3, -v59, v61, v3
	v_add_nc_u32_e32 v6, -2, v4
	v_fmac_f32_e32 v8, v50, v48
	s_delay_alu instid0(VALU_DEP_2) | instskip(SKIP_1) | instid1(VALU_DEP_3)
	v_lshlrev_b64 v[62:63], 3, v[6:7]
	v_add_nc_u32_e32 v6, -10, v4
	v_fma_f32 v8, -v51, v49, v8
	s_delay_alu instid0(VALU_DEP_2) | instskip(NEXT) | instid1(VALU_DEP_4)
	v_lshlrev_b64 v[64:65], 3, v[6:7]
	v_add_co_u32 v62, vcc_lo, s8, v62
	v_add_co_ci_u32_e32 v63, vcc_lo, s9, v63, vcc_lo
	s_delay_alu instid0(VALU_DEP_4) | instskip(NEXT) | instid1(VALU_DEP_4)
	v_fmac_f32_e32 v8, v56, v54
	v_add_co_u32 v64, vcc_lo, s8, v64
	v_add_co_ci_u32_e32 v65, vcc_lo, s9, v65, vcc_lo
	global_load_b64 v[62:63], v[62:63], off
	v_fma_f32 v8, -v57, v55, v8
	global_load_b64 v[64:65], v[64:65], off
	v_add_nc_u32_e32 v6, 7, v22
	s_delay_alu instid0(VALU_DEP_1) | instskip(NEXT) | instid1(VALU_DEP_1)
	v_lshlrev_b64 v[66:67], 3, v[6:7]
	v_add_co_u32 v66, vcc_lo, s10, v66
	s_delay_alu instid0(VALU_DEP_2) | instskip(SKIP_4) | instid1(VALU_DEP_2)
	v_add_co_ci_u32_e32 v67, vcc_lo, s11, v67, vcc_lo
	global_load_b64 v[66:67], v[66:67], off
	s_waitcnt vmcnt(2)
	v_fmac_f32_e32 v8, v62, v60
	v_fmac_f32_e32 v14, v63, v60
	v_fma_f32 v8, -v63, v61, v8
	s_waitcnt vmcnt(0)
	s_delay_alu instid0(VALU_DEP_2) | instskip(SKIP_1) | instid1(VALU_DEP_2)
	v_dual_fmac_f32 v14, v62, v61 :: v_dual_fmac_f32 v3, v64, v66
	v_fmac_f32_e32 v13, v65, v66
	v_fma_f32 v3, -v65, v67, v3
	s_delay_alu instid0(VALU_DEP_2) | instskip(NEXT) | instid1(VALU_DEP_1)
	v_dual_fmac_f32 v13, v64, v67 :: v_dual_add_nc_u32 v6, -1, v4
	v_lshlrev_b64 v[68:69], 3, v[6:7]
	v_add_nc_u32_e32 v6, -9, v4
	v_add_nc_u32_e32 v4, 0x240, v4
	s_delay_alu instid0(VALU_DEP_2) | instskip(SKIP_3) | instid1(VALU_DEP_3)
	v_lshlrev_b64 v[70:71], 3, v[6:7]
	v_add_nc_u32_e32 v6, 8, v22
	v_add_co_u32 v22, vcc_lo, s8, v68
	v_add_co_ci_u32_e32 v23, vcc_lo, s9, v69, vcc_lo
	v_lshlrev_b64 v[5:6], 3, v[6:7]
	v_add_co_u32 v68, vcc_lo, s8, v70
	global_load_b64 v[22:23], v[22:23], off
	v_add_co_ci_u32_e32 v69, vcc_lo, s9, v71, vcc_lo
	v_add_co_u32 v5, vcc_lo, s10, v5
	v_add_co_ci_u32_e32 v6, vcc_lo, s11, v6, vcc_lo
	global_load_b64 v[68:69], v[68:69], off
	global_load_b64 v[5:6], v[5:6], off
	v_cmp_ge_i32_e32 vcc_lo, v2, v15
	s_or_b32 s2, vcc_lo, s2
	s_waitcnt vmcnt(2)
	v_fmac_f32_e32 v8, v22, v66
	v_fmac_f32_e32 v14, v23, v66
	s_delay_alu instid0(VALU_DEP_2) | instskip(SKIP_1) | instid1(VALU_DEP_2)
	v_fma_f32 v8, -v23, v67, v8
	s_waitcnt vmcnt(0)
	v_dual_fmac_f32 v14, v22, v67 :: v_dual_fmac_f32 v13, v69, v5
	v_fmac_f32_e32 v3, v68, v5
	s_delay_alu instid0(VALU_DEP_3) | instskip(NEXT) | instid1(VALU_DEP_3)
	v_fmac_f32_e32 v8, v26, v5
	v_dual_fmac_f32 v14, v27, v5 :: v_dual_fmac_f32 v13, v68, v6
	s_delay_alu instid0(VALU_DEP_3) | instskip(NEXT) | instid1(VALU_DEP_3)
	v_fma_f32 v16, -v69, v6, v3
	v_fma_f32 v17, -v27, v6, v8
	s_delay_alu instid0(VALU_DEP_3)
	v_fmac_f32_e32 v14, v26, v6
	s_and_not1_b32 exec_lo, exec_lo, s2
	s_cbranch_execnz .LBB190_21
; %bb.22:
	s_or_b32 exec_lo, exec_lo, s2
.LBB190_23:
	s_delay_alu instid0(SALU_CYCLE_1)
	s_or_b32 exec_lo, exec_lo, s3
.LBB190_24:
	v_mbcnt_lo_u32_b32 v2, -1, 0
	s_delay_alu instid0(VALU_DEP_1) | instskip(SKIP_2) | instid1(VALU_DEP_3)
	v_xor_b32_e32 v3, 16, v2
	v_xor_b32_e32 v7, 8, v2
	;; [unrolled: 1-line block ×3, first 2 shown]
	v_cmp_gt_i32_e32 vcc_lo, 32, v3
	v_cndmask_b32_e32 v3, v2, v3, vcc_lo
	s_delay_alu instid0(VALU_DEP_4) | instskip(NEXT) | instid1(VALU_DEP_2)
	v_cmp_gt_i32_e32 vcc_lo, 32, v7
	v_lshlrev_b32_e32 v3, 2, v3
	ds_bpermute_b32 v6, v3, v17
	s_waitcnt lgkmcnt(0)
	v_add_f32_e32 v6, v17, v6
	ds_bpermute_b32 v4, v3, v16
	ds_bpermute_b32 v5, v3, v13
	;; [unrolled: 1-line block ×3, first 2 shown]
	s_waitcnt lgkmcnt(2)
	v_dual_add_f32 v4, v16, v4 :: v_dual_cndmask_b32 v7, v2, v7
	s_waitcnt lgkmcnt(0)
	v_add_f32_e32 v3, v14, v3
	v_cmp_gt_i32_e32 vcc_lo, 32, v15
	s_delay_alu instid0(VALU_DEP_3)
	v_lshlrev_b32_e32 v7, 2, v7
	v_cndmask_b32_e32 v15, v2, v15, vcc_lo
	ds_bpermute_b32 v14, v7, v6
	s_waitcnt lgkmcnt(0)
	v_add_f32_e32 v6, v6, v14
	ds_bpermute_b32 v8, v7, v4
	s_waitcnt lgkmcnt(0)
	v_dual_add_f32 v4, v4, v8 :: v_dual_lshlrev_b32 v15, 2, v15
	v_add_f32_e32 v5, v13, v5
	ds_bpermute_b32 v13, v7, v5
	ds_bpermute_b32 v7, v7, v3
	s_waitcnt lgkmcnt(0)
	v_add_f32_e32 v3, v3, v7
	ds_bpermute_b32 v7, v15, v4
	s_waitcnt lgkmcnt(0)
	v_dual_add_f32 v4, v4, v7 :: v_dual_add_f32 v5, v5, v13
	ds_bpermute_b32 v13, v15, v6
	s_waitcnt lgkmcnt(0)
	v_add_f32_e32 v6, v6, v13
	ds_bpermute_b32 v8, v15, v5
	ds_bpermute_b32 v14, v15, v3
	v_xor_b32_e32 v15, 2, v2
	s_delay_alu instid0(VALU_DEP_1) | instskip(SKIP_1) | instid1(VALU_DEP_1)
	v_cmp_gt_i32_e32 vcc_lo, 32, v15
	v_cndmask_b32_e32 v15, v2, v15, vcc_lo
	v_lshlrev_b32_e32 v15, 2, v15
	s_waitcnt lgkmcnt(0)
	v_add_f32_e32 v3, v3, v14
	ds_bpermute_b32 v7, v15, v4
	v_add_f32_e32 v5, v5, v8
	ds_bpermute_b32 v13, v15, v6
	ds_bpermute_b32 v14, v15, v3
	s_waitcnt lgkmcnt(2)
	v_add_f32_e32 v4, v4, v7
	ds_bpermute_b32 v8, v15, v5
	v_xor_b32_e32 v15, 1, v2
	s_waitcnt lgkmcnt(1)
	v_add_f32_e32 v3, v3, v14
	s_delay_alu instid0(VALU_DEP_2) | instskip(SKIP_2) | instid1(VALU_DEP_2)
	v_cmp_gt_i32_e32 vcc_lo, 32, v15
	v_cndmask_b32_e32 v2, v2, v15, vcc_lo
	v_cmp_eq_u32_e32 vcc_lo, 31, v0
	v_dual_add_f32 v2, v6, v13 :: v_dual_lshlrev_b32 v15, 2, v2
	s_waitcnt lgkmcnt(0)
	v_add_f32_e32 v5, v5, v8
	ds_bpermute_b32 v8, v15, v4
	ds_bpermute_b32 v6, v15, v2
	ds_bpermute_b32 v7, v15, v3
	ds_bpermute_b32 v13, v15, v5
	s_and_b32 exec_lo, exec_lo, vcc_lo
	s_cbranch_execz .LBB190_29
; %bb.25:
	s_load_b64 s[2:3], s[0:1], 0x38
	v_cmp_eq_f32_e32 vcc_lo, 0, v11
	v_cmp_eq_f32_e64 s0, 0, v12
	s_waitcnt lgkmcnt(0)
	v_dual_add_f32 v0, v4, v8 :: v_dual_add_f32 v3, v3, v7
	v_add_f32_e32 v4, v5, v13
	v_add_f32_e32 v2, v2, v6
	s_and_b32 s0, vcc_lo, s0
	s_delay_alu instid0(SALU_CYCLE_1) | instskip(NEXT) | instid1(SALU_CYCLE_1)
	s_and_saveexec_b32 s1, s0
	s_xor_b32 s0, exec_lo, s1
	s_cbranch_execz .LBB190_27
; %bb.26:
	v_mul_f32_e64 v5, v4, -v10
	v_mul_f32_e32 v6, v4, v9
	v_mul_f32_e64 v7, v3, -v10
	v_mul_f32_e32 v8, v3, v9
                                        ; implicit-def: $vgpr4
                                        ; implicit-def: $vgpr3
	s_delay_alu instid0(VALU_DEP_4) | instskip(NEXT) | instid1(VALU_DEP_4)
	v_fmac_f32_e32 v5, v9, v0
	v_dual_fmac_f32 v6, v10, v0 :: v_dual_lshlrev_b32 v11, 1, v1
	s_delay_alu instid0(VALU_DEP_4) | instskip(NEXT) | instid1(VALU_DEP_4)
	v_fmac_f32_e32 v7, v9, v2
	v_fmac_f32_e32 v8, v10, v2
                                        ; implicit-def: $vgpr9
                                        ; implicit-def: $vgpr10
                                        ; implicit-def: $vgpr2
	s_delay_alu instid0(VALU_DEP_3) | instskip(NEXT) | instid1(VALU_DEP_1)
	v_ashrrev_i32_e32 v12, 31, v11
	v_lshlrev_b64 v[11:12], 3, v[11:12]
	s_delay_alu instid0(VALU_DEP_1) | instskip(NEXT) | instid1(VALU_DEP_2)
	v_add_co_u32 v0, vcc_lo, s2, v11
	v_add_co_ci_u32_e32 v1, vcc_lo, s3, v12, vcc_lo
                                        ; implicit-def: $vgpr11
                                        ; implicit-def: $vgpr12
	global_store_b128 v[0:1], v[5:8], off
                                        ; implicit-def: $vgpr1
                                        ; implicit-def: $vgpr0
.LBB190_27:
	s_and_not1_saveexec_b32 s0, s0
	s_cbranch_execz .LBB190_29
; %bb.28:
	v_lshlrev_b32_e32 v5, 1, v1
	v_mul_f32_e64 v15, v4, -v10
	v_mul_f32_e32 v1, v4, v9
	v_mul_f32_e64 v4, v3, -v10
	v_mul_f32_e32 v3, v3, v9
	s_delay_alu instid0(VALU_DEP_4) | instskip(NEXT) | instid1(VALU_DEP_3)
	v_fmac_f32_e32 v15, v9, v0
	v_fmac_f32_e32 v4, v9, v2
	v_ashrrev_i32_e32 v6, 31, v5
	s_delay_alu instid0(VALU_DEP_4) | instskip(NEXT) | instid1(VALU_DEP_2)
	v_fmac_f32_e32 v3, v10, v2
	v_lshlrev_b64 v[5:6], 3, v[5:6]
	s_delay_alu instid0(VALU_DEP_1) | instskip(NEXT) | instid1(VALU_DEP_2)
	v_add_co_u32 v13, vcc_lo, s2, v5
	v_add_co_ci_u32_e32 v14, vcc_lo, s3, v6, vcc_lo
	global_load_b128 v[5:8], v[13:14], off
	s_waitcnt vmcnt(0)
	v_dual_fmac_f32 v4, v11, v7 :: v_dual_fmac_f32 v1, v10, v0
	v_fmac_f32_e32 v15, v11, v5
	v_fmac_f32_e32 v3, v12, v7
	s_delay_alu instid0(VALU_DEP_3) | instskip(NEXT) | instid1(VALU_DEP_4)
	v_fma_f32 v2, -v12, v8, v4
	v_fmac_f32_e32 v1, v12, v5
	s_delay_alu instid0(VALU_DEP_4) | instskip(NEXT) | instid1(VALU_DEP_4)
	v_fma_f32 v0, -v12, v6, v15
	v_fmac_f32_e32 v3, v11, v8
	s_delay_alu instid0(VALU_DEP_3)
	v_fmac_f32_e32 v1, v11, v6
	global_store_b128 v[13:14], v[0:3], off
.LBB190_29:
	s_nop 0
	s_sendmsg sendmsg(MSG_DEALLOC_VGPRS)
	s_endpgm
	.section	.rodata,"a",@progbits
	.p2align	6, 0x0
	.amdhsa_kernel _ZN9rocsparseL19gebsrmvn_2xn_kernelILj128ELj9ELj32E21rocsparse_complex_numIfEEEvi20rocsparse_direction_NS_24const_host_device_scalarIT2_EEPKiS8_PKS5_SA_S6_PS5_21rocsparse_index_base_b
		.amdhsa_group_segment_fixed_size 0
		.amdhsa_private_segment_fixed_size 0
		.amdhsa_kernarg_size 72
		.amdhsa_user_sgpr_count 15
		.amdhsa_user_sgpr_dispatch_ptr 0
		.amdhsa_user_sgpr_queue_ptr 0
		.amdhsa_user_sgpr_kernarg_segment_ptr 1
		.amdhsa_user_sgpr_dispatch_id 0
		.amdhsa_user_sgpr_private_segment_size 0
		.amdhsa_wavefront_size32 1
		.amdhsa_uses_dynamic_stack 0
		.amdhsa_enable_private_segment 0
		.amdhsa_system_sgpr_workgroup_id_x 1
		.amdhsa_system_sgpr_workgroup_id_y 0
		.amdhsa_system_sgpr_workgroup_id_z 0
		.amdhsa_system_sgpr_workgroup_info 0
		.amdhsa_system_vgpr_workitem_id 0
		.amdhsa_next_free_vgpr 72
		.amdhsa_next_free_sgpr 16
		.amdhsa_reserve_vcc 1
		.amdhsa_float_round_mode_32 0
		.amdhsa_float_round_mode_16_64 0
		.amdhsa_float_denorm_mode_32 3
		.amdhsa_float_denorm_mode_16_64 3
		.amdhsa_dx10_clamp 1
		.amdhsa_ieee_mode 1
		.amdhsa_fp16_overflow 0
		.amdhsa_workgroup_processor_mode 1
		.amdhsa_memory_ordered 1
		.amdhsa_forward_progress 0
		.amdhsa_shared_vgpr_count 0
		.amdhsa_exception_fp_ieee_invalid_op 0
		.amdhsa_exception_fp_denorm_src 0
		.amdhsa_exception_fp_ieee_div_zero 0
		.amdhsa_exception_fp_ieee_overflow 0
		.amdhsa_exception_fp_ieee_underflow 0
		.amdhsa_exception_fp_ieee_inexact 0
		.amdhsa_exception_int_div_zero 0
	.end_amdhsa_kernel
	.section	.text._ZN9rocsparseL19gebsrmvn_2xn_kernelILj128ELj9ELj32E21rocsparse_complex_numIfEEEvi20rocsparse_direction_NS_24const_host_device_scalarIT2_EEPKiS8_PKS5_SA_S6_PS5_21rocsparse_index_base_b,"axG",@progbits,_ZN9rocsparseL19gebsrmvn_2xn_kernelILj128ELj9ELj32E21rocsparse_complex_numIfEEEvi20rocsparse_direction_NS_24const_host_device_scalarIT2_EEPKiS8_PKS5_SA_S6_PS5_21rocsparse_index_base_b,comdat
.Lfunc_end190:
	.size	_ZN9rocsparseL19gebsrmvn_2xn_kernelILj128ELj9ELj32E21rocsparse_complex_numIfEEEvi20rocsparse_direction_NS_24const_host_device_scalarIT2_EEPKiS8_PKS5_SA_S6_PS5_21rocsparse_index_base_b, .Lfunc_end190-_ZN9rocsparseL19gebsrmvn_2xn_kernelILj128ELj9ELj32E21rocsparse_complex_numIfEEEvi20rocsparse_direction_NS_24const_host_device_scalarIT2_EEPKiS8_PKS5_SA_S6_PS5_21rocsparse_index_base_b
                                        ; -- End function
	.section	.AMDGPU.csdata,"",@progbits
; Kernel info:
; codeLenInByte = 3992
; NumSgprs: 18
; NumVgprs: 72
; ScratchSize: 0
; MemoryBound: 0
; FloatMode: 240
; IeeeMode: 1
; LDSByteSize: 0 bytes/workgroup (compile time only)
; SGPRBlocks: 2
; VGPRBlocks: 8
; NumSGPRsForWavesPerEU: 18
; NumVGPRsForWavesPerEU: 72
; Occupancy: 16
; WaveLimiterHint : 1
; COMPUTE_PGM_RSRC2:SCRATCH_EN: 0
; COMPUTE_PGM_RSRC2:USER_SGPR: 15
; COMPUTE_PGM_RSRC2:TRAP_HANDLER: 0
; COMPUTE_PGM_RSRC2:TGID_X_EN: 1
; COMPUTE_PGM_RSRC2:TGID_Y_EN: 0
; COMPUTE_PGM_RSRC2:TGID_Z_EN: 0
; COMPUTE_PGM_RSRC2:TIDIG_COMP_CNT: 0
	.section	.text._ZN9rocsparseL19gebsrmvn_2xn_kernelILj128ELj9ELj64E21rocsparse_complex_numIfEEEvi20rocsparse_direction_NS_24const_host_device_scalarIT2_EEPKiS8_PKS5_SA_S6_PS5_21rocsparse_index_base_b,"axG",@progbits,_ZN9rocsparseL19gebsrmvn_2xn_kernelILj128ELj9ELj64E21rocsparse_complex_numIfEEEvi20rocsparse_direction_NS_24const_host_device_scalarIT2_EEPKiS8_PKS5_SA_S6_PS5_21rocsparse_index_base_b,comdat
	.globl	_ZN9rocsparseL19gebsrmvn_2xn_kernelILj128ELj9ELj64E21rocsparse_complex_numIfEEEvi20rocsparse_direction_NS_24const_host_device_scalarIT2_EEPKiS8_PKS5_SA_S6_PS5_21rocsparse_index_base_b ; -- Begin function _ZN9rocsparseL19gebsrmvn_2xn_kernelILj128ELj9ELj64E21rocsparse_complex_numIfEEEvi20rocsparse_direction_NS_24const_host_device_scalarIT2_EEPKiS8_PKS5_SA_S6_PS5_21rocsparse_index_base_b
	.p2align	8
	.type	_ZN9rocsparseL19gebsrmvn_2xn_kernelILj128ELj9ELj64E21rocsparse_complex_numIfEEEvi20rocsparse_direction_NS_24const_host_device_scalarIT2_EEPKiS8_PKS5_SA_S6_PS5_21rocsparse_index_base_b,@function
_ZN9rocsparseL19gebsrmvn_2xn_kernelILj128ELj9ELj64E21rocsparse_complex_numIfEEEvi20rocsparse_direction_NS_24const_host_device_scalarIT2_EEPKiS8_PKS5_SA_S6_PS5_21rocsparse_index_base_b: ; @_ZN9rocsparseL19gebsrmvn_2xn_kernelILj128ELj9ELj64E21rocsparse_complex_numIfEEEvi20rocsparse_direction_NS_24const_host_device_scalarIT2_EEPKiS8_PKS5_SA_S6_PS5_21rocsparse_index_base_b
; %bb.0:
	s_clause 0x2
	s_load_b64 s[12:13], s[0:1], 0x40
	s_load_b64 s[4:5], s[0:1], 0x8
	;; [unrolled: 1-line block ×3, first 2 shown]
	s_waitcnt lgkmcnt(0)
	s_bitcmp1_b32 s13, 0
	v_mov_b32_e32 v9, s4
	s_cselect_b32 s6, -1, 0
	s_delay_alu instid0(SALU_CYCLE_1)
	s_and_b32 vcc_lo, exec_lo, s6
	s_xor_b32 s6, s6, -1
	s_cbranch_vccz .LBB191_15
; %bb.1:
	v_cndmask_b32_e64 v1, 0, 1, s6
	v_mov_b32_e32 v10, s5
	s_and_not1_b32 vcc_lo, exec_lo, s6
	s_cbranch_vccz .LBB191_16
.LBB191_2:
	s_delay_alu instid0(VALU_DEP_2)
	v_cmp_ne_u32_e32 vcc_lo, 1, v1
	v_mov_b32_e32 v11, s2
	s_cbranch_vccz .LBB191_17
.LBB191_3:
	v_cmp_ne_u32_e32 vcc_lo, 1, v1
	v_mov_b32_e32 v12, s3
	s_cbranch_vccnz .LBB191_5
.LBB191_4:
	v_dual_mov_b32 v1, s2 :: v_dual_mov_b32 v2, s3
	flat_load_b32 v12, v[1:2] offset:4
.LBB191_5:
	s_waitcnt vmcnt(0) lgkmcnt(0)
	v_cmp_eq_f32_e32 vcc_lo, 0, v9
	v_cmp_eq_f32_e64 s2, 0, v10
	s_delay_alu instid0(VALU_DEP_1)
	s_and_b32 s4, vcc_lo, s2
	s_mov_b32 s2, -1
	s_and_saveexec_b32 s3, s4
; %bb.6:
	v_cmp_neq_f32_e32 vcc_lo, 1.0, v11
	v_cmp_neq_f32_e64 s2, 0, v12
	s_delay_alu instid0(VALU_DEP_1) | instskip(NEXT) | instid1(SALU_CYCLE_1)
	s_or_b32 s2, vcc_lo, s2
	s_or_not1_b32 s2, s2, exec_lo
; %bb.7:
	s_or_b32 exec_lo, exec_lo, s3
	s_and_saveexec_b32 s3, s2
	s_cbranch_execz .LBB191_29
; %bb.8:
	s_load_b64 s[2:3], s[0:1], 0x0
	v_lshrrev_b32_e32 v1, 6, v0
	s_delay_alu instid0(VALU_DEP_1) | instskip(SKIP_1) | instid1(VALU_DEP_1)
	v_lshl_or_b32 v1, s15, 1, v1
	s_waitcnt lgkmcnt(0)
	v_cmp_gt_i32_e32 vcc_lo, s2, v1
	s_and_b32 exec_lo, exec_lo, vcc_lo
	s_cbranch_execz .LBB191_29
; %bb.9:
	s_load_b256 s[4:11], s[0:1], 0x10
	v_ashrrev_i32_e32 v2, 31, v1
	v_and_b32_e32 v0, 63, v0
	s_cmp_lg_u32 s3, 0
	s_delay_alu instid0(VALU_DEP_2) | instskip(SKIP_1) | instid1(VALU_DEP_1)
	v_lshlrev_b64 v[2:3], 2, v[1:2]
	s_waitcnt lgkmcnt(0)
	v_add_co_u32 v2, vcc_lo, s4, v2
	s_delay_alu instid0(VALU_DEP_2) | instskip(SKIP_4) | instid1(VALU_DEP_2)
	v_add_co_ci_u32_e32 v3, vcc_lo, s5, v3, vcc_lo
	global_load_b64 v[2:3], v[2:3], off
	s_waitcnt vmcnt(0)
	v_subrev_nc_u32_e32 v2, s12, v2
	v_subrev_nc_u32_e32 v15, s12, v3
	v_add_nc_u32_e32 v2, v2, v0
	s_delay_alu instid0(VALU_DEP_1)
	v_cmp_lt_i32_e64 s2, v2, v15
	s_cbranch_scc0 .LBB191_18
; %bb.10:
	v_dual_mov_b32 v13, 0 :: v_dual_mov_b32 v16, 0
	v_dual_mov_b32 v17, 0 :: v_dual_mov_b32 v14, 0
	s_mov_b32 s3, 0
	s_and_saveexec_b32 s4, s2
	s_cbranch_execz .LBB191_14
; %bb.11:
	v_mad_u64_u32 v[3:4], null, v2, 18, 16
	v_dual_mov_b32 v6, 0 :: v_dual_mov_b32 v7, v2
	v_dual_mov_b32 v13, 0 :: v_dual_mov_b32 v16, 0
	v_dual_mov_b32 v17, 0 :: v_dual_mov_b32 v14, 0
	s_mov_b32 s5, 0
.LBB191_12:                             ; =>This Inner Loop Header: Depth=1
	s_delay_alu instid0(VALU_DEP_3) | instskip(NEXT) | instid1(VALU_DEP_1)
	v_ashrrev_i32_e32 v8, 31, v7
	v_lshlrev_b64 v[4:5], 2, v[7:8]
	s_delay_alu instid0(VALU_DEP_1) | instskip(NEXT) | instid1(VALU_DEP_2)
	v_add_co_u32 v4, vcc_lo, s6, v4
	v_add_co_ci_u32_e32 v5, vcc_lo, s7, v5, vcc_lo
	global_load_b32 v8, v[4:5], off
	v_dual_mov_b32 v4, v6 :: v_dual_add_nc_u32 v5, -16, v3
	s_delay_alu instid0(VALU_DEP_1) | instskip(SKIP_1) | instid1(VALU_DEP_3)
	v_lshlrev_b64 v[18:19], 3, v[5:6]
	v_add_nc_u32_e32 v5, -14, v3
	v_lshlrev_b64 v[20:21], 3, v[3:4]
	s_delay_alu instid0(VALU_DEP_2) | instskip(NEXT) | instid1(VALU_DEP_4)
	v_lshlrev_b64 v[4:5], 3, v[5:6]
	v_add_co_u32 v18, vcc_lo, s8, v18
	v_add_co_ci_u32_e32 v19, vcc_lo, s9, v19, vcc_lo
	s_delay_alu instid0(VALU_DEP_4)
	v_add_co_u32 v50, vcc_lo, s8, v20
	v_add_co_ci_u32_e32 v51, vcc_lo, s9, v21, vcc_lo
	v_add_co_u32 v4, vcc_lo, s8, v4
	v_add_co_ci_u32_e32 v5, vcc_lo, s9, v5, vcc_lo
	s_clause 0x1
	global_load_b128 v[18:21], v[18:19], off
	global_load_b128 v[22:25], v[4:5], off
	v_mov_b32_e32 v47, v6
	s_waitcnt vmcnt(2)
	v_subrev_nc_u32_e32 v4, s12, v8
	s_delay_alu instid0(VALU_DEP_1) | instskip(NEXT) | instid1(VALU_DEP_1)
	v_lshl_add_u32 v46, v4, 3, v4
	v_lshlrev_b64 v[26:27], 3, v[46:47]
	s_delay_alu instid0(VALU_DEP_1) | instskip(NEXT) | instid1(VALU_DEP_2)
	v_add_co_u32 v26, vcc_lo, s10, v26
	v_add_co_ci_u32_e32 v27, vcc_lo, s11, v27, vcc_lo
	global_load_b64 v[54:55], v[26:27], off
	v_add_nc_u32_e32 v5, 1, v46
	s_delay_alu instid0(VALU_DEP_1) | instskip(NEXT) | instid1(VALU_DEP_1)
	v_lshlrev_b64 v[28:29], 3, v[5:6]
	v_add_co_u32 v28, vcc_lo, s10, v28
	s_delay_alu instid0(VALU_DEP_2)
	v_add_co_ci_u32_e32 v29, vcc_lo, s11, v29, vcc_lo
	global_load_b64 v[56:57], v[28:29], off
	s_waitcnt vmcnt(1)
	v_fmac_f32_e32 v16, v18, v54
	v_fmac_f32_e32 v17, v20, v54
	;; [unrolled: 1-line block ×3, first 2 shown]
	s_delay_alu instid0(VALU_DEP_3) | instskip(SKIP_1) | instid1(VALU_DEP_4)
	v_fma_f32 v8, -v19, v55, v16
	v_add_nc_u32_e32 v5, -12, v3
	v_fma_f32 v16, -v21, v55, v17
	s_delay_alu instid0(VALU_DEP_4)
	v_fmac_f32_e32 v14, v20, v55
	s_waitcnt vmcnt(0)
	v_fmac_f32_e32 v8, v22, v56
	v_lshlrev_b64 v[30:31], 3, v[5:6]
	v_dual_fmac_f32 v16, v24, v56 :: v_dual_add_nc_u32 v5, 2, v46
	v_fmac_f32_e32 v14, v25, v56
	s_delay_alu instid0(VALU_DEP_4) | instskip(NEXT) | instid1(VALU_DEP_3)
	v_fma_f32 v8, -v23, v57, v8
	v_lshlrev_b64 v[26:27], 3, v[5:6]
	v_add_co_u32 v28, vcc_lo, s8, v30
	v_add_nc_u32_e32 v5, -10, v3
	v_add_co_ci_u32_e32 v29, vcc_lo, s9, v31, vcc_lo
	s_delay_alu instid0(VALU_DEP_4) | instskip(SKIP_1) | instid1(VALU_DEP_4)
	v_add_co_u32 v32, vcc_lo, s10, v26
	v_add_co_ci_u32_e32 v33, vcc_lo, s11, v27, vcc_lo
	v_lshlrev_b64 v[30:31], 3, v[5:6]
	v_dual_fmac_f32 v14, v24, v57 :: v_dual_add_nc_u32 v5, 3, v46
	global_load_b128 v[26:29], v[28:29], off
	global_load_b64 v[58:59], v[32:33], off
	v_fma_f32 v16, -v25, v57, v16
	v_lshlrev_b64 v[34:35], 3, v[5:6]
	v_add_co_u32 v30, vcc_lo, s8, v30
	v_add_co_ci_u32_e32 v31, vcc_lo, s9, v31, vcc_lo
	s_delay_alu instid0(VALU_DEP_3) | instskip(NEXT) | instid1(VALU_DEP_4)
	v_add_co_u32 v34, vcc_lo, s10, v34
	v_add_co_ci_u32_e32 v35, vcc_lo, s11, v35, vcc_lo
	global_load_b64 v[60:61], v[34:35], off
	global_load_b128 v[30:33], v[30:31], off
	s_waitcnt vmcnt(2)
	v_dual_fmac_f32 v8, v26, v58 :: v_dual_add_nc_u32 v5, -8, v3
	s_delay_alu instid0(VALU_DEP_1) | instskip(SKIP_4) | instid1(VALU_DEP_4)
	v_lshlrev_b64 v[36:37], 3, v[5:6]
	v_fmac_f32_e32 v14, v29, v58
	v_add_nc_u32_e32 v5, 4, v46
	v_fmac_f32_e32 v16, v28, v58
	v_fma_f32 v8, -v27, v59, v8
	v_fmac_f32_e32 v14, v28, v59
	s_delay_alu instid0(VALU_DEP_4) | instskip(SKIP_3) | instid1(VALU_DEP_3)
	v_lshlrev_b64 v[38:39], 3, v[5:6]
	v_add_nc_u32_e32 v5, -6, v3
	v_add_co_u32 v34, vcc_lo, s8, v36
	v_add_co_ci_u32_e32 v35, vcc_lo, s9, v37, vcc_lo
	v_lshlrev_b64 v[40:41], 3, v[5:6]
	s_waitcnt vmcnt(0)
	v_dual_fmac_f32 v8, v30, v60 :: v_dual_add_nc_u32 v5, 5, v46
	v_add_co_u32 v38, vcc_lo, s10, v38
	v_add_co_ci_u32_e32 v39, vcc_lo, s11, v39, vcc_lo
	s_delay_alu instid0(VALU_DEP_3)
	v_lshlrev_b64 v[42:43], 3, v[5:6]
	global_load_b128 v[34:37], v[34:35], off
	v_fma_f32 v16, -v29, v59, v16
	global_load_b64 v[62:63], v[38:39], off
	v_add_co_u32 v38, vcc_lo, s8, v40
	v_add_co_ci_u32_e32 v39, vcc_lo, s9, v41, vcc_lo
	v_add_co_u32 v42, vcc_lo, s10, v42
	v_add_co_ci_u32_e32 v43, vcc_lo, s11, v43, vcc_lo
	global_load_b128 v[38:41], v[38:39], off
	v_dual_fmac_f32 v16, v32, v60 :: v_dual_add_nc_u32 v5, -4, v3
	global_load_b64 v[64:65], v[42:43], off
	v_fmac_f32_e32 v14, v33, v60
	v_fma_f32 v8, -v31, v61, v8
	v_lshlrev_b64 v[44:45], 3, v[5:6]
	v_add_nc_u32_e32 v5, 6, v46
	v_fma_f32 v16, -v33, v61, v16
	v_fmac_f32_e32 v14, v32, v61
	s_delay_alu instid0(VALU_DEP_3) | instskip(SKIP_3) | instid1(VALU_DEP_4)
	v_lshlrev_b64 v[47:48], 3, v[5:6]
	v_add_co_u32 v42, vcc_lo, s8, v44
	v_add_co_ci_u32_e32 v43, vcc_lo, s9, v45, vcc_lo
	v_add_nc_u32_e32 v5, -2, v3
	v_add_co_u32 v47, vcc_lo, s10, v47
	v_add_co_ci_u32_e32 v48, vcc_lo, s11, v48, vcc_lo
	global_load_b128 v[42:45], v[42:43], off
	v_lshlrev_b64 v[52:53], 3, v[5:6]
	v_add_nc_u32_e32 v3, 0x480, v3
	global_load_b64 v[68:69], v[47:48], off
	s_waitcnt vmcnt(4)
	v_fmac_f32_e32 v16, v36, v62
	v_fmac_f32_e32 v14, v37, v62
	v_add_nc_u32_e32 v5, 7, v46
	v_fmac_f32_e32 v8, v34, v62
	s_delay_alu instid0(VALU_DEP_4) | instskip(NEXT) | instid1(VALU_DEP_4)
	v_fma_f32 v16, -v37, v63, v16
	v_dual_fmac_f32 v14, v36, v63 :: v_dual_fmac_f32 v13, v19, v54
	s_delay_alu instid0(VALU_DEP_4) | instskip(NEXT) | instid1(VALU_DEP_4)
	v_lshlrev_b64 v[66:67], 3, v[5:6]
	v_fma_f32 v8, -v35, v63, v8
	v_add_nc_u32_e32 v5, 8, v46
	v_add_co_u32 v46, vcc_lo, s8, v52
	s_waitcnt vmcnt(2)
	v_fmac_f32_e32 v16, v40, v64
	v_fmac_f32_e32 v8, v38, v64
	;; [unrolled: 1-line block ×3, first 2 shown]
	v_add_co_ci_u32_e32 v47, vcc_lo, s9, v53, vcc_lo
	v_add_co_u32 v52, vcc_lo, s10, v66
	s_delay_alu instid0(VALU_DEP_3)
	v_fmac_f32_e32 v13, v23, v56
	v_add_co_ci_u32_e32 v53, vcc_lo, s11, v67, vcc_lo
	global_load_b128 v[46:49], v[46:47], off
	global_load_b64 v[66:67], v[52:53], off
	v_lshlrev_b64 v[4:5], 3, v[5:6]
	v_fma_f32 v16, -v41, v65, v16
	v_dual_fmac_f32 v13, v22, v57 :: v_dual_fmac_f32 v14, v41, v64
	v_fma_f32 v8, -v39, v65, v8
	s_delay_alu instid0(VALU_DEP_4)
	v_add_co_u32 v4, vcc_lo, s10, v4
	s_waitcnt vmcnt(2)
	v_fmac_f32_e32 v16, v44, v68
	v_add_co_ci_u32_e32 v5, vcc_lo, s11, v5, vcc_lo
	global_load_b128 v[50:53], v[50:51], off
	global_load_b64 v[4:5], v[4:5], off
	v_dual_fmac_f32 v13, v27, v58 :: v_dual_fmac_f32 v14, v40, v65
	v_fma_f32 v16, -v45, v69, v16
	v_fmac_f32_e32 v8, v42, v68
	s_delay_alu instid0(VALU_DEP_3) | instskip(NEXT) | instid1(VALU_DEP_2)
	v_dual_fmac_f32 v13, v26, v59 :: v_dual_fmac_f32 v14, v45, v68
	v_fma_f32 v8, -v43, v69, v8
	s_delay_alu instid0(VALU_DEP_2) | instskip(SKIP_1) | instid1(VALU_DEP_1)
	v_dual_fmac_f32 v13, v31, v60 :: v_dual_fmac_f32 v14, v44, v69
	s_waitcnt vmcnt(2)
	v_dual_fmac_f32 v13, v30, v61 :: v_dual_fmac_f32 v16, v48, v66
	s_delay_alu instid0(VALU_DEP_1) | instskip(SKIP_2) | instid1(VALU_DEP_4)
	v_fmac_f32_e32 v13, v35, v62
	v_fmac_f32_e32 v8, v46, v66
	;; [unrolled: 1-line block ×3, first 2 shown]
	v_fma_f32 v17, -v49, v67, v16
	s_delay_alu instid0(VALU_DEP_4) | instskip(NEXT) | instid1(VALU_DEP_4)
	v_fmac_f32_e32 v13, v34, v63
	v_fma_f32 v8, -v47, v67, v8
	s_delay_alu instid0(VALU_DEP_4) | instskip(SKIP_1) | instid1(VALU_DEP_4)
	v_fmac_f32_e32 v14, v48, v67
	v_add_nc_u32_e32 v7, 64, v7
	v_fmac_f32_e32 v13, v39, v64
	s_waitcnt vmcnt(0)
	v_fmac_f32_e32 v17, v52, v4
	s_delay_alu instid0(VALU_DEP_2) | instskip(SKIP_2) | instid1(VALU_DEP_4)
	v_dual_fmac_f32 v14, v53, v4 :: v_dual_fmac_f32 v13, v38, v65
	v_cmp_ge_i32_e32 vcc_lo, v7, v15
	v_fmac_f32_e32 v8, v50, v4
	v_fma_f32 v17, -v53, v5, v17
	s_delay_alu instid0(VALU_DEP_4) | instskip(SKIP_1) | instid1(VALU_DEP_3)
	v_dual_fmac_f32 v14, v52, v5 :: v_dual_fmac_f32 v13, v43, v68
	s_or_b32 s5, vcc_lo, s5
	v_fma_f32 v16, -v51, v5, v8
	s_delay_alu instid0(VALU_DEP_2) | instskip(NEXT) | instid1(VALU_DEP_1)
	v_fmac_f32_e32 v13, v42, v69
	v_fmac_f32_e32 v13, v47, v66
	s_delay_alu instid0(VALU_DEP_1) | instskip(NEXT) | instid1(VALU_DEP_1)
	v_fmac_f32_e32 v13, v46, v67
	v_fmac_f32_e32 v13, v51, v4
	s_delay_alu instid0(VALU_DEP_1)
	v_fmac_f32_e32 v13, v50, v5
	s_and_not1_b32 exec_lo, exec_lo, s5
	s_cbranch_execnz .LBB191_12
; %bb.13:
	s_or_b32 exec_lo, exec_lo, s5
.LBB191_14:
	s_delay_alu instid0(SALU_CYCLE_1) | instskip(NEXT) | instid1(SALU_CYCLE_1)
	s_or_b32 exec_lo, exec_lo, s4
	s_and_not1_b32 vcc_lo, exec_lo, s3
	s_cbranch_vccz .LBB191_19
	s_branch .LBB191_24
.LBB191_15:
	v_dual_mov_b32 v1, s4 :: v_dual_mov_b32 v2, s5
	flat_load_b32 v9, v[1:2]
	v_cndmask_b32_e64 v1, 0, 1, s6
	v_mov_b32_e32 v10, s5
	s_and_not1_b32 vcc_lo, exec_lo, s6
	s_cbranch_vccnz .LBB191_2
.LBB191_16:
	v_dual_mov_b32 v2, s4 :: v_dual_mov_b32 v3, s5
	flat_load_b32 v10, v[2:3] offset:4
	v_cmp_ne_u32_e32 vcc_lo, 1, v1
	v_mov_b32_e32 v11, s2
	s_cbranch_vccnz .LBB191_3
.LBB191_17:
	v_dual_mov_b32 v2, s2 :: v_dual_mov_b32 v3, s3
	flat_load_b32 v11, v[2:3]
	v_cmp_ne_u32_e32 vcc_lo, 1, v1
	v_mov_b32_e32 v12, s3
	s_cbranch_vccz .LBB191_4
	s_branch .LBB191_5
.LBB191_18:
                                        ; implicit-def: $vgpr13
                                        ; implicit-def: $vgpr16
                                        ; implicit-def: $vgpr17
                                        ; implicit-def: $vgpr14
.LBB191_19:
	v_dual_mov_b32 v13, 0 :: v_dual_mov_b32 v16, 0
	v_dual_mov_b32 v17, 0 :: v_dual_mov_b32 v14, 0
	s_delay_alu instid0(VALU_DEP_3)
	s_and_saveexec_b32 s3, s2
	s_cbranch_execz .LBB191_23
; %bb.20:
	v_mad_u64_u32 v[4:5], null, v2, 18, 17
	v_dual_mov_b32 v7, 0 :: v_dual_mov_b32 v16, 0
	v_dual_mov_b32 v13, 0 :: v_dual_mov_b32 v14, 0
	v_mov_b32_e32 v17, 0
	s_mov_b32 s2, 0
.LBB191_21:                             ; =>This Inner Loop Header: Depth=1
	v_ashrrev_i32_e32 v3, 31, v2
	v_dual_mov_b32 v23, v7 :: v_dual_add_nc_u32 v18, -8, v4
	s_delay_alu instid0(VALU_DEP_2) | instskip(SKIP_1) | instid1(VALU_DEP_2)
	v_lshlrev_b64 v[5:6], 2, v[2:3]
	v_add_nc_u32_e32 v2, 64, v2
	v_add_co_u32 v5, vcc_lo, s6, v5
	s_delay_alu instid0(VALU_DEP_3) | instskip(SKIP_3) | instid1(VALU_DEP_2)
	v_add_co_ci_u32_e32 v6, vcc_lo, s7, v6, vcc_lo
	global_load_b32 v3, v[5:6], off
	v_subrev_nc_u32_e32 v6, 17, v4
	v_mov_b32_e32 v5, v7
	v_lshlrev_b64 v[20:21], 3, v[6:7]
	s_delay_alu instid0(VALU_DEP_2) | instskip(NEXT) | instid1(VALU_DEP_2)
	v_lshlrev_b64 v[5:6], 3, v[4:5]
	v_add_co_u32 v20, vcc_lo, s8, v20
	s_delay_alu instid0(VALU_DEP_3) | instskip(SKIP_2) | instid1(VALU_DEP_1)
	v_add_co_ci_u32_e32 v21, vcc_lo, s9, v21, vcc_lo
	s_waitcnt vmcnt(0)
	v_subrev_nc_u32_e32 v3, s12, v3
	v_lshl_add_u32 v22, v3, 3, v3
	v_mov_b32_e32 v19, v7
	s_delay_alu instid0(VALU_DEP_2) | instskip(NEXT) | instid1(VALU_DEP_2)
	v_lshlrev_b64 v[28:29], 3, v[22:23]
	v_lshlrev_b64 v[18:19], 3, v[18:19]
	s_delay_alu instid0(VALU_DEP_1) | instskip(NEXT) | instid1(VALU_DEP_2)
	v_add_co_u32 v24, vcc_lo, s8, v18
	v_add_co_ci_u32_e32 v25, vcc_lo, s9, v19, vcc_lo
	v_add_co_u32 v5, vcc_lo, s8, v5
	v_add_co_ci_u32_e32 v6, vcc_lo, s9, v6, vcc_lo
	;; [unrolled: 2-line block ×3, first 2 shown]
	s_clause 0x2
	global_load_b128 v[18:21], v[20:21], off
	global_load_b64 v[24:25], v[24:25], off
	global_load_b64 v[26:27], v[5:6], off
	v_add_nc_u32_e32 v6, 1, v22
	global_load_b64 v[28:29], v[28:29], off
	v_lshlrev_b64 v[30:31], 3, v[6:7]
	v_add_nc_u32_e32 v6, -7, v4
	s_delay_alu instid0(VALU_DEP_2) | instskip(NEXT) | instid1(VALU_DEP_3)
	v_add_co_u32 v30, vcc_lo, s10, v30
	v_add_co_ci_u32_e32 v31, vcc_lo, s11, v31, vcc_lo
	s_delay_alu instid0(VALU_DEP_3)
	v_lshlrev_b64 v[32:33], 3, v[6:7]
	global_load_b64 v[30:31], v[30:31], off
	v_add_co_u32 v32, vcc_lo, s8, v32
	v_add_co_ci_u32_e32 v33, vcc_lo, s9, v33, vcc_lo
	global_load_b64 v[32:33], v[32:33], off
	s_waitcnt vmcnt(2)
	v_fmac_f32_e32 v14, v25, v28
	v_fmac_f32_e32 v13, v19, v28
	v_fmac_f32_e32 v16, v18, v28
	v_fmac_f32_e32 v17, v24, v28
	s_delay_alu instid0(VALU_DEP_4) | instskip(NEXT) | instid1(VALU_DEP_4)
	v_fmac_f32_e32 v14, v24, v29
	v_dual_fmac_f32 v13, v18, v29 :: v_dual_add_nc_u32 v6, -15, v4
	s_delay_alu instid0(VALU_DEP_4) | instskip(NEXT) | instid1(VALU_DEP_4)
	v_fma_f32 v3, -v19, v29, v16
	v_fma_f32 v8, -v25, v29, v17
	s_delay_alu instid0(VALU_DEP_3) | instskip(SKIP_3) | instid1(VALU_DEP_2)
	v_lshlrev_b64 v[34:35], 3, v[6:7]
	v_add_nc_u32_e32 v6, 2, v22
	s_waitcnt vmcnt(1)
	v_fmac_f32_e32 v3, v20, v30
	v_lshlrev_b64 v[36:37], 3, v[6:7]
	v_add_nc_u32_e32 v6, -6, v4
	v_add_co_u32 v34, vcc_lo, s8, v34
	v_add_co_ci_u32_e32 v35, vcc_lo, s9, v35, vcc_lo
	s_delay_alu instid0(VALU_DEP_3) | instskip(SKIP_3) | instid1(VALU_DEP_3)
	v_lshlrev_b64 v[38:39], 3, v[6:7]
	v_dual_fmac_f32 v13, v21, v30 :: v_dual_add_nc_u32 v6, -14, v4
	v_add_co_u32 v36, vcc_lo, s10, v36
	v_add_co_ci_u32_e32 v37, vcc_lo, s11, v37, vcc_lo
	v_lshlrev_b64 v[40:41], 3, v[6:7]
	s_delay_alu instid0(VALU_DEP_4) | instskip(SKIP_2) | instid1(VALU_DEP_3)
	v_dual_fmac_f32 v13, v20, v31 :: v_dual_add_nc_u32 v6, 3, v22
	v_add_co_u32 v38, vcc_lo, s8, v38
	v_add_co_ci_u32_e32 v39, vcc_lo, s9, v39, vcc_lo
	v_lshlrev_b64 v[42:43], 3, v[6:7]
	global_load_b64 v[34:35], v[34:35], off
	global_load_b64 v[36:37], v[36:37], off
	v_add_co_u32 v40, vcc_lo, s8, v40
	v_add_co_ci_u32_e32 v41, vcc_lo, s9, v41, vcc_lo
	v_add_co_u32 v42, vcc_lo, s10, v42
	v_add_co_ci_u32_e32 v43, vcc_lo, s11, v43, vcc_lo
	s_clause 0x1
	global_load_b64 v[38:39], v[38:39], off
	global_load_b64 v[40:41], v[40:41], off
	v_fma_f32 v3, -v21, v31, v3
	global_load_b64 v[42:43], v[42:43], off
	s_waitcnt vmcnt(5)
	v_fmac_f32_e32 v8, v32, v30
	s_waitcnt vmcnt(3)
	v_dual_fmac_f32 v14, v33, v30 :: v_dual_fmac_f32 v13, v35, v36
	v_add_nc_u32_e32 v6, -5, v4
	v_fmac_f32_e32 v3, v34, v36
	v_fma_f32 v8, -v33, v31, v8
	s_delay_alu instid0(VALU_DEP_4) | instskip(NEXT) | instid1(VALU_DEP_4)
	v_fmac_f32_e32 v13, v34, v37
	v_lshlrev_b64 v[44:45], 3, v[6:7]
	s_delay_alu instid0(VALU_DEP_4) | instskip(SKIP_2) | instid1(VALU_DEP_2)
	v_fma_f32 v3, -v35, v37, v3
	v_add_nc_u32_e32 v6, -13, v4
	s_waitcnt vmcnt(0)
	v_dual_fmac_f32 v8, v38, v36 :: v_dual_fmac_f32 v3, v40, v42
	s_delay_alu instid0(VALU_DEP_2) | instskip(SKIP_4) | instid1(VALU_DEP_4)
	v_lshlrev_b64 v[46:47], 3, v[6:7]
	v_fmac_f32_e32 v13, v41, v42
	v_add_nc_u32_e32 v6, 4, v22
	v_add_co_u32 v44, vcc_lo, s8, v44
	v_add_co_ci_u32_e32 v45, vcc_lo, s9, v45, vcc_lo
	v_fmac_f32_e32 v13, v40, v43
	s_delay_alu instid0(VALU_DEP_4)
	v_lshlrev_b64 v[48:49], 3, v[6:7]
	v_add_co_u32 v46, vcc_lo, s8, v46
	v_add_co_ci_u32_e32 v47, vcc_lo, s9, v47, vcc_lo
	global_load_b64 v[44:45], v[44:45], off
	v_add_co_u32 v48, vcc_lo, s10, v48
	global_load_b64 v[46:47], v[46:47], off
	v_add_co_ci_u32_e32 v49, vcc_lo, s11, v49, vcc_lo
	v_fma_f32 v3, -v41, v43, v3
	v_fma_f32 v8, -v39, v37, v8
	global_load_b64 v[48:49], v[48:49], off
	s_waitcnt vmcnt(0)
	v_dual_fmac_f32 v14, v32, v31 :: v_dual_fmac_f32 v3, v46, v48
	s_delay_alu instid0(VALU_DEP_1) | instskip(SKIP_2) | instid1(VALU_DEP_4)
	v_fmac_f32_e32 v14, v39, v36
	v_fmac_f32_e32 v13, v47, v48
	v_add_nc_u32_e32 v6, -4, v4
	v_fma_f32 v3, -v47, v49, v3
	s_delay_alu instid0(VALU_DEP_4) | instskip(NEXT) | instid1(VALU_DEP_4)
	v_fmac_f32_e32 v14, v38, v37
	v_fmac_f32_e32 v13, v46, v49
	s_delay_alu instid0(VALU_DEP_4) | instskip(SKIP_1) | instid1(VALU_DEP_4)
	v_lshlrev_b64 v[50:51], 3, v[6:7]
	v_add_nc_u32_e32 v6, -12, v4
	v_fmac_f32_e32 v14, v45, v42
	s_delay_alu instid0(VALU_DEP_2) | instskip(NEXT) | instid1(VALU_DEP_4)
	v_lshlrev_b64 v[52:53], 3, v[6:7]
	v_add_co_u32 v50, vcc_lo, s8, v50
	v_add_co_ci_u32_e32 v51, vcc_lo, s9, v51, vcc_lo
	s_delay_alu instid0(VALU_DEP_4) | instskip(NEXT) | instid1(VALU_DEP_4)
	v_fmac_f32_e32 v14, v44, v43
	v_add_co_u32 v52, vcc_lo, s8, v52
	v_add_co_ci_u32_e32 v53, vcc_lo, s9, v53, vcc_lo
	s_clause 0x1
	global_load_b64 v[50:51], v[50:51], off
	global_load_b64 v[52:53], v[52:53], off
	v_add_nc_u32_e32 v6, 5, v22
	s_delay_alu instid0(VALU_DEP_1) | instskip(NEXT) | instid1(VALU_DEP_1)
	v_lshlrev_b64 v[54:55], 3, v[6:7]
	v_add_co_u32 v54, vcc_lo, s10, v54
	s_delay_alu instid0(VALU_DEP_2)
	v_add_co_ci_u32_e32 v55, vcc_lo, s11, v55, vcc_lo
	global_load_b64 v[54:55], v[54:55], off
	v_add_nc_u32_e32 v6, -3, v4
	s_waitcnt vmcnt(2)
	v_fmac_f32_e32 v14, v51, v48
	s_waitcnt vmcnt(0)
	s_delay_alu instid0(VALU_DEP_1) | instskip(SKIP_2) | instid1(VALU_DEP_3)
	v_dual_fmac_f32 v14, v50, v49 :: v_dual_fmac_f32 v13, v53, v54
	v_lshlrev_b64 v[56:57], 3, v[6:7]
	v_dual_fmac_f32 v3, v52, v54 :: v_dual_add_nc_u32 v6, -11, v4
	v_fmac_f32_e32 v13, v52, v55
	s_delay_alu instid0(VALU_DEP_2) | instskip(NEXT) | instid1(VALU_DEP_4)
	v_lshlrev_b64 v[58:59], 3, v[6:7]
	v_add_co_u32 v56, vcc_lo, s8, v56
	v_add_co_ci_u32_e32 v57, vcc_lo, s9, v57, vcc_lo
	v_fma_f32 v3, -v53, v55, v3
	s_delay_alu instid0(VALU_DEP_4)
	v_add_co_u32 v58, vcc_lo, s8, v58
	v_add_co_ci_u32_e32 v59, vcc_lo, s9, v59, vcc_lo
	s_clause 0x1
	global_load_b64 v[56:57], v[56:57], off
	global_load_b64 v[58:59], v[58:59], off
	v_add_nc_u32_e32 v6, 6, v22
	s_delay_alu instid0(VALU_DEP_1) | instskip(NEXT) | instid1(VALU_DEP_1)
	v_lshlrev_b64 v[60:61], 3, v[6:7]
	v_add_co_u32 v60, vcc_lo, s10, v60
	s_delay_alu instid0(VALU_DEP_2)
	v_add_co_ci_u32_e32 v61, vcc_lo, s11, v61, vcc_lo
	global_load_b64 v[60:61], v[60:61], off
	v_fmac_f32_e32 v8, v44, v42
	s_waitcnt vmcnt(2)
	v_fmac_f32_e32 v14, v57, v54
	s_waitcnt vmcnt(0)
	s_delay_alu instid0(VALU_DEP_1) | instskip(SKIP_2) | instid1(VALU_DEP_3)
	v_dual_fmac_f32 v14, v56, v55 :: v_dual_fmac_f32 v13, v59, v60
	v_fmac_f32_e32 v3, v58, v60
	v_fma_f32 v8, -v45, v43, v8
	v_fmac_f32_e32 v13, v58, v61
	s_delay_alu instid0(VALU_DEP_3) | instskip(SKIP_1) | instid1(VALU_DEP_4)
	v_fma_f32 v3, -v59, v61, v3
	v_add_nc_u32_e32 v6, -2, v4
	v_fmac_f32_e32 v8, v50, v48
	s_delay_alu instid0(VALU_DEP_2) | instskip(SKIP_1) | instid1(VALU_DEP_3)
	v_lshlrev_b64 v[62:63], 3, v[6:7]
	v_add_nc_u32_e32 v6, -10, v4
	v_fma_f32 v8, -v51, v49, v8
	s_delay_alu instid0(VALU_DEP_2) | instskip(NEXT) | instid1(VALU_DEP_4)
	v_lshlrev_b64 v[64:65], 3, v[6:7]
	v_add_co_u32 v62, vcc_lo, s8, v62
	v_add_co_ci_u32_e32 v63, vcc_lo, s9, v63, vcc_lo
	s_delay_alu instid0(VALU_DEP_4) | instskip(NEXT) | instid1(VALU_DEP_4)
	v_fmac_f32_e32 v8, v56, v54
	v_add_co_u32 v64, vcc_lo, s8, v64
	v_add_co_ci_u32_e32 v65, vcc_lo, s9, v65, vcc_lo
	global_load_b64 v[62:63], v[62:63], off
	v_fma_f32 v8, -v57, v55, v8
	global_load_b64 v[64:65], v[64:65], off
	v_add_nc_u32_e32 v6, 7, v22
	s_delay_alu instid0(VALU_DEP_1) | instskip(NEXT) | instid1(VALU_DEP_1)
	v_lshlrev_b64 v[66:67], 3, v[6:7]
	v_add_co_u32 v66, vcc_lo, s10, v66
	s_delay_alu instid0(VALU_DEP_2) | instskip(SKIP_4) | instid1(VALU_DEP_2)
	v_add_co_ci_u32_e32 v67, vcc_lo, s11, v67, vcc_lo
	global_load_b64 v[66:67], v[66:67], off
	s_waitcnt vmcnt(2)
	v_fmac_f32_e32 v8, v62, v60
	v_fmac_f32_e32 v14, v63, v60
	v_fma_f32 v8, -v63, v61, v8
	s_waitcnt vmcnt(0)
	s_delay_alu instid0(VALU_DEP_2) | instskip(SKIP_1) | instid1(VALU_DEP_2)
	v_dual_fmac_f32 v14, v62, v61 :: v_dual_fmac_f32 v3, v64, v66
	v_fmac_f32_e32 v13, v65, v66
	v_fma_f32 v3, -v65, v67, v3
	s_delay_alu instid0(VALU_DEP_2) | instskip(NEXT) | instid1(VALU_DEP_1)
	v_dual_fmac_f32 v13, v64, v67 :: v_dual_add_nc_u32 v6, -1, v4
	v_lshlrev_b64 v[68:69], 3, v[6:7]
	v_add_nc_u32_e32 v6, -9, v4
	v_add_nc_u32_e32 v4, 0x480, v4
	s_delay_alu instid0(VALU_DEP_2) | instskip(SKIP_3) | instid1(VALU_DEP_3)
	v_lshlrev_b64 v[70:71], 3, v[6:7]
	v_add_nc_u32_e32 v6, 8, v22
	v_add_co_u32 v22, vcc_lo, s8, v68
	v_add_co_ci_u32_e32 v23, vcc_lo, s9, v69, vcc_lo
	v_lshlrev_b64 v[5:6], 3, v[6:7]
	v_add_co_u32 v68, vcc_lo, s8, v70
	global_load_b64 v[22:23], v[22:23], off
	v_add_co_ci_u32_e32 v69, vcc_lo, s9, v71, vcc_lo
	v_add_co_u32 v5, vcc_lo, s10, v5
	v_add_co_ci_u32_e32 v6, vcc_lo, s11, v6, vcc_lo
	global_load_b64 v[68:69], v[68:69], off
	global_load_b64 v[5:6], v[5:6], off
	v_cmp_ge_i32_e32 vcc_lo, v2, v15
	s_or_b32 s2, vcc_lo, s2
	s_waitcnt vmcnt(2)
	v_fmac_f32_e32 v8, v22, v66
	v_fmac_f32_e32 v14, v23, v66
	s_delay_alu instid0(VALU_DEP_2) | instskip(SKIP_1) | instid1(VALU_DEP_2)
	v_fma_f32 v8, -v23, v67, v8
	s_waitcnt vmcnt(0)
	v_dual_fmac_f32 v14, v22, v67 :: v_dual_fmac_f32 v13, v69, v5
	v_fmac_f32_e32 v3, v68, v5
	s_delay_alu instid0(VALU_DEP_3) | instskip(NEXT) | instid1(VALU_DEP_3)
	v_fmac_f32_e32 v8, v26, v5
	v_dual_fmac_f32 v14, v27, v5 :: v_dual_fmac_f32 v13, v68, v6
	s_delay_alu instid0(VALU_DEP_3) | instskip(NEXT) | instid1(VALU_DEP_3)
	v_fma_f32 v16, -v69, v6, v3
	v_fma_f32 v17, -v27, v6, v8
	s_delay_alu instid0(VALU_DEP_3)
	v_fmac_f32_e32 v14, v26, v6
	s_and_not1_b32 exec_lo, exec_lo, s2
	s_cbranch_execnz .LBB191_21
; %bb.22:
	s_or_b32 exec_lo, exec_lo, s2
.LBB191_23:
	s_delay_alu instid0(SALU_CYCLE_1)
	s_or_b32 exec_lo, exec_lo, s3
.LBB191_24:
	v_mbcnt_lo_u32_b32 v2, -1, 0
	s_delay_alu instid0(VALU_DEP_1) | instskip(SKIP_2) | instid1(VALU_DEP_3)
	v_or_b32_e32 v3, 32, v2
	v_xor_b32_e32 v7, 16, v2
	v_xor_b32_e32 v15, 8, v2
	v_cmp_gt_i32_e32 vcc_lo, 32, v3
	v_cndmask_b32_e32 v3, v2, v3, vcc_lo
	s_delay_alu instid0(VALU_DEP_4) | instskip(NEXT) | instid1(VALU_DEP_2)
	v_cmp_gt_i32_e32 vcc_lo, 32, v7
	v_lshlrev_b32_e32 v3, 2, v3
	ds_bpermute_b32 v6, v3, v17
	s_waitcnt lgkmcnt(0)
	v_add_f32_e32 v6, v17, v6
	ds_bpermute_b32 v4, v3, v16
	ds_bpermute_b32 v5, v3, v13
	;; [unrolled: 1-line block ×3, first 2 shown]
	s_waitcnt lgkmcnt(2)
	v_dual_add_f32 v4, v16, v4 :: v_dual_cndmask_b32 v7, v2, v7
	s_waitcnt lgkmcnt(0)
	v_add_f32_e32 v3, v14, v3
	v_cmp_gt_i32_e32 vcc_lo, 32, v15
	s_delay_alu instid0(VALU_DEP_3)
	v_lshlrev_b32_e32 v7, 2, v7
	v_cndmask_b32_e32 v15, v2, v15, vcc_lo
	ds_bpermute_b32 v14, v7, v6
	s_waitcnt lgkmcnt(0)
	v_add_f32_e32 v6, v6, v14
	ds_bpermute_b32 v8, v7, v4
	s_waitcnt lgkmcnt(0)
	v_dual_add_f32 v4, v4, v8 :: v_dual_lshlrev_b32 v15, 2, v15
	v_add_f32_e32 v5, v13, v5
	ds_bpermute_b32 v13, v7, v5
	ds_bpermute_b32 v7, v7, v3
	s_waitcnt lgkmcnt(0)
	v_add_f32_e32 v3, v3, v7
	ds_bpermute_b32 v7, v15, v4
	s_waitcnt lgkmcnt(0)
	v_dual_add_f32 v4, v4, v7 :: v_dual_add_f32 v5, v5, v13
	ds_bpermute_b32 v13, v15, v6
	s_waitcnt lgkmcnt(0)
	v_add_f32_e32 v6, v6, v13
	ds_bpermute_b32 v8, v15, v5
	ds_bpermute_b32 v14, v15, v3
	v_xor_b32_e32 v15, 4, v2
	s_delay_alu instid0(VALU_DEP_1) | instskip(SKIP_1) | instid1(VALU_DEP_1)
	v_cmp_gt_i32_e32 vcc_lo, 32, v15
	v_cndmask_b32_e32 v15, v2, v15, vcc_lo
	v_lshlrev_b32_e32 v15, 2, v15
	ds_bpermute_b32 v7, v15, v4
	ds_bpermute_b32 v13, v15, v6
	s_waitcnt lgkmcnt(1)
	v_dual_add_f32 v4, v4, v7 :: v_dual_add_f32 v5, v5, v8
	s_waitcnt lgkmcnt(0)
	v_dual_add_f32 v6, v6, v13 :: v_dual_add_f32 v3, v3, v14
	ds_bpermute_b32 v8, v15, v5
	ds_bpermute_b32 v14, v15, v3
	v_xor_b32_e32 v15, 2, v2
	s_delay_alu instid0(VALU_DEP_1) | instskip(SKIP_1) | instid1(VALU_DEP_1)
	v_cmp_gt_i32_e32 vcc_lo, 32, v15
	v_cndmask_b32_e32 v15, v2, v15, vcc_lo
	v_lshlrev_b32_e32 v15, 2, v15
	s_waitcnt lgkmcnt(1)
	v_add_f32_e32 v5, v5, v8
	ds_bpermute_b32 v7, v15, v4
	ds_bpermute_b32 v13, v15, v6
	;; [unrolled: 1-line block ×3, first 2 shown]
	s_waitcnt lgkmcnt(2)
	v_dual_add_f32 v4, v4, v7 :: v_dual_add_f32 v3, v3, v14
	s_waitcnt lgkmcnt(0)
	v_add_f32_e32 v5, v5, v8
	ds_bpermute_b32 v14, v15, v3
	v_xor_b32_e32 v15, 1, v2
	s_delay_alu instid0(VALU_DEP_1) | instskip(SKIP_2) | instid1(VALU_DEP_2)
	v_cmp_gt_i32_e32 vcc_lo, 32, v15
	v_cndmask_b32_e32 v2, v2, v15, vcc_lo
	v_cmp_eq_u32_e32 vcc_lo, 63, v0
	v_dual_add_f32 v2, v6, v13 :: v_dual_lshlrev_b32 v15, 2, v2
	s_waitcnt lgkmcnt(0)
	v_add_f32_e32 v3, v3, v14
	ds_bpermute_b32 v8, v15, v4
	ds_bpermute_b32 v13, v15, v5
	;; [unrolled: 1-line block ×4, first 2 shown]
	s_and_b32 exec_lo, exec_lo, vcc_lo
	s_cbranch_execz .LBB191_29
; %bb.25:
	s_load_b64 s[2:3], s[0:1], 0x38
	v_cmp_eq_f32_e32 vcc_lo, 0, v11
	v_cmp_eq_f32_e64 s0, 0, v12
	s_waitcnt lgkmcnt(0)
	v_dual_add_f32 v0, v4, v8 :: v_dual_add_f32 v3, v3, v7
	v_add_f32_e32 v4, v5, v13
	v_add_f32_e32 v2, v2, v6
	s_and_b32 s0, vcc_lo, s0
	s_delay_alu instid0(SALU_CYCLE_1) | instskip(NEXT) | instid1(SALU_CYCLE_1)
	s_and_saveexec_b32 s1, s0
	s_xor_b32 s0, exec_lo, s1
	s_cbranch_execz .LBB191_27
; %bb.26:
	v_mul_f32_e64 v5, v4, -v10
	v_mul_f32_e32 v6, v4, v9
	v_mul_f32_e64 v7, v3, -v10
	v_mul_f32_e32 v8, v3, v9
                                        ; implicit-def: $vgpr4
                                        ; implicit-def: $vgpr3
	s_delay_alu instid0(VALU_DEP_4) | instskip(NEXT) | instid1(VALU_DEP_4)
	v_fmac_f32_e32 v5, v9, v0
	v_dual_fmac_f32 v6, v10, v0 :: v_dual_lshlrev_b32 v11, 1, v1
	s_delay_alu instid0(VALU_DEP_4) | instskip(NEXT) | instid1(VALU_DEP_4)
	v_fmac_f32_e32 v7, v9, v2
	v_fmac_f32_e32 v8, v10, v2
                                        ; implicit-def: $vgpr9
                                        ; implicit-def: $vgpr10
                                        ; implicit-def: $vgpr2
	s_delay_alu instid0(VALU_DEP_3) | instskip(NEXT) | instid1(VALU_DEP_1)
	v_ashrrev_i32_e32 v12, 31, v11
	v_lshlrev_b64 v[11:12], 3, v[11:12]
	s_delay_alu instid0(VALU_DEP_1) | instskip(NEXT) | instid1(VALU_DEP_2)
	v_add_co_u32 v0, vcc_lo, s2, v11
	v_add_co_ci_u32_e32 v1, vcc_lo, s3, v12, vcc_lo
                                        ; implicit-def: $vgpr11
                                        ; implicit-def: $vgpr12
	global_store_b128 v[0:1], v[5:8], off
                                        ; implicit-def: $vgpr1
                                        ; implicit-def: $vgpr0
.LBB191_27:
	s_and_not1_saveexec_b32 s0, s0
	s_cbranch_execz .LBB191_29
; %bb.28:
	v_lshlrev_b32_e32 v5, 1, v1
	v_mul_f32_e64 v15, v4, -v10
	v_mul_f32_e32 v1, v4, v9
	v_mul_f32_e64 v4, v3, -v10
	v_mul_f32_e32 v3, v3, v9
	s_delay_alu instid0(VALU_DEP_4) | instskip(NEXT) | instid1(VALU_DEP_3)
	v_fmac_f32_e32 v15, v9, v0
	v_fmac_f32_e32 v4, v9, v2
	v_ashrrev_i32_e32 v6, 31, v5
	s_delay_alu instid0(VALU_DEP_4) | instskip(NEXT) | instid1(VALU_DEP_2)
	v_fmac_f32_e32 v3, v10, v2
	v_lshlrev_b64 v[5:6], 3, v[5:6]
	s_delay_alu instid0(VALU_DEP_1) | instskip(NEXT) | instid1(VALU_DEP_2)
	v_add_co_u32 v13, vcc_lo, s2, v5
	v_add_co_ci_u32_e32 v14, vcc_lo, s3, v6, vcc_lo
	global_load_b128 v[5:8], v[13:14], off
	s_waitcnt vmcnt(0)
	v_dual_fmac_f32 v4, v11, v7 :: v_dual_fmac_f32 v1, v10, v0
	v_fmac_f32_e32 v15, v11, v5
	v_fmac_f32_e32 v3, v12, v7
	s_delay_alu instid0(VALU_DEP_3) | instskip(NEXT) | instid1(VALU_DEP_4)
	v_fma_f32 v2, -v12, v8, v4
	v_fmac_f32_e32 v1, v12, v5
	s_delay_alu instid0(VALU_DEP_4) | instskip(NEXT) | instid1(VALU_DEP_4)
	v_fma_f32 v0, -v12, v6, v15
	v_fmac_f32_e32 v3, v11, v8
	s_delay_alu instid0(VALU_DEP_3)
	v_fmac_f32_e32 v1, v11, v6
	global_store_b128 v[13:14], v[0:3], off
.LBB191_29:
	s_nop 0
	s_sendmsg sendmsg(MSG_DEALLOC_VGPRS)
	s_endpgm
	.section	.rodata,"a",@progbits
	.p2align	6, 0x0
	.amdhsa_kernel _ZN9rocsparseL19gebsrmvn_2xn_kernelILj128ELj9ELj64E21rocsparse_complex_numIfEEEvi20rocsparse_direction_NS_24const_host_device_scalarIT2_EEPKiS8_PKS5_SA_S6_PS5_21rocsparse_index_base_b
		.amdhsa_group_segment_fixed_size 0
		.amdhsa_private_segment_fixed_size 0
		.amdhsa_kernarg_size 72
		.amdhsa_user_sgpr_count 15
		.amdhsa_user_sgpr_dispatch_ptr 0
		.amdhsa_user_sgpr_queue_ptr 0
		.amdhsa_user_sgpr_kernarg_segment_ptr 1
		.amdhsa_user_sgpr_dispatch_id 0
		.amdhsa_user_sgpr_private_segment_size 0
		.amdhsa_wavefront_size32 1
		.amdhsa_uses_dynamic_stack 0
		.amdhsa_enable_private_segment 0
		.amdhsa_system_sgpr_workgroup_id_x 1
		.amdhsa_system_sgpr_workgroup_id_y 0
		.amdhsa_system_sgpr_workgroup_id_z 0
		.amdhsa_system_sgpr_workgroup_info 0
		.amdhsa_system_vgpr_workitem_id 0
		.amdhsa_next_free_vgpr 72
		.amdhsa_next_free_sgpr 16
		.amdhsa_reserve_vcc 1
		.amdhsa_float_round_mode_32 0
		.amdhsa_float_round_mode_16_64 0
		.amdhsa_float_denorm_mode_32 3
		.amdhsa_float_denorm_mode_16_64 3
		.amdhsa_dx10_clamp 1
		.amdhsa_ieee_mode 1
		.amdhsa_fp16_overflow 0
		.amdhsa_workgroup_processor_mode 1
		.amdhsa_memory_ordered 1
		.amdhsa_forward_progress 0
		.amdhsa_shared_vgpr_count 0
		.amdhsa_exception_fp_ieee_invalid_op 0
		.amdhsa_exception_fp_denorm_src 0
		.amdhsa_exception_fp_ieee_div_zero 0
		.amdhsa_exception_fp_ieee_overflow 0
		.amdhsa_exception_fp_ieee_underflow 0
		.amdhsa_exception_fp_ieee_inexact 0
		.amdhsa_exception_int_div_zero 0
	.end_amdhsa_kernel
	.section	.text._ZN9rocsparseL19gebsrmvn_2xn_kernelILj128ELj9ELj64E21rocsparse_complex_numIfEEEvi20rocsparse_direction_NS_24const_host_device_scalarIT2_EEPKiS8_PKS5_SA_S6_PS5_21rocsparse_index_base_b,"axG",@progbits,_ZN9rocsparseL19gebsrmvn_2xn_kernelILj128ELj9ELj64E21rocsparse_complex_numIfEEEvi20rocsparse_direction_NS_24const_host_device_scalarIT2_EEPKiS8_PKS5_SA_S6_PS5_21rocsparse_index_base_b,comdat
.Lfunc_end191:
	.size	_ZN9rocsparseL19gebsrmvn_2xn_kernelILj128ELj9ELj64E21rocsparse_complex_numIfEEEvi20rocsparse_direction_NS_24const_host_device_scalarIT2_EEPKiS8_PKS5_SA_S6_PS5_21rocsparse_index_base_b, .Lfunc_end191-_ZN9rocsparseL19gebsrmvn_2xn_kernelILj128ELj9ELj64E21rocsparse_complex_numIfEEEvi20rocsparse_direction_NS_24const_host_device_scalarIT2_EEPKiS8_PKS5_SA_S6_PS5_21rocsparse_index_base_b
                                        ; -- End function
	.section	.AMDGPU.csdata,"",@progbits
; Kernel info:
; codeLenInByte = 4068
; NumSgprs: 18
; NumVgprs: 72
; ScratchSize: 0
; MemoryBound: 0
; FloatMode: 240
; IeeeMode: 1
; LDSByteSize: 0 bytes/workgroup (compile time only)
; SGPRBlocks: 2
; VGPRBlocks: 8
; NumSGPRsForWavesPerEU: 18
; NumVGPRsForWavesPerEU: 72
; Occupancy: 16
; WaveLimiterHint : 1
; COMPUTE_PGM_RSRC2:SCRATCH_EN: 0
; COMPUTE_PGM_RSRC2:USER_SGPR: 15
; COMPUTE_PGM_RSRC2:TRAP_HANDLER: 0
; COMPUTE_PGM_RSRC2:TGID_X_EN: 1
; COMPUTE_PGM_RSRC2:TGID_Y_EN: 0
; COMPUTE_PGM_RSRC2:TGID_Z_EN: 0
; COMPUTE_PGM_RSRC2:TIDIG_COMP_CNT: 0
	.section	.text._ZN9rocsparseL19gebsrmvn_2xn_kernelILj128ELj10ELj4E21rocsparse_complex_numIfEEEvi20rocsparse_direction_NS_24const_host_device_scalarIT2_EEPKiS8_PKS5_SA_S6_PS5_21rocsparse_index_base_b,"axG",@progbits,_ZN9rocsparseL19gebsrmvn_2xn_kernelILj128ELj10ELj4E21rocsparse_complex_numIfEEEvi20rocsparse_direction_NS_24const_host_device_scalarIT2_EEPKiS8_PKS5_SA_S6_PS5_21rocsparse_index_base_b,comdat
	.globl	_ZN9rocsparseL19gebsrmvn_2xn_kernelILj128ELj10ELj4E21rocsparse_complex_numIfEEEvi20rocsparse_direction_NS_24const_host_device_scalarIT2_EEPKiS8_PKS5_SA_S6_PS5_21rocsparse_index_base_b ; -- Begin function _ZN9rocsparseL19gebsrmvn_2xn_kernelILj128ELj10ELj4E21rocsparse_complex_numIfEEEvi20rocsparse_direction_NS_24const_host_device_scalarIT2_EEPKiS8_PKS5_SA_S6_PS5_21rocsparse_index_base_b
	.p2align	8
	.type	_ZN9rocsparseL19gebsrmvn_2xn_kernelILj128ELj10ELj4E21rocsparse_complex_numIfEEEvi20rocsparse_direction_NS_24const_host_device_scalarIT2_EEPKiS8_PKS5_SA_S6_PS5_21rocsparse_index_base_b,@function
_ZN9rocsparseL19gebsrmvn_2xn_kernelILj128ELj10ELj4E21rocsparse_complex_numIfEEEvi20rocsparse_direction_NS_24const_host_device_scalarIT2_EEPKiS8_PKS5_SA_S6_PS5_21rocsparse_index_base_b: ; @_ZN9rocsparseL19gebsrmvn_2xn_kernelILj128ELj10ELj4E21rocsparse_complex_numIfEEEvi20rocsparse_direction_NS_24const_host_device_scalarIT2_EEPKiS8_PKS5_SA_S6_PS5_21rocsparse_index_base_b
; %bb.0:
	s_clause 0x2
	s_load_b64 s[12:13], s[0:1], 0x40
	s_load_b64 s[4:5], s[0:1], 0x8
	;; [unrolled: 1-line block ×3, first 2 shown]
	s_waitcnt lgkmcnt(0)
	s_bitcmp1_b32 s13, 0
	v_mov_b32_e32 v9, s4
	s_cselect_b32 s6, -1, 0
	s_delay_alu instid0(SALU_CYCLE_1)
	s_and_b32 vcc_lo, exec_lo, s6
	s_xor_b32 s6, s6, -1
	s_cbranch_vccz .LBB192_15
; %bb.1:
	v_cndmask_b32_e64 v1, 0, 1, s6
	v_mov_b32_e32 v10, s5
	s_and_not1_b32 vcc_lo, exec_lo, s6
	s_cbranch_vccz .LBB192_16
.LBB192_2:
	s_delay_alu instid0(VALU_DEP_2)
	v_cmp_ne_u32_e32 vcc_lo, 1, v1
	v_mov_b32_e32 v11, s2
	s_cbranch_vccz .LBB192_17
.LBB192_3:
	v_cmp_ne_u32_e32 vcc_lo, 1, v1
	v_mov_b32_e32 v12, s3
	s_cbranch_vccnz .LBB192_5
.LBB192_4:
	v_dual_mov_b32 v1, s2 :: v_dual_mov_b32 v2, s3
	flat_load_b32 v12, v[1:2] offset:4
.LBB192_5:
	s_waitcnt vmcnt(0) lgkmcnt(0)
	v_cmp_eq_f32_e32 vcc_lo, 0, v9
	v_cmp_eq_f32_e64 s2, 0, v10
	s_delay_alu instid0(VALU_DEP_1)
	s_and_b32 s4, vcc_lo, s2
	s_mov_b32 s2, -1
	s_and_saveexec_b32 s3, s4
; %bb.6:
	v_cmp_neq_f32_e32 vcc_lo, 1.0, v11
	v_cmp_neq_f32_e64 s2, 0, v12
	s_delay_alu instid0(VALU_DEP_1) | instskip(NEXT) | instid1(SALU_CYCLE_1)
	s_or_b32 s2, vcc_lo, s2
	s_or_not1_b32 s2, s2, exec_lo
; %bb.7:
	s_or_b32 exec_lo, exec_lo, s3
	s_and_saveexec_b32 s3, s2
	s_cbranch_execz .LBB192_29
; %bb.8:
	s_load_b64 s[2:3], s[0:1], 0x0
	v_lshrrev_b32_e32 v1, 2, v0
	s_delay_alu instid0(VALU_DEP_1) | instskip(SKIP_1) | instid1(VALU_DEP_1)
	v_lshl_or_b32 v1, s15, 5, v1
	s_waitcnt lgkmcnt(0)
	v_cmp_gt_i32_e32 vcc_lo, s2, v1
	s_and_b32 exec_lo, exec_lo, vcc_lo
	s_cbranch_execz .LBB192_29
; %bb.9:
	s_load_b256 s[4:11], s[0:1], 0x10
	v_ashrrev_i32_e32 v2, 31, v1
	v_and_b32_e32 v0, 3, v0
	s_cmp_lg_u32 s3, 0
	s_delay_alu instid0(VALU_DEP_2) | instskip(SKIP_1) | instid1(VALU_DEP_1)
	v_lshlrev_b64 v[2:3], 2, v[1:2]
	s_waitcnt lgkmcnt(0)
	v_add_co_u32 v2, vcc_lo, s4, v2
	s_delay_alu instid0(VALU_DEP_2) | instskip(SKIP_4) | instid1(VALU_DEP_2)
	v_add_co_ci_u32_e32 v3, vcc_lo, s5, v3, vcc_lo
	global_load_b64 v[2:3], v[2:3], off
	s_waitcnt vmcnt(0)
	v_subrev_nc_u32_e32 v2, s12, v2
	v_subrev_nc_u32_e32 v15, s12, v3
	v_add_nc_u32_e32 v2, v2, v0
	s_delay_alu instid0(VALU_DEP_1)
	v_cmp_lt_i32_e64 s2, v2, v15
	s_cbranch_scc0 .LBB192_18
; %bb.10:
	v_dual_mov_b32 v13, 0 :: v_dual_mov_b32 v16, 0
	v_dual_mov_b32 v17, 0 :: v_dual_mov_b32 v14, 0
	s_mov_b32 s4, 0
	s_and_saveexec_b32 s5, s2
	s_cbranch_execz .LBB192_14
; %bb.11:
	v_mad_u64_u32 v[3:4], null, v2, 20, 18
	v_dual_mov_b32 v6, 0 :: v_dual_mov_b32 v7, v2
	v_dual_mov_b32 v13, 0 :: v_dual_mov_b32 v16, 0
	;; [unrolled: 1-line block ×3, first 2 shown]
	s_mov_b32 s13, 0
.LBB192_12:                             ; =>This Inner Loop Header: Depth=1
	s_delay_alu instid0(VALU_DEP_3) | instskip(NEXT) | instid1(VALU_DEP_1)
	v_ashrrev_i32_e32 v8, 31, v7
	v_lshlrev_b64 v[4:5], 2, v[7:8]
	v_add_nc_u32_e32 v7, 4, v7
	s_delay_alu instid0(VALU_DEP_2) | instskip(NEXT) | instid1(VALU_DEP_3)
	v_add_co_u32 v4, vcc_lo, s6, v4
	v_add_co_ci_u32_e32 v5, vcc_lo, s7, v5, vcc_lo
	global_load_b32 v8, v[4:5], off
	v_subrev_nc_u32_e32 v5, 18, v3
	v_mov_b32_e32 v4, v6
	s_delay_alu instid0(VALU_DEP_2) | instskip(SKIP_1) | instid1(VALU_DEP_3)
	v_lshlrev_b64 v[18:19], 3, v[5:6]
	v_add_nc_u32_e32 v5, -14, v3
	v_lshlrev_b64 v[73:74], 3, v[3:4]
	s_delay_alu instid0(VALU_DEP_2) | instskip(NEXT) | instid1(VALU_DEP_4)
	v_lshlrev_b64 v[4:5], 3, v[5:6]
	v_add_co_u32 v22, vcc_lo, s8, v18
	v_add_co_ci_u32_e32 v23, vcc_lo, s9, v19, vcc_lo
	s_delay_alu instid0(VALU_DEP_4) | instskip(NEXT) | instid1(VALU_DEP_4)
	v_add_co_u32 v75, vcc_lo, s8, v73
	v_add_co_u32 v4, s3, s8, v4
	s_delay_alu instid0(VALU_DEP_1)
	v_add_co_ci_u32_e64 v5, s3, s9, v5, s3
	s_clause 0x2
	global_load_b128 v[18:21], v[22:23], off offset:16
	global_load_b128 v[22:25], v[22:23], off
	global_load_b128 v[26:29], v[4:5], off
	v_mov_b32_e32 v59, v6
	v_add_co_ci_u32_e32 v76, vcc_lo, s9, v74, vcc_lo
	v_cmp_ge_i32_e32 vcc_lo, v7, v15
	s_or_b32 s13, vcc_lo, s13
	s_waitcnt vmcnt(3)
	v_subrev_nc_u32_e32 v4, s12, v8
	s_delay_alu instid0(VALU_DEP_1) | instskip(NEXT) | instid1(VALU_DEP_1)
	v_mul_lo_u32 v58, v4, 10
	v_lshlrev_b64 v[30:31], 3, v[58:59]
	s_delay_alu instid0(VALU_DEP_1) | instskip(NEXT) | instid1(VALU_DEP_1)
	v_add_co_u32 v30, s3, s10, v30
	v_add_co_ci_u32_e64 v31, s3, s11, v31, s3
	global_load_b128 v[30:33], v[30:31], off
	v_add_nc_u32_e32 v5, 2, v58
	s_delay_alu instid0(VALU_DEP_1) | instskip(NEXT) | instid1(VALU_DEP_1)
	v_lshlrev_b64 v[34:35], 3, v[5:6]
	v_add_co_u32 v34, s3, s10, v34
	s_delay_alu instid0(VALU_DEP_1) | instskip(SKIP_3) | instid1(VALU_DEP_1)
	v_add_co_ci_u32_e64 v35, s3, s11, v35, s3
	global_load_b128 v[34:37], v[34:35], off
	s_waitcnt vmcnt(1)
	v_dual_fmac_f32 v16, v22, v30 :: v_dual_add_nc_u32 v5, -12, v3
	v_lshlrev_b64 v[38:39], 3, v[5:6]
	v_dual_fmac_f32 v14, v25, v30 :: v_dual_add_nc_u32 v5, -10, v3
	s_delay_alu instid0(VALU_DEP_1) | instskip(NEXT) | instid1(VALU_DEP_3)
	v_lshlrev_b64 v[40:41], 3, v[5:6]
	v_add_co_u32 v38, s3, s8, v38
	s_delay_alu instid0(VALU_DEP_1) | instskip(NEXT) | instid1(VALU_DEP_4)
	v_add_co_ci_u32_e64 v39, s3, s9, v39, s3
	v_fmac_f32_e32 v14, v24, v31
	s_delay_alu instid0(VALU_DEP_4) | instskip(NEXT) | instid1(VALU_DEP_1)
	v_add_co_u32 v42, s3, s8, v40
	v_add_co_ci_u32_e64 v43, s3, s9, v41, s3
	global_load_b128 v[38:41], v[38:39], off
	v_dual_fmac_f32 v14, v21, v32 :: v_dual_add_nc_u32 v5, 4, v58
	global_load_b128 v[42:45], v[42:43], off
	v_lshlrev_b64 v[46:47], 3, v[5:6]
	v_dual_fmac_f32 v14, v20, v33 :: v_dual_add_nc_u32 v5, -8, v3
	s_delay_alu instid0(VALU_DEP_1) | instskip(NEXT) | instid1(VALU_DEP_3)
	v_lshlrev_b64 v[48:49], 3, v[5:6]
	v_add_co_u32 v46, s3, s10, v46
	s_delay_alu instid0(VALU_DEP_1) | instskip(SKIP_1) | instid1(VALU_DEP_4)
	v_add_co_ci_u32_e64 v47, s3, s11, v47, s3
	v_add_nc_u32_e32 v5, -6, v3
	v_add_co_u32 v50, s3, s8, v48
	s_delay_alu instid0(VALU_DEP_1)
	v_add_co_ci_u32_e64 v51, s3, s9, v49, s3
	global_load_b128 v[46:49], v[46:47], off
	v_lshlrev_b64 v[54:55], 3, v[5:6]
	s_waitcnt vmcnt(3)
	v_fmac_f32_e32 v14, v29, v34
	global_load_b128 v[50:53], v[50:51], off
	v_dual_fmac_f32 v14, v28, v35 :: v_dual_add_nc_u32 v5, 6, v58
	v_add_co_u32 v54, s3, s8, v54
	s_delay_alu instid0(VALU_DEP_2) | instskip(SKIP_2) | instid1(VALU_DEP_3)
	v_lshlrev_b64 v[56:57], 3, v[5:6]
	v_add_nc_u32_e32 v5, -4, v3
	v_add_co_ci_u32_e64 v55, s3, s9, v55, s3
	v_add_co_u32 v59, s3, s10, v56
	s_delay_alu instid0(VALU_DEP_3)
	v_lshlrev_b64 v[62:63], 3, v[5:6]
	v_add_nc_u32_e32 v5, -2, v3
	v_add_co_ci_u32_e64 v60, s3, s11, v57, s3
	global_load_b128 v[54:57], v[54:55], off
	v_add_nc_u32_e32 v3, 0x50, v3
	v_add_co_u32 v62, s3, s8, v62
	s_delay_alu instid0(VALU_DEP_1)
	v_add_co_ci_u32_e64 v63, s3, s9, v63, s3
	global_load_b128 v[62:65], v[62:63], off
	s_waitcnt vmcnt(5)
	v_fmac_f32_e32 v14, v41, v36
	v_lshlrev_b64 v[66:67], 3, v[5:6]
	v_add_nc_u32_e32 v5, 8, v58
	global_load_b128 v[58:61], v[59:60], off
	v_fmac_f32_e32 v14, v40, v37
	v_lshlrev_b64 v[4:5], 3, v[5:6]
	v_add_co_u32 v66, s3, s8, v66
	s_delay_alu instid0(VALU_DEP_1) | instskip(NEXT) | instid1(VALU_DEP_3)
	v_add_co_ci_u32_e64 v67, s3, s9, v67, s3
	v_add_co_u32 v4, s3, s10, v4
	s_delay_alu instid0(VALU_DEP_1)
	v_add_co_ci_u32_e64 v5, s3, s11, v5, s3
	global_load_b128 v[66:69], v[66:67], off
	global_load_b128 v[70:73], v[4:5], off
	;; [unrolled: 1-line block ×3, first 2 shown]
	v_fma_f32 v4, -v23, v31, v16
	s_waitcnt vmcnt(7)
	v_fmac_f32_e32 v14, v45, v46
	s_delay_alu instid0(VALU_DEP_2) | instskip(NEXT) | instid1(VALU_DEP_2)
	v_dual_fmac_f32 v13, v23, v30 :: v_dual_fmac_f32 v4, v18, v32
	v_fmac_f32_e32 v14, v44, v47
	s_delay_alu instid0(VALU_DEP_2) | instskip(NEXT) | instid1(VALU_DEP_3)
	v_fmac_f32_e32 v13, v22, v31
	v_fma_f32 v4, -v19, v33, v4
	s_waitcnt vmcnt(6)
	s_delay_alu instid0(VALU_DEP_3) | instskip(NEXT) | instid1(VALU_DEP_2)
	v_fmac_f32_e32 v14, v53, v48
	v_fmac_f32_e32 v4, v26, v34
	s_delay_alu instid0(VALU_DEP_2) | instskip(NEXT) | instid1(VALU_DEP_2)
	v_fmac_f32_e32 v14, v52, v49
	v_fma_f32 v4, -v27, v35, v4
	s_delay_alu instid0(VALU_DEP_1) | instskip(NEXT) | instid1(VALU_DEP_1)
	v_fmac_f32_e32 v4, v38, v36
	v_fma_f32 v4, -v39, v37, v4
	s_delay_alu instid0(VALU_DEP_1) | instskip(NEXT) | instid1(VALU_DEP_1)
	v_dual_fmac_f32 v13, v19, v32 :: v_dual_fmac_f32 v4, v42, v46
	v_fmac_f32_e32 v13, v18, v33
	s_delay_alu instid0(VALU_DEP_2) | instskip(NEXT) | instid1(VALU_DEP_1)
	v_fma_f32 v4, -v43, v47, v4
	v_dual_fmac_f32 v17, v24, v30 :: v_dual_fmac_f32 v4, v50, v48
	s_delay_alu instid0(VALU_DEP_1) | instskip(NEXT) | instid1(VALU_DEP_2)
	v_fma_f32 v5, -v25, v31, v17
	v_fma_f32 v4, -v51, v49, v4
	s_waitcnt vmcnt(3)
	s_delay_alu instid0(VALU_DEP_1) | instskip(NEXT) | instid1(VALU_DEP_1)
	v_dual_fmac_f32 v5, v20, v32 :: v_dual_fmac_f32 v4, v54, v58
	v_fma_f32 v5, -v21, v33, v5
	v_fmac_f32_e32 v14, v57, v58
	v_fmac_f32_e32 v13, v27, v34
	s_delay_alu instid0(VALU_DEP_4) | instskip(NEXT) | instid1(VALU_DEP_4)
	v_fma_f32 v4, -v55, v59, v4
	v_fmac_f32_e32 v5, v28, v34
	s_delay_alu instid0(VALU_DEP_4) | instskip(NEXT) | instid1(VALU_DEP_4)
	v_fmac_f32_e32 v14, v56, v59
	v_fmac_f32_e32 v13, v26, v35
	s_delay_alu instid0(VALU_DEP_4) | instskip(NEXT) | instid1(VALU_DEP_4)
	v_fmac_f32_e32 v4, v62, v60
	v_fma_f32 v5, -v29, v35, v5
	s_delay_alu instid0(VALU_DEP_4) | instskip(NEXT) | instid1(VALU_DEP_4)
	v_fmac_f32_e32 v14, v65, v60
	v_fmac_f32_e32 v13, v39, v36
	s_delay_alu instid0(VALU_DEP_4) | instskip(NEXT) | instid1(VALU_DEP_4)
	v_fma_f32 v4, -v63, v61, v4
	v_fmac_f32_e32 v5, v40, v36
	s_delay_alu instid0(VALU_DEP_4) | instskip(NEXT) | instid1(VALU_DEP_4)
	v_fmac_f32_e32 v14, v64, v61
	v_fmac_f32_e32 v13, v38, v37
	s_waitcnt vmcnt(1)
	v_fmac_f32_e32 v4, v66, v70
	v_fma_f32 v5, -v41, v37, v5
	v_fmac_f32_e32 v14, v69, v70
	v_fmac_f32_e32 v13, v43, v46
	s_delay_alu instid0(VALU_DEP_4) | instskip(NEXT) | instid1(VALU_DEP_4)
	v_fma_f32 v4, -v67, v71, v4
	v_fmac_f32_e32 v5, v44, v46
	s_delay_alu instid0(VALU_DEP_4) | instskip(NEXT) | instid1(VALU_DEP_4)
	v_fmac_f32_e32 v14, v68, v71
	v_fmac_f32_e32 v13, v42, v47
	s_waitcnt vmcnt(0)
	v_fmac_f32_e32 v4, v74, v72
	v_fma_f32 v5, -v45, v47, v5
	v_fmac_f32_e32 v14, v77, v72
	v_fmac_f32_e32 v13, v51, v48
	s_delay_alu instid0(VALU_DEP_4) | instskip(NEXT) | instid1(VALU_DEP_4)
	v_fma_f32 v16, -v75, v73, v4
	v_fmac_f32_e32 v5, v52, v48
	s_delay_alu instid0(VALU_DEP_4) | instskip(NEXT) | instid1(VALU_DEP_4)
	v_fmac_f32_e32 v14, v76, v73
	v_fmac_f32_e32 v13, v50, v49
	s_delay_alu instid0(VALU_DEP_3) | instskip(NEXT) | instid1(VALU_DEP_2)
	v_fma_f32 v5, -v53, v49, v5
	v_fmac_f32_e32 v13, v55, v58
	s_delay_alu instid0(VALU_DEP_2) | instskip(NEXT) | instid1(VALU_DEP_2)
	v_fmac_f32_e32 v5, v56, v58
	v_fmac_f32_e32 v13, v54, v59
	s_delay_alu instid0(VALU_DEP_2) | instskip(NEXT) | instid1(VALU_DEP_2)
	v_fma_f32 v5, -v57, v59, v5
	v_fmac_f32_e32 v13, v63, v60
	s_delay_alu instid0(VALU_DEP_2) | instskip(NEXT) | instid1(VALU_DEP_2)
	v_fmac_f32_e32 v5, v64, v60
	v_fmac_f32_e32 v13, v62, v61
	s_delay_alu instid0(VALU_DEP_2) | instskip(NEXT) | instid1(VALU_DEP_2)
	;; [unrolled: 6-line block ×3, first 2 shown]
	v_fma_f32 v5, -v69, v71, v5
	v_fmac_f32_e32 v13, v75, v72
	s_delay_alu instid0(VALU_DEP_2) | instskip(NEXT) | instid1(VALU_DEP_2)
	v_fmac_f32_e32 v5, v76, v72
	v_fmac_f32_e32 v13, v74, v73
	s_delay_alu instid0(VALU_DEP_2)
	v_fma_f32 v17, -v77, v73, v5
	s_and_not1_b32 exec_lo, exec_lo, s13
	s_cbranch_execnz .LBB192_12
; %bb.13:
	s_or_b32 exec_lo, exec_lo, s13
.LBB192_14:
	s_delay_alu instid0(SALU_CYCLE_1) | instskip(NEXT) | instid1(SALU_CYCLE_1)
	s_or_b32 exec_lo, exec_lo, s5
	s_and_not1_b32 vcc_lo, exec_lo, s4
	s_cbranch_vccz .LBB192_19
	s_branch .LBB192_24
.LBB192_15:
	v_dual_mov_b32 v1, s4 :: v_dual_mov_b32 v2, s5
	flat_load_b32 v9, v[1:2]
	v_cndmask_b32_e64 v1, 0, 1, s6
	v_mov_b32_e32 v10, s5
	s_and_not1_b32 vcc_lo, exec_lo, s6
	s_cbranch_vccnz .LBB192_2
.LBB192_16:
	v_dual_mov_b32 v2, s4 :: v_dual_mov_b32 v3, s5
	flat_load_b32 v10, v[2:3] offset:4
	v_cmp_ne_u32_e32 vcc_lo, 1, v1
	v_mov_b32_e32 v11, s2
	s_cbranch_vccnz .LBB192_3
.LBB192_17:
	v_dual_mov_b32 v2, s2 :: v_dual_mov_b32 v3, s3
	flat_load_b32 v11, v[2:3]
	v_cmp_ne_u32_e32 vcc_lo, 1, v1
	v_mov_b32_e32 v12, s3
	s_cbranch_vccz .LBB192_4
	s_branch .LBB192_5
.LBB192_18:
                                        ; implicit-def: $vgpr13
                                        ; implicit-def: $vgpr16
                                        ; implicit-def: $vgpr17
                                        ; implicit-def: $vgpr14
.LBB192_19:
	v_dual_mov_b32 v13, 0 :: v_dual_mov_b32 v16, 0
	v_dual_mov_b32 v17, 0 :: v_dual_mov_b32 v14, 0
	s_delay_alu instid0(VALU_DEP_3)
	s_and_saveexec_b32 s3, s2
	s_cbranch_execz .LBB192_23
; %bb.20:
	v_mad_u64_u32 v[4:5], null, v2, 20, 19
	v_dual_mov_b32 v7, 0 :: v_dual_mov_b32 v16, 0
	v_dual_mov_b32 v13, 0 :: v_dual_mov_b32 v14, 0
	v_mov_b32_e32 v17, 0
	s_mov_b32 s2, 0
.LBB192_21:                             ; =>This Inner Loop Header: Depth=1
	v_ashrrev_i32_e32 v3, 31, v2
	v_dual_mov_b32 v43, v7 :: v_dual_add_nc_u32 v18, -9, v4
	v_mov_b32_e32 v19, v7
	s_delay_alu instid0(VALU_DEP_3) | instskip(SKIP_1) | instid1(VALU_DEP_2)
	v_lshlrev_b64 v[5:6], 2, v[2:3]
	v_add_nc_u32_e32 v2, 4, v2
	v_add_co_u32 v5, vcc_lo, s6, v5
	s_delay_alu instid0(VALU_DEP_3) | instskip(SKIP_2) | instid1(VALU_DEP_1)
	v_add_co_ci_u32_e32 v6, vcc_lo, s7, v6, vcc_lo
	global_load_b32 v3, v[5:6], off
	v_subrev_nc_u32_e32 v6, 19, v4
	v_lshlrev_b64 v[20:21], 3, v[6:7]
	v_add_nc_u32_e32 v6, -8, v4
	v_lshlrev_b64 v[18:19], 3, v[18:19]
	s_delay_alu instid0(VALU_DEP_3) | instskip(NEXT) | instid1(VALU_DEP_4)
	v_add_co_u32 v24, vcc_lo, s8, v20
	v_add_co_ci_u32_e32 v25, vcc_lo, s9, v21, vcc_lo
	s_delay_alu instid0(VALU_DEP_3) | instskip(NEXT) | instid1(VALU_DEP_4)
	v_add_co_u32 v26, vcc_lo, s8, v18
	v_add_co_ci_u32_e32 v27, vcc_lo, s9, v19, vcc_lo
	s_waitcnt vmcnt(0)
	v_subrev_nc_u32_e32 v3, s12, v3
	s_delay_alu instid0(VALU_DEP_1) | instskip(SKIP_1) | instid1(VALU_DEP_1)
	v_mul_lo_u32 v42, v3, 10
	v_mov_b32_e32 v5, v7
	v_lshlrev_b64 v[22:23], 3, v[4:5]
	v_lshlrev_b64 v[5:6], 3, v[6:7]
	s_delay_alu instid0(VALU_DEP_2) | instskip(NEXT) | instid1(VALU_DEP_3)
	v_add_co_u32 v46, vcc_lo, s8, v22
	v_add_co_ci_u32_e32 v47, vcc_lo, s9, v23, vcc_lo
	s_delay_alu instid0(VALU_DEP_3) | instskip(NEXT) | instid1(VALU_DEP_4)
	v_add_co_u32 v5, vcc_lo, s8, v5
	v_add_co_ci_u32_e32 v6, vcc_lo, s9, v6, vcc_lo
	s_clause 0x3
	global_load_b128 v[18:21], v[24:25], off offset:16
	global_load_b128 v[22:25], v[24:25], off
	global_load_b64 v[48:49], v[26:27], off
	global_load_b64 v[50:51], v[5:6], off
	v_add_nc_u32_e32 v6, 2, v42
	v_lshlrev_b64 v[26:27], 3, v[42:43]
	s_delay_alu instid0(VALU_DEP_2) | instskip(NEXT) | instid1(VALU_DEP_2)
	v_lshlrev_b64 v[30:31], 3, v[6:7]
	v_add_co_u32 v26, vcc_lo, s10, v26
	s_delay_alu instid0(VALU_DEP_3) | instskip(NEXT) | instid1(VALU_DEP_3)
	v_add_co_ci_u32_e32 v27, vcc_lo, s11, v27, vcc_lo
	v_add_co_u32 v30, vcc_lo, s10, v30
	s_delay_alu instid0(VALU_DEP_4) | instskip(SKIP_2) | instid1(VALU_DEP_1)
	v_add_co_ci_u32_e32 v31, vcc_lo, s11, v31, vcc_lo
	global_load_b128 v[26:29], v[26:27], off
	v_add_nc_u32_e32 v6, -7, v4
	v_lshlrev_b64 v[32:33], 3, v[6:7]
	s_delay_alu instid0(VALU_DEP_1) | instskip(NEXT) | instid1(VALU_DEP_2)
	v_add_co_u32 v36, vcc_lo, s8, v32
	v_add_co_ci_u32_e32 v37, vcc_lo, s9, v33, vcc_lo
	global_load_b128 v[30:33], v[30:31], off
	v_add_nc_u32_e32 v6, -6, v4
	global_load_b64 v[52:53], v[36:37], off
	s_waitcnt vmcnt(2)
	v_fmac_f32_e32 v13, v23, v26
	v_fmac_f32_e32 v17, v48, v26
	v_lshlrev_b64 v[34:35], 3, v[6:7]
	s_delay_alu instid0(VALU_DEP_3) | instskip(SKIP_1) | instid1(VALU_DEP_4)
	v_dual_fmac_f32 v13, v22, v27 :: v_dual_add_nc_u32 v6, -15, v4
	v_fmac_f32_e32 v16, v22, v26
	v_fma_f32 v8, -v49, v27, v17
	s_delay_alu instid0(VALU_DEP_3) | instskip(SKIP_3) | instid1(VALU_DEP_4)
	v_lshlrev_b64 v[38:39], 3, v[6:7]
	v_add_co_u32 v34, vcc_lo, s8, v34
	v_fmac_f32_e32 v13, v25, v28
	v_add_co_ci_u32_e32 v35, vcc_lo, s9, v35, vcc_lo
	v_add_co_u32 v38, vcc_lo, s8, v38
	v_add_co_ci_u32_e32 v39, vcc_lo, s9, v39, vcc_lo
	v_fma_f32 v3, -v23, v27, v16
	v_dual_fmac_f32 v13, v24, v29 :: v_dual_add_nc_u32 v6, 4, v42
	s_clause 0x1
	global_load_b64 v[56:57], v[38:39], off
	global_load_b64 v[54:55], v[34:35], off
	v_fmac_f32_e32 v3, v24, v28
	v_lshlrev_b64 v[36:37], 3, v[6:7]
	s_waitcnt vmcnt(3)
	v_dual_fmac_f32 v13, v19, v30 :: v_dual_add_nc_u32 v6, -5, v4
	s_delay_alu instid0(VALU_DEP_3) | instskip(NEXT) | instid1(VALU_DEP_2)
	v_fma_f32 v3, -v25, v29, v3
	v_lshlrev_b64 v[34:35], 3, v[6:7]
	s_delay_alu instid0(VALU_DEP_4) | instskip(SKIP_1) | instid1(VALU_DEP_4)
	v_add_co_u32 v36, vcc_lo, s10, v36
	v_add_co_ci_u32_e32 v37, vcc_lo, s11, v37, vcc_lo
	v_dual_fmac_f32 v3, v18, v30 :: v_dual_add_nc_u32 v6, -14, v4
	s_delay_alu instid0(VALU_DEP_4)
	v_add_co_u32 v40, vcc_lo, s8, v34
	v_add_co_ci_u32_e32 v41, vcc_lo, s9, v35, vcc_lo
	global_load_b128 v[34:37], v[36:37], off
	v_lshlrev_b64 v[38:39], 3, v[6:7]
	v_add_nc_u32_e32 v6, -4, v4
	global_load_b64 v[58:59], v[40:41], off
	v_fma_f32 v3, -v19, v31, v3
	v_fmac_f32_e32 v13, v18, v31
	v_lshlrev_b64 v[43:44], 3, v[6:7]
	v_add_co_u32 v38, vcc_lo, s8, v38
	v_add_co_ci_u32_e32 v39, vcc_lo, s9, v39, vcc_lo
	v_add_nc_u32_e32 v6, -13, v4
	s_delay_alu instid0(VALU_DEP_4)
	v_add_co_u32 v43, vcc_lo, s8, v43
	v_add_co_ci_u32_e32 v44, vcc_lo, s9, v44, vcc_lo
	v_fmac_f32_e32 v3, v20, v32
	v_fmac_f32_e32 v13, v21, v32
	s_clause 0x1
	global_load_b64 v[62:63], v[43:44], off
	global_load_b64 v[60:61], v[38:39], off
	v_lshlrev_b64 v[40:41], 3, v[6:7]
	v_add_nc_u32_e32 v6, 6, v42
	v_fma_f32 v3, -v21, v33, v3
	v_fmac_f32_e32 v13, v20, v33
	s_delay_alu instid0(VALU_DEP_3) | instskip(SKIP_3) | instid1(VALU_DEP_3)
	v_lshlrev_b64 v[38:39], 3, v[6:7]
	v_add_nc_u32_e32 v6, -3, v4
	v_add_co_u32 v40, vcc_lo, s8, v40
	v_add_co_ci_u32_e32 v41, vcc_lo, s9, v41, vcc_lo
	v_lshlrev_b64 v[43:44], 3, v[6:7]
	v_add_nc_u32_e32 v6, -12, v4
	v_add_co_u32 v38, vcc_lo, s10, v38
	v_add_co_ci_u32_e32 v39, vcc_lo, s11, v39, vcc_lo
	s_delay_alu instid0(VALU_DEP_4)
	v_add_co_u32 v43, vcc_lo, s8, v43
	v_add_co_ci_u32_e32 v44, vcc_lo, s9, v44, vcc_lo
	s_clause 0x1
	global_load_b64 v[64:65], v[40:41], off
	global_load_b64 v[70:71], v[43:44], off
	s_waitcnt vmcnt(5)
	v_fmac_f32_e32 v3, v56, v34
	v_lshlrev_b64 v[66:67], 3, v[6:7]
	v_dual_fmac_f32 v13, v57, v34 :: v_dual_add_nc_u32 v6, -2, v4
	s_delay_alu instid0(VALU_DEP_3) | instskip(NEXT) | instid1(VALU_DEP_2)
	v_fma_f32 v3, -v57, v35, v3
	v_lshlrev_b64 v[68:69], 3, v[6:7]
	s_delay_alu instid0(VALU_DEP_4) | instskip(SKIP_2) | instid1(VALU_DEP_4)
	v_add_co_u32 v66, vcc_lo, s8, v66
	v_add_co_ci_u32_e32 v67, vcc_lo, s9, v67, vcc_lo
	v_dual_fmac_f32 v13, v56, v35 :: v_dual_add_nc_u32 v6, -11, v4
	v_add_co_u32 v68, vcc_lo, s8, v68
	v_add_co_ci_u32_e32 v69, vcc_lo, s9, v69, vcc_lo
	s_clause 0x1
	global_load_b64 v[66:67], v[66:67], off
	global_load_b64 v[68:69], v[68:69], off
	v_lshlrev_b64 v[43:44], 3, v[6:7]
	s_waitcnt vmcnt(4)
	v_dual_fmac_f32 v3, v60, v36 :: v_dual_add_nc_u32 v6, 8, v42
	v_fmac_f32_e32 v13, v61, v36
	s_delay_alu instid0(VALU_DEP_3) | instskip(NEXT) | instid1(VALU_DEP_4)
	v_add_co_u32 v42, vcc_lo, s8, v43
	v_add_co_ci_u32_e32 v43, vcc_lo, s9, v44, vcc_lo
	s_delay_alu instid0(VALU_DEP_4) | instskip(NEXT) | instid1(VALU_DEP_4)
	v_lshlrev_b64 v[72:73], 3, v[6:7]
	v_dual_fmac_f32 v13, v60, v37 :: v_dual_add_nc_u32 v6, -1, v4
	global_load_b64 v[74:75], v[42:43], off
	global_load_b128 v[38:41], v[38:39], off
	v_fma_f32 v3, -v61, v37, v3
	v_lshlrev_b64 v[44:45], 3, v[6:7]
	v_add_co_u32 v42, vcc_lo, s10, v72
	v_add_co_ci_u32_e32 v43, vcc_lo, s11, v73, vcc_lo
	v_add_nc_u32_e32 v6, -10, v4
	s_delay_alu instid0(VALU_DEP_4)
	v_add_co_u32 v72, vcc_lo, s8, v44
	v_add_co_ci_u32_e32 v73, vcc_lo, s9, v45, vcc_lo
	global_load_b128 v[42:45], v[42:43], off
	global_load_b64 v[72:73], v[72:73], off
	v_fmac_f32_e32 v8, v50, v28
	s_waitcnt vmcnt(2)
	v_dual_fmac_f32 v13, v65, v38 :: v_dual_add_nc_u32 v4, 0x50, v4
	v_fmac_f32_e32 v3, v64, v38
	v_lshlrev_b64 v[5:6], 3, v[6:7]
	v_fmac_f32_e32 v14, v49, v26
	v_fma_f32 v8, -v51, v29, v8
	v_fmac_f32_e32 v13, v64, v39
	v_fma_f32 v3, -v65, v39, v3
	v_add_co_u32 v5, vcc_lo, s8, v5
	v_add_co_ci_u32_e32 v6, vcc_lo, s9, v6, vcc_lo
	s_clause 0x1
	global_load_b64 v[5:6], v[5:6], off
	global_load_b64 v[46:47], v[46:47], off
	v_dual_fmac_f32 v14, v48, v27 :: v_dual_fmac_f32 v3, v66, v40
	v_dual_fmac_f32 v8, v52, v30 :: v_dual_fmac_f32 v13, v67, v40
	v_cmp_ge_i32_e32 vcc_lo, v2, v15
	s_delay_alu instid0(VALU_DEP_3) | instskip(NEXT) | instid1(VALU_DEP_4)
	v_fmac_f32_e32 v14, v51, v28
	v_fma_f32 v3, -v67, v41, v3
	s_delay_alu instid0(VALU_DEP_4)
	v_fma_f32 v8, -v53, v31, v8
	v_fmac_f32_e32 v13, v66, v41
	s_or_b32 s2, vcc_lo, s2
	v_fmac_f32_e32 v14, v50, v29
	s_waitcnt vmcnt(3)
	v_fmac_f32_e32 v3, v74, v42
	v_fmac_f32_e32 v13, v75, v42
	s_delay_alu instid0(VALU_DEP_3) | instskip(NEXT) | instid1(VALU_DEP_3)
	v_fmac_f32_e32 v14, v53, v30
	v_fma_f32 v3, -v75, v43, v3
	s_delay_alu instid0(VALU_DEP_3) | instskip(NEXT) | instid1(VALU_DEP_3)
	v_fmac_f32_e32 v13, v74, v43
	v_fmac_f32_e32 v14, v52, v31
	s_delay_alu instid0(VALU_DEP_1) | instskip(NEXT) | instid1(VALU_DEP_1)
	v_fmac_f32_e32 v14, v55, v32
	v_fmac_f32_e32 v14, v54, v33
	s_waitcnt vmcnt(1)
	s_delay_alu instid0(VALU_DEP_1) | instskip(SKIP_1) | instid1(VALU_DEP_2)
	v_dual_fmac_f32 v14, v59, v34 :: v_dual_fmac_f32 v13, v6, v44
	v_fmac_f32_e32 v8, v54, v32
	v_dual_fmac_f32 v14, v58, v35 :: v_dual_fmac_f32 v3, v5, v44
	s_delay_alu instid0(VALU_DEP_3) | instskip(NEXT) | instid1(VALU_DEP_3)
	v_fmac_f32_e32 v13, v5, v45
	v_fma_f32 v8, -v55, v33, v8
	s_delay_alu instid0(VALU_DEP_3) | instskip(NEXT) | instid1(VALU_DEP_4)
	v_fmac_f32_e32 v14, v63, v36
	v_fma_f32 v16, -v6, v45, v3
	s_delay_alu instid0(VALU_DEP_3) | instskip(NEXT) | instid1(VALU_DEP_3)
	v_fmac_f32_e32 v8, v58, v34
	v_fmac_f32_e32 v14, v62, v37
	s_delay_alu instid0(VALU_DEP_2) | instskip(NEXT) | instid1(VALU_DEP_2)
	v_fma_f32 v8, -v59, v35, v8
	v_fmac_f32_e32 v14, v71, v38
	s_delay_alu instid0(VALU_DEP_2) | instskip(NEXT) | instid1(VALU_DEP_2)
	v_fmac_f32_e32 v8, v62, v36
	v_fmac_f32_e32 v14, v70, v39
	s_delay_alu instid0(VALU_DEP_2) | instskip(NEXT) | instid1(VALU_DEP_2)
	v_fma_f32 v8, -v63, v37, v8
	v_fmac_f32_e32 v14, v69, v40
	s_delay_alu instid0(VALU_DEP_2) | instskip(NEXT) | instid1(VALU_DEP_2)
	;; [unrolled: 6-line block ×3, first 2 shown]
	v_fmac_f32_e32 v8, v68, v40
	v_fmac_f32_e32 v14, v72, v43
	s_delay_alu instid0(VALU_DEP_2) | instskip(SKIP_1) | instid1(VALU_DEP_2)
	v_fma_f32 v8, -v69, v41, v8
	s_waitcnt vmcnt(0)
	v_fmac_f32_e32 v14, v47, v44
	s_delay_alu instid0(VALU_DEP_2) | instskip(NEXT) | instid1(VALU_DEP_2)
	v_fmac_f32_e32 v8, v72, v42
	v_fmac_f32_e32 v14, v46, v45
	s_delay_alu instid0(VALU_DEP_2) | instskip(NEXT) | instid1(VALU_DEP_1)
	v_fma_f32 v8, -v73, v43, v8
	v_fmac_f32_e32 v8, v46, v44
	s_delay_alu instid0(VALU_DEP_1)
	v_fma_f32 v17, -v47, v45, v8
	s_and_not1_b32 exec_lo, exec_lo, s2
	s_cbranch_execnz .LBB192_21
; %bb.22:
	s_or_b32 exec_lo, exec_lo, s2
.LBB192_23:
	s_delay_alu instid0(SALU_CYCLE_1)
	s_or_b32 exec_lo, exec_lo, s3
.LBB192_24:
	v_mbcnt_lo_u32_b32 v2, -1, 0
	s_delay_alu instid0(VALU_DEP_1) | instskip(SKIP_1) | instid1(VALU_DEP_2)
	v_xor_b32_e32 v3, 2, v2
	v_xor_b32_e32 v7, 1, v2
	v_cmp_gt_i32_e32 vcc_lo, 32, v3
	v_cndmask_b32_e32 v3, v2, v3, vcc_lo
	s_delay_alu instid0(VALU_DEP_3) | instskip(NEXT) | instid1(VALU_DEP_2)
	v_cmp_gt_i32_e32 vcc_lo, 32, v7
	v_lshlrev_b32_e32 v3, 2, v3
	v_cndmask_b32_e32 v2, v2, v7, vcc_lo
	v_cmp_eq_u32_e32 vcc_lo, 3, v0
	ds_bpermute_b32 v6, v3, v17
	v_lshlrev_b32_e32 v7, 2, v2
	s_waitcnt lgkmcnt(0)
	v_add_f32_e32 v2, v17, v6
	ds_bpermute_b32 v4, v3, v16
	ds_bpermute_b32 v5, v3, v13
	;; [unrolled: 1-line block ×4, first 2 shown]
	s_waitcnt lgkmcnt(2)
	v_dual_add_f32 v4, v16, v4 :: v_dual_add_f32 v5, v13, v5
	s_waitcnt lgkmcnt(1)
	v_add_f32_e32 v3, v14, v3
	ds_bpermute_b32 v8, v7, v4
	ds_bpermute_b32 v13, v7, v5
	;; [unrolled: 1-line block ×3, first 2 shown]
	s_and_b32 exec_lo, exec_lo, vcc_lo
	s_cbranch_execz .LBB192_29
; %bb.25:
	s_load_b64 s[2:3], s[0:1], 0x38
	v_cmp_eq_f32_e32 vcc_lo, 0, v11
	v_cmp_eq_f32_e64 s0, 0, v12
	s_waitcnt lgkmcnt(0)
	v_dual_add_f32 v0, v4, v8 :: v_dual_add_f32 v3, v3, v7
	v_add_f32_e32 v4, v5, v13
	v_add_f32_e32 v2, v2, v6
	s_and_b32 s0, vcc_lo, s0
	s_delay_alu instid0(SALU_CYCLE_1) | instskip(NEXT) | instid1(SALU_CYCLE_1)
	s_and_saveexec_b32 s1, s0
	s_xor_b32 s0, exec_lo, s1
	s_cbranch_execz .LBB192_27
; %bb.26:
	v_mul_f32_e64 v5, v4, -v10
	v_mul_f32_e32 v6, v4, v9
	v_mul_f32_e64 v7, v3, -v10
	v_mul_f32_e32 v8, v3, v9
                                        ; implicit-def: $vgpr4
                                        ; implicit-def: $vgpr3
	s_delay_alu instid0(VALU_DEP_4) | instskip(NEXT) | instid1(VALU_DEP_4)
	v_fmac_f32_e32 v5, v9, v0
	v_dual_fmac_f32 v6, v10, v0 :: v_dual_lshlrev_b32 v11, 1, v1
	s_delay_alu instid0(VALU_DEP_4) | instskip(NEXT) | instid1(VALU_DEP_4)
	v_fmac_f32_e32 v7, v9, v2
	v_fmac_f32_e32 v8, v10, v2
                                        ; implicit-def: $vgpr9
                                        ; implicit-def: $vgpr10
                                        ; implicit-def: $vgpr2
	s_delay_alu instid0(VALU_DEP_3) | instskip(NEXT) | instid1(VALU_DEP_1)
	v_ashrrev_i32_e32 v12, 31, v11
	v_lshlrev_b64 v[11:12], 3, v[11:12]
	s_delay_alu instid0(VALU_DEP_1) | instskip(NEXT) | instid1(VALU_DEP_2)
	v_add_co_u32 v0, vcc_lo, s2, v11
	v_add_co_ci_u32_e32 v1, vcc_lo, s3, v12, vcc_lo
                                        ; implicit-def: $vgpr11
                                        ; implicit-def: $vgpr12
	global_store_b128 v[0:1], v[5:8], off
                                        ; implicit-def: $vgpr1
                                        ; implicit-def: $vgpr0
.LBB192_27:
	s_and_not1_saveexec_b32 s0, s0
	s_cbranch_execz .LBB192_29
; %bb.28:
	v_lshlrev_b32_e32 v5, 1, v1
	v_mul_f32_e64 v15, v4, -v10
	v_mul_f32_e32 v1, v4, v9
	v_mul_f32_e64 v4, v3, -v10
	v_mul_f32_e32 v3, v3, v9
	s_delay_alu instid0(VALU_DEP_4) | instskip(NEXT) | instid1(VALU_DEP_3)
	v_fmac_f32_e32 v15, v9, v0
	v_fmac_f32_e32 v4, v9, v2
	v_ashrrev_i32_e32 v6, 31, v5
	s_delay_alu instid0(VALU_DEP_4) | instskip(NEXT) | instid1(VALU_DEP_2)
	v_fmac_f32_e32 v3, v10, v2
	v_lshlrev_b64 v[5:6], 3, v[5:6]
	s_delay_alu instid0(VALU_DEP_1) | instskip(NEXT) | instid1(VALU_DEP_2)
	v_add_co_u32 v13, vcc_lo, s2, v5
	v_add_co_ci_u32_e32 v14, vcc_lo, s3, v6, vcc_lo
	global_load_b128 v[5:8], v[13:14], off
	s_waitcnt vmcnt(0)
	v_dual_fmac_f32 v4, v11, v7 :: v_dual_fmac_f32 v1, v10, v0
	v_fmac_f32_e32 v15, v11, v5
	v_fmac_f32_e32 v3, v12, v7
	s_delay_alu instid0(VALU_DEP_3) | instskip(NEXT) | instid1(VALU_DEP_4)
	v_fma_f32 v2, -v12, v8, v4
	v_fmac_f32_e32 v1, v12, v5
	s_delay_alu instid0(VALU_DEP_4) | instskip(NEXT) | instid1(VALU_DEP_4)
	v_fma_f32 v0, -v12, v6, v15
	v_fmac_f32_e32 v3, v11, v8
	s_delay_alu instid0(VALU_DEP_3)
	v_fmac_f32_e32 v1, v11, v6
	global_store_b128 v[13:14], v[0:3], off
.LBB192_29:
	s_nop 0
	s_sendmsg sendmsg(MSG_DEALLOC_VGPRS)
	s_endpgm
	.section	.rodata,"a",@progbits
	.p2align	6, 0x0
	.amdhsa_kernel _ZN9rocsparseL19gebsrmvn_2xn_kernelILj128ELj10ELj4E21rocsparse_complex_numIfEEEvi20rocsparse_direction_NS_24const_host_device_scalarIT2_EEPKiS8_PKS5_SA_S6_PS5_21rocsparse_index_base_b
		.amdhsa_group_segment_fixed_size 0
		.amdhsa_private_segment_fixed_size 0
		.amdhsa_kernarg_size 72
		.amdhsa_user_sgpr_count 15
		.amdhsa_user_sgpr_dispatch_ptr 0
		.amdhsa_user_sgpr_queue_ptr 0
		.amdhsa_user_sgpr_kernarg_segment_ptr 1
		.amdhsa_user_sgpr_dispatch_id 0
		.amdhsa_user_sgpr_private_segment_size 0
		.amdhsa_wavefront_size32 1
		.amdhsa_uses_dynamic_stack 0
		.amdhsa_enable_private_segment 0
		.amdhsa_system_sgpr_workgroup_id_x 1
		.amdhsa_system_sgpr_workgroup_id_y 0
		.amdhsa_system_sgpr_workgroup_id_z 0
		.amdhsa_system_sgpr_workgroup_info 0
		.amdhsa_system_vgpr_workitem_id 0
		.amdhsa_next_free_vgpr 78
		.amdhsa_next_free_sgpr 16
		.amdhsa_reserve_vcc 1
		.amdhsa_float_round_mode_32 0
		.amdhsa_float_round_mode_16_64 0
		.amdhsa_float_denorm_mode_32 3
		.amdhsa_float_denorm_mode_16_64 3
		.amdhsa_dx10_clamp 1
		.amdhsa_ieee_mode 1
		.amdhsa_fp16_overflow 0
		.amdhsa_workgroup_processor_mode 1
		.amdhsa_memory_ordered 1
		.amdhsa_forward_progress 0
		.amdhsa_shared_vgpr_count 0
		.amdhsa_exception_fp_ieee_invalid_op 0
		.amdhsa_exception_fp_denorm_src 0
		.amdhsa_exception_fp_ieee_div_zero 0
		.amdhsa_exception_fp_ieee_overflow 0
		.amdhsa_exception_fp_ieee_underflow 0
		.amdhsa_exception_fp_ieee_inexact 0
		.amdhsa_exception_int_div_zero 0
	.end_amdhsa_kernel
	.section	.text._ZN9rocsparseL19gebsrmvn_2xn_kernelILj128ELj10ELj4E21rocsparse_complex_numIfEEEvi20rocsparse_direction_NS_24const_host_device_scalarIT2_EEPKiS8_PKS5_SA_S6_PS5_21rocsparse_index_base_b,"axG",@progbits,_ZN9rocsparseL19gebsrmvn_2xn_kernelILj128ELj10ELj4E21rocsparse_complex_numIfEEEvi20rocsparse_direction_NS_24const_host_device_scalarIT2_EEPKiS8_PKS5_SA_S6_PS5_21rocsparse_index_base_b,comdat
.Lfunc_end192:
	.size	_ZN9rocsparseL19gebsrmvn_2xn_kernelILj128ELj10ELj4E21rocsparse_complex_numIfEEEvi20rocsparse_direction_NS_24const_host_device_scalarIT2_EEPKiS8_PKS5_SA_S6_PS5_21rocsparse_index_base_b, .Lfunc_end192-_ZN9rocsparseL19gebsrmvn_2xn_kernelILj128ELj10ELj4E21rocsparse_complex_numIfEEEvi20rocsparse_direction_NS_24const_host_device_scalarIT2_EEPKiS8_PKS5_SA_S6_PS5_21rocsparse_index_base_b
                                        ; -- End function
	.section	.AMDGPU.csdata,"",@progbits
; Kernel info:
; codeLenInByte = 3688
; NumSgprs: 18
; NumVgprs: 78
; ScratchSize: 0
; MemoryBound: 0
; FloatMode: 240
; IeeeMode: 1
; LDSByteSize: 0 bytes/workgroup (compile time only)
; SGPRBlocks: 2
; VGPRBlocks: 9
; NumSGPRsForWavesPerEU: 18
; NumVGPRsForWavesPerEU: 78
; Occupancy: 16
; WaveLimiterHint : 1
; COMPUTE_PGM_RSRC2:SCRATCH_EN: 0
; COMPUTE_PGM_RSRC2:USER_SGPR: 15
; COMPUTE_PGM_RSRC2:TRAP_HANDLER: 0
; COMPUTE_PGM_RSRC2:TGID_X_EN: 1
; COMPUTE_PGM_RSRC2:TGID_Y_EN: 0
; COMPUTE_PGM_RSRC2:TGID_Z_EN: 0
; COMPUTE_PGM_RSRC2:TIDIG_COMP_CNT: 0
	.section	.text._ZN9rocsparseL19gebsrmvn_2xn_kernelILj128ELj10ELj8E21rocsparse_complex_numIfEEEvi20rocsparse_direction_NS_24const_host_device_scalarIT2_EEPKiS8_PKS5_SA_S6_PS5_21rocsparse_index_base_b,"axG",@progbits,_ZN9rocsparseL19gebsrmvn_2xn_kernelILj128ELj10ELj8E21rocsparse_complex_numIfEEEvi20rocsparse_direction_NS_24const_host_device_scalarIT2_EEPKiS8_PKS5_SA_S6_PS5_21rocsparse_index_base_b,comdat
	.globl	_ZN9rocsparseL19gebsrmvn_2xn_kernelILj128ELj10ELj8E21rocsparse_complex_numIfEEEvi20rocsparse_direction_NS_24const_host_device_scalarIT2_EEPKiS8_PKS5_SA_S6_PS5_21rocsparse_index_base_b ; -- Begin function _ZN9rocsparseL19gebsrmvn_2xn_kernelILj128ELj10ELj8E21rocsparse_complex_numIfEEEvi20rocsparse_direction_NS_24const_host_device_scalarIT2_EEPKiS8_PKS5_SA_S6_PS5_21rocsparse_index_base_b
	.p2align	8
	.type	_ZN9rocsparseL19gebsrmvn_2xn_kernelILj128ELj10ELj8E21rocsparse_complex_numIfEEEvi20rocsparse_direction_NS_24const_host_device_scalarIT2_EEPKiS8_PKS5_SA_S6_PS5_21rocsparse_index_base_b,@function
_ZN9rocsparseL19gebsrmvn_2xn_kernelILj128ELj10ELj8E21rocsparse_complex_numIfEEEvi20rocsparse_direction_NS_24const_host_device_scalarIT2_EEPKiS8_PKS5_SA_S6_PS5_21rocsparse_index_base_b: ; @_ZN9rocsparseL19gebsrmvn_2xn_kernelILj128ELj10ELj8E21rocsparse_complex_numIfEEEvi20rocsparse_direction_NS_24const_host_device_scalarIT2_EEPKiS8_PKS5_SA_S6_PS5_21rocsparse_index_base_b
; %bb.0:
	s_clause 0x2
	s_load_b64 s[12:13], s[0:1], 0x40
	s_load_b64 s[4:5], s[0:1], 0x8
	;; [unrolled: 1-line block ×3, first 2 shown]
	s_waitcnt lgkmcnt(0)
	s_bitcmp1_b32 s13, 0
	v_mov_b32_e32 v9, s4
	s_cselect_b32 s6, -1, 0
	s_delay_alu instid0(SALU_CYCLE_1)
	s_and_b32 vcc_lo, exec_lo, s6
	s_xor_b32 s6, s6, -1
	s_cbranch_vccz .LBB193_15
; %bb.1:
	v_cndmask_b32_e64 v1, 0, 1, s6
	v_mov_b32_e32 v10, s5
	s_and_not1_b32 vcc_lo, exec_lo, s6
	s_cbranch_vccz .LBB193_16
.LBB193_2:
	s_delay_alu instid0(VALU_DEP_2)
	v_cmp_ne_u32_e32 vcc_lo, 1, v1
	v_mov_b32_e32 v11, s2
	s_cbranch_vccz .LBB193_17
.LBB193_3:
	v_cmp_ne_u32_e32 vcc_lo, 1, v1
	v_mov_b32_e32 v12, s3
	s_cbranch_vccnz .LBB193_5
.LBB193_4:
	v_dual_mov_b32 v1, s2 :: v_dual_mov_b32 v2, s3
	flat_load_b32 v12, v[1:2] offset:4
.LBB193_5:
	s_waitcnt vmcnt(0) lgkmcnt(0)
	v_cmp_eq_f32_e32 vcc_lo, 0, v9
	v_cmp_eq_f32_e64 s2, 0, v10
	s_delay_alu instid0(VALU_DEP_1)
	s_and_b32 s4, vcc_lo, s2
	s_mov_b32 s2, -1
	s_and_saveexec_b32 s3, s4
; %bb.6:
	v_cmp_neq_f32_e32 vcc_lo, 1.0, v11
	v_cmp_neq_f32_e64 s2, 0, v12
	s_delay_alu instid0(VALU_DEP_1) | instskip(NEXT) | instid1(SALU_CYCLE_1)
	s_or_b32 s2, vcc_lo, s2
	s_or_not1_b32 s2, s2, exec_lo
; %bb.7:
	s_or_b32 exec_lo, exec_lo, s3
	s_and_saveexec_b32 s3, s2
	s_cbranch_execz .LBB193_29
; %bb.8:
	s_load_b64 s[2:3], s[0:1], 0x0
	v_lshrrev_b32_e32 v1, 3, v0
	s_delay_alu instid0(VALU_DEP_1) | instskip(SKIP_1) | instid1(VALU_DEP_1)
	v_lshl_or_b32 v1, s15, 4, v1
	s_waitcnt lgkmcnt(0)
	v_cmp_gt_i32_e32 vcc_lo, s2, v1
	s_and_b32 exec_lo, exec_lo, vcc_lo
	s_cbranch_execz .LBB193_29
; %bb.9:
	s_load_b256 s[4:11], s[0:1], 0x10
	v_ashrrev_i32_e32 v2, 31, v1
	v_and_b32_e32 v0, 7, v0
	s_cmp_lg_u32 s3, 0
	s_delay_alu instid0(VALU_DEP_2) | instskip(SKIP_1) | instid1(VALU_DEP_1)
	v_lshlrev_b64 v[2:3], 2, v[1:2]
	s_waitcnt lgkmcnt(0)
	v_add_co_u32 v2, vcc_lo, s4, v2
	s_delay_alu instid0(VALU_DEP_2) | instskip(SKIP_4) | instid1(VALU_DEP_2)
	v_add_co_ci_u32_e32 v3, vcc_lo, s5, v3, vcc_lo
	global_load_b64 v[2:3], v[2:3], off
	s_waitcnt vmcnt(0)
	v_subrev_nc_u32_e32 v2, s12, v2
	v_subrev_nc_u32_e32 v15, s12, v3
	v_add_nc_u32_e32 v2, v2, v0
	s_delay_alu instid0(VALU_DEP_1)
	v_cmp_lt_i32_e64 s2, v2, v15
	s_cbranch_scc0 .LBB193_18
; %bb.10:
	v_dual_mov_b32 v13, 0 :: v_dual_mov_b32 v16, 0
	v_dual_mov_b32 v17, 0 :: v_dual_mov_b32 v14, 0
	s_mov_b32 s4, 0
	s_and_saveexec_b32 s5, s2
	s_cbranch_execz .LBB193_14
; %bb.11:
	v_mad_u64_u32 v[3:4], null, v2, 20, 18
	v_dual_mov_b32 v6, 0 :: v_dual_mov_b32 v7, v2
	v_dual_mov_b32 v13, 0 :: v_dual_mov_b32 v16, 0
	;; [unrolled: 1-line block ×3, first 2 shown]
	s_mov_b32 s13, 0
.LBB193_12:                             ; =>This Inner Loop Header: Depth=1
	s_delay_alu instid0(VALU_DEP_3) | instskip(NEXT) | instid1(VALU_DEP_1)
	v_ashrrev_i32_e32 v8, 31, v7
	v_lshlrev_b64 v[4:5], 2, v[7:8]
	v_add_nc_u32_e32 v7, 8, v7
	s_delay_alu instid0(VALU_DEP_2) | instskip(NEXT) | instid1(VALU_DEP_3)
	v_add_co_u32 v4, vcc_lo, s6, v4
	v_add_co_ci_u32_e32 v5, vcc_lo, s7, v5, vcc_lo
	global_load_b32 v8, v[4:5], off
	v_subrev_nc_u32_e32 v5, 18, v3
	v_mov_b32_e32 v4, v6
	s_delay_alu instid0(VALU_DEP_2) | instskip(SKIP_1) | instid1(VALU_DEP_3)
	v_lshlrev_b64 v[18:19], 3, v[5:6]
	v_add_nc_u32_e32 v5, -14, v3
	v_lshlrev_b64 v[73:74], 3, v[3:4]
	s_delay_alu instid0(VALU_DEP_2) | instskip(NEXT) | instid1(VALU_DEP_4)
	v_lshlrev_b64 v[4:5], 3, v[5:6]
	v_add_co_u32 v22, vcc_lo, s8, v18
	v_add_co_ci_u32_e32 v23, vcc_lo, s9, v19, vcc_lo
	s_delay_alu instid0(VALU_DEP_4) | instskip(NEXT) | instid1(VALU_DEP_4)
	v_add_co_u32 v75, vcc_lo, s8, v73
	v_add_co_u32 v4, s3, s8, v4
	s_delay_alu instid0(VALU_DEP_1)
	v_add_co_ci_u32_e64 v5, s3, s9, v5, s3
	s_clause 0x2
	global_load_b128 v[18:21], v[22:23], off offset:16
	global_load_b128 v[22:25], v[22:23], off
	global_load_b128 v[26:29], v[4:5], off
	v_mov_b32_e32 v59, v6
	v_add_co_ci_u32_e32 v76, vcc_lo, s9, v74, vcc_lo
	v_cmp_ge_i32_e32 vcc_lo, v7, v15
	s_or_b32 s13, vcc_lo, s13
	s_waitcnt vmcnt(3)
	v_subrev_nc_u32_e32 v4, s12, v8
	s_delay_alu instid0(VALU_DEP_1) | instskip(NEXT) | instid1(VALU_DEP_1)
	v_mul_lo_u32 v58, v4, 10
	v_lshlrev_b64 v[30:31], 3, v[58:59]
	s_delay_alu instid0(VALU_DEP_1) | instskip(NEXT) | instid1(VALU_DEP_1)
	v_add_co_u32 v30, s3, s10, v30
	v_add_co_ci_u32_e64 v31, s3, s11, v31, s3
	global_load_b128 v[30:33], v[30:31], off
	v_add_nc_u32_e32 v5, 2, v58
	s_delay_alu instid0(VALU_DEP_1) | instskip(NEXT) | instid1(VALU_DEP_1)
	v_lshlrev_b64 v[34:35], 3, v[5:6]
	v_add_co_u32 v34, s3, s10, v34
	s_delay_alu instid0(VALU_DEP_1) | instskip(SKIP_3) | instid1(VALU_DEP_1)
	v_add_co_ci_u32_e64 v35, s3, s11, v35, s3
	global_load_b128 v[34:37], v[34:35], off
	s_waitcnt vmcnt(1)
	v_dual_fmac_f32 v16, v22, v30 :: v_dual_add_nc_u32 v5, -12, v3
	v_lshlrev_b64 v[38:39], 3, v[5:6]
	v_dual_fmac_f32 v14, v25, v30 :: v_dual_add_nc_u32 v5, -10, v3
	s_delay_alu instid0(VALU_DEP_1) | instskip(NEXT) | instid1(VALU_DEP_3)
	v_lshlrev_b64 v[40:41], 3, v[5:6]
	v_add_co_u32 v38, s3, s8, v38
	s_delay_alu instid0(VALU_DEP_1) | instskip(NEXT) | instid1(VALU_DEP_4)
	v_add_co_ci_u32_e64 v39, s3, s9, v39, s3
	v_fmac_f32_e32 v14, v24, v31
	s_delay_alu instid0(VALU_DEP_4) | instskip(NEXT) | instid1(VALU_DEP_1)
	v_add_co_u32 v42, s3, s8, v40
	v_add_co_ci_u32_e64 v43, s3, s9, v41, s3
	global_load_b128 v[38:41], v[38:39], off
	v_dual_fmac_f32 v14, v21, v32 :: v_dual_add_nc_u32 v5, 4, v58
	global_load_b128 v[42:45], v[42:43], off
	v_lshlrev_b64 v[46:47], 3, v[5:6]
	v_dual_fmac_f32 v14, v20, v33 :: v_dual_add_nc_u32 v5, -8, v3
	s_delay_alu instid0(VALU_DEP_1) | instskip(NEXT) | instid1(VALU_DEP_3)
	v_lshlrev_b64 v[48:49], 3, v[5:6]
	v_add_co_u32 v46, s3, s10, v46
	s_delay_alu instid0(VALU_DEP_1) | instskip(SKIP_1) | instid1(VALU_DEP_4)
	v_add_co_ci_u32_e64 v47, s3, s11, v47, s3
	v_add_nc_u32_e32 v5, -6, v3
	v_add_co_u32 v50, s3, s8, v48
	s_delay_alu instid0(VALU_DEP_1)
	v_add_co_ci_u32_e64 v51, s3, s9, v49, s3
	global_load_b128 v[46:49], v[46:47], off
	v_lshlrev_b64 v[54:55], 3, v[5:6]
	s_waitcnt vmcnt(3)
	v_fmac_f32_e32 v14, v29, v34
	global_load_b128 v[50:53], v[50:51], off
	v_dual_fmac_f32 v14, v28, v35 :: v_dual_add_nc_u32 v5, 6, v58
	v_add_co_u32 v54, s3, s8, v54
	s_delay_alu instid0(VALU_DEP_2) | instskip(SKIP_2) | instid1(VALU_DEP_3)
	v_lshlrev_b64 v[56:57], 3, v[5:6]
	v_add_nc_u32_e32 v5, -4, v3
	v_add_co_ci_u32_e64 v55, s3, s9, v55, s3
	v_add_co_u32 v59, s3, s10, v56
	s_delay_alu instid0(VALU_DEP_3)
	v_lshlrev_b64 v[62:63], 3, v[5:6]
	v_add_nc_u32_e32 v5, -2, v3
	v_add_co_ci_u32_e64 v60, s3, s11, v57, s3
	global_load_b128 v[54:57], v[54:55], off
	v_add_nc_u32_e32 v3, 0xa0, v3
	v_add_co_u32 v62, s3, s8, v62
	s_delay_alu instid0(VALU_DEP_1)
	v_add_co_ci_u32_e64 v63, s3, s9, v63, s3
	global_load_b128 v[62:65], v[62:63], off
	s_waitcnt vmcnt(5)
	v_fmac_f32_e32 v14, v41, v36
	v_lshlrev_b64 v[66:67], 3, v[5:6]
	v_add_nc_u32_e32 v5, 8, v58
	global_load_b128 v[58:61], v[59:60], off
	v_fmac_f32_e32 v14, v40, v37
	v_lshlrev_b64 v[4:5], 3, v[5:6]
	v_add_co_u32 v66, s3, s8, v66
	s_delay_alu instid0(VALU_DEP_1) | instskip(NEXT) | instid1(VALU_DEP_3)
	v_add_co_ci_u32_e64 v67, s3, s9, v67, s3
	v_add_co_u32 v4, s3, s10, v4
	s_delay_alu instid0(VALU_DEP_1)
	v_add_co_ci_u32_e64 v5, s3, s11, v5, s3
	global_load_b128 v[66:69], v[66:67], off
	global_load_b128 v[70:73], v[4:5], off
	;; [unrolled: 1-line block ×3, first 2 shown]
	v_fma_f32 v4, -v23, v31, v16
	s_waitcnt vmcnt(7)
	v_fmac_f32_e32 v14, v45, v46
	s_delay_alu instid0(VALU_DEP_2) | instskip(NEXT) | instid1(VALU_DEP_2)
	v_dual_fmac_f32 v13, v23, v30 :: v_dual_fmac_f32 v4, v18, v32
	v_fmac_f32_e32 v14, v44, v47
	s_delay_alu instid0(VALU_DEP_2) | instskip(NEXT) | instid1(VALU_DEP_3)
	v_fmac_f32_e32 v13, v22, v31
	v_fma_f32 v4, -v19, v33, v4
	s_waitcnt vmcnt(6)
	s_delay_alu instid0(VALU_DEP_3) | instskip(NEXT) | instid1(VALU_DEP_2)
	v_fmac_f32_e32 v14, v53, v48
	v_fmac_f32_e32 v4, v26, v34
	s_delay_alu instid0(VALU_DEP_2) | instskip(NEXT) | instid1(VALU_DEP_2)
	v_fmac_f32_e32 v14, v52, v49
	v_fma_f32 v4, -v27, v35, v4
	s_delay_alu instid0(VALU_DEP_1) | instskip(NEXT) | instid1(VALU_DEP_1)
	v_fmac_f32_e32 v4, v38, v36
	v_fma_f32 v4, -v39, v37, v4
	s_delay_alu instid0(VALU_DEP_1) | instskip(NEXT) | instid1(VALU_DEP_1)
	v_dual_fmac_f32 v13, v19, v32 :: v_dual_fmac_f32 v4, v42, v46
	v_fmac_f32_e32 v13, v18, v33
	s_delay_alu instid0(VALU_DEP_2) | instskip(NEXT) | instid1(VALU_DEP_1)
	v_fma_f32 v4, -v43, v47, v4
	v_dual_fmac_f32 v17, v24, v30 :: v_dual_fmac_f32 v4, v50, v48
	s_delay_alu instid0(VALU_DEP_1) | instskip(NEXT) | instid1(VALU_DEP_2)
	v_fma_f32 v5, -v25, v31, v17
	v_fma_f32 v4, -v51, v49, v4
	s_waitcnt vmcnt(3)
	s_delay_alu instid0(VALU_DEP_1) | instskip(NEXT) | instid1(VALU_DEP_1)
	v_dual_fmac_f32 v5, v20, v32 :: v_dual_fmac_f32 v4, v54, v58
	v_fma_f32 v5, -v21, v33, v5
	v_fmac_f32_e32 v14, v57, v58
	v_fmac_f32_e32 v13, v27, v34
	s_delay_alu instid0(VALU_DEP_4) | instskip(NEXT) | instid1(VALU_DEP_4)
	v_fma_f32 v4, -v55, v59, v4
	v_fmac_f32_e32 v5, v28, v34
	s_delay_alu instid0(VALU_DEP_4) | instskip(NEXT) | instid1(VALU_DEP_4)
	v_fmac_f32_e32 v14, v56, v59
	v_fmac_f32_e32 v13, v26, v35
	s_delay_alu instid0(VALU_DEP_4) | instskip(NEXT) | instid1(VALU_DEP_4)
	v_fmac_f32_e32 v4, v62, v60
	v_fma_f32 v5, -v29, v35, v5
	s_delay_alu instid0(VALU_DEP_4) | instskip(NEXT) | instid1(VALU_DEP_4)
	v_fmac_f32_e32 v14, v65, v60
	v_fmac_f32_e32 v13, v39, v36
	s_delay_alu instid0(VALU_DEP_4) | instskip(NEXT) | instid1(VALU_DEP_4)
	v_fma_f32 v4, -v63, v61, v4
	v_fmac_f32_e32 v5, v40, v36
	s_delay_alu instid0(VALU_DEP_4) | instskip(NEXT) | instid1(VALU_DEP_4)
	v_fmac_f32_e32 v14, v64, v61
	v_fmac_f32_e32 v13, v38, v37
	s_waitcnt vmcnt(1)
	v_fmac_f32_e32 v4, v66, v70
	v_fma_f32 v5, -v41, v37, v5
	v_fmac_f32_e32 v14, v69, v70
	v_fmac_f32_e32 v13, v43, v46
	s_delay_alu instid0(VALU_DEP_4) | instskip(NEXT) | instid1(VALU_DEP_4)
	v_fma_f32 v4, -v67, v71, v4
	v_fmac_f32_e32 v5, v44, v46
	s_delay_alu instid0(VALU_DEP_4) | instskip(NEXT) | instid1(VALU_DEP_4)
	v_fmac_f32_e32 v14, v68, v71
	v_fmac_f32_e32 v13, v42, v47
	s_waitcnt vmcnt(0)
	v_fmac_f32_e32 v4, v74, v72
	v_fma_f32 v5, -v45, v47, v5
	v_fmac_f32_e32 v14, v77, v72
	v_fmac_f32_e32 v13, v51, v48
	s_delay_alu instid0(VALU_DEP_4) | instskip(NEXT) | instid1(VALU_DEP_4)
	v_fma_f32 v16, -v75, v73, v4
	v_fmac_f32_e32 v5, v52, v48
	s_delay_alu instid0(VALU_DEP_4) | instskip(NEXT) | instid1(VALU_DEP_4)
	v_fmac_f32_e32 v14, v76, v73
	v_fmac_f32_e32 v13, v50, v49
	s_delay_alu instid0(VALU_DEP_3) | instskip(NEXT) | instid1(VALU_DEP_2)
	v_fma_f32 v5, -v53, v49, v5
	v_fmac_f32_e32 v13, v55, v58
	s_delay_alu instid0(VALU_DEP_2) | instskip(NEXT) | instid1(VALU_DEP_2)
	v_fmac_f32_e32 v5, v56, v58
	v_fmac_f32_e32 v13, v54, v59
	s_delay_alu instid0(VALU_DEP_2) | instskip(NEXT) | instid1(VALU_DEP_2)
	v_fma_f32 v5, -v57, v59, v5
	v_fmac_f32_e32 v13, v63, v60
	s_delay_alu instid0(VALU_DEP_2) | instskip(NEXT) | instid1(VALU_DEP_2)
	v_fmac_f32_e32 v5, v64, v60
	v_fmac_f32_e32 v13, v62, v61
	s_delay_alu instid0(VALU_DEP_2) | instskip(NEXT) | instid1(VALU_DEP_2)
	;; [unrolled: 6-line block ×3, first 2 shown]
	v_fma_f32 v5, -v69, v71, v5
	v_fmac_f32_e32 v13, v75, v72
	s_delay_alu instid0(VALU_DEP_2) | instskip(NEXT) | instid1(VALU_DEP_2)
	v_fmac_f32_e32 v5, v76, v72
	v_fmac_f32_e32 v13, v74, v73
	s_delay_alu instid0(VALU_DEP_2)
	v_fma_f32 v17, -v77, v73, v5
	s_and_not1_b32 exec_lo, exec_lo, s13
	s_cbranch_execnz .LBB193_12
; %bb.13:
	s_or_b32 exec_lo, exec_lo, s13
.LBB193_14:
	s_delay_alu instid0(SALU_CYCLE_1) | instskip(NEXT) | instid1(SALU_CYCLE_1)
	s_or_b32 exec_lo, exec_lo, s5
	s_and_not1_b32 vcc_lo, exec_lo, s4
	s_cbranch_vccz .LBB193_19
	s_branch .LBB193_24
.LBB193_15:
	v_dual_mov_b32 v1, s4 :: v_dual_mov_b32 v2, s5
	flat_load_b32 v9, v[1:2]
	v_cndmask_b32_e64 v1, 0, 1, s6
	v_mov_b32_e32 v10, s5
	s_and_not1_b32 vcc_lo, exec_lo, s6
	s_cbranch_vccnz .LBB193_2
.LBB193_16:
	v_dual_mov_b32 v2, s4 :: v_dual_mov_b32 v3, s5
	flat_load_b32 v10, v[2:3] offset:4
	v_cmp_ne_u32_e32 vcc_lo, 1, v1
	v_mov_b32_e32 v11, s2
	s_cbranch_vccnz .LBB193_3
.LBB193_17:
	v_dual_mov_b32 v2, s2 :: v_dual_mov_b32 v3, s3
	flat_load_b32 v11, v[2:3]
	v_cmp_ne_u32_e32 vcc_lo, 1, v1
	v_mov_b32_e32 v12, s3
	s_cbranch_vccz .LBB193_4
	s_branch .LBB193_5
.LBB193_18:
                                        ; implicit-def: $vgpr13
                                        ; implicit-def: $vgpr16
                                        ; implicit-def: $vgpr17
                                        ; implicit-def: $vgpr14
.LBB193_19:
	v_dual_mov_b32 v13, 0 :: v_dual_mov_b32 v16, 0
	v_dual_mov_b32 v17, 0 :: v_dual_mov_b32 v14, 0
	s_delay_alu instid0(VALU_DEP_3)
	s_and_saveexec_b32 s3, s2
	s_cbranch_execz .LBB193_23
; %bb.20:
	v_mad_u64_u32 v[4:5], null, v2, 20, 19
	v_dual_mov_b32 v7, 0 :: v_dual_mov_b32 v16, 0
	v_dual_mov_b32 v13, 0 :: v_dual_mov_b32 v14, 0
	v_mov_b32_e32 v17, 0
	s_mov_b32 s2, 0
.LBB193_21:                             ; =>This Inner Loop Header: Depth=1
	v_ashrrev_i32_e32 v3, 31, v2
	v_dual_mov_b32 v43, v7 :: v_dual_add_nc_u32 v18, -9, v4
	v_mov_b32_e32 v19, v7
	s_delay_alu instid0(VALU_DEP_3) | instskip(SKIP_1) | instid1(VALU_DEP_2)
	v_lshlrev_b64 v[5:6], 2, v[2:3]
	v_add_nc_u32_e32 v2, 8, v2
	v_add_co_u32 v5, vcc_lo, s6, v5
	s_delay_alu instid0(VALU_DEP_3) | instskip(SKIP_2) | instid1(VALU_DEP_1)
	v_add_co_ci_u32_e32 v6, vcc_lo, s7, v6, vcc_lo
	global_load_b32 v3, v[5:6], off
	v_subrev_nc_u32_e32 v6, 19, v4
	v_lshlrev_b64 v[20:21], 3, v[6:7]
	v_add_nc_u32_e32 v6, -8, v4
	v_lshlrev_b64 v[18:19], 3, v[18:19]
	s_delay_alu instid0(VALU_DEP_3) | instskip(NEXT) | instid1(VALU_DEP_4)
	v_add_co_u32 v24, vcc_lo, s8, v20
	v_add_co_ci_u32_e32 v25, vcc_lo, s9, v21, vcc_lo
	s_delay_alu instid0(VALU_DEP_3) | instskip(NEXT) | instid1(VALU_DEP_4)
	v_add_co_u32 v26, vcc_lo, s8, v18
	v_add_co_ci_u32_e32 v27, vcc_lo, s9, v19, vcc_lo
	s_waitcnt vmcnt(0)
	v_subrev_nc_u32_e32 v3, s12, v3
	s_delay_alu instid0(VALU_DEP_1) | instskip(SKIP_1) | instid1(VALU_DEP_1)
	v_mul_lo_u32 v42, v3, 10
	v_mov_b32_e32 v5, v7
	v_lshlrev_b64 v[22:23], 3, v[4:5]
	v_lshlrev_b64 v[5:6], 3, v[6:7]
	s_delay_alu instid0(VALU_DEP_2) | instskip(NEXT) | instid1(VALU_DEP_3)
	v_add_co_u32 v46, vcc_lo, s8, v22
	v_add_co_ci_u32_e32 v47, vcc_lo, s9, v23, vcc_lo
	s_delay_alu instid0(VALU_DEP_3) | instskip(NEXT) | instid1(VALU_DEP_4)
	v_add_co_u32 v5, vcc_lo, s8, v5
	v_add_co_ci_u32_e32 v6, vcc_lo, s9, v6, vcc_lo
	s_clause 0x3
	global_load_b128 v[18:21], v[24:25], off offset:16
	global_load_b128 v[22:25], v[24:25], off
	global_load_b64 v[48:49], v[26:27], off
	global_load_b64 v[50:51], v[5:6], off
	v_add_nc_u32_e32 v6, 2, v42
	v_lshlrev_b64 v[26:27], 3, v[42:43]
	s_delay_alu instid0(VALU_DEP_2) | instskip(NEXT) | instid1(VALU_DEP_2)
	v_lshlrev_b64 v[30:31], 3, v[6:7]
	v_add_co_u32 v26, vcc_lo, s10, v26
	s_delay_alu instid0(VALU_DEP_3) | instskip(NEXT) | instid1(VALU_DEP_3)
	v_add_co_ci_u32_e32 v27, vcc_lo, s11, v27, vcc_lo
	v_add_co_u32 v30, vcc_lo, s10, v30
	s_delay_alu instid0(VALU_DEP_4) | instskip(SKIP_2) | instid1(VALU_DEP_1)
	v_add_co_ci_u32_e32 v31, vcc_lo, s11, v31, vcc_lo
	global_load_b128 v[26:29], v[26:27], off
	v_add_nc_u32_e32 v6, -7, v4
	v_lshlrev_b64 v[32:33], 3, v[6:7]
	s_delay_alu instid0(VALU_DEP_1) | instskip(NEXT) | instid1(VALU_DEP_2)
	v_add_co_u32 v36, vcc_lo, s8, v32
	v_add_co_ci_u32_e32 v37, vcc_lo, s9, v33, vcc_lo
	global_load_b128 v[30:33], v[30:31], off
	v_add_nc_u32_e32 v6, -6, v4
	global_load_b64 v[52:53], v[36:37], off
	s_waitcnt vmcnt(2)
	v_fmac_f32_e32 v13, v23, v26
	v_fmac_f32_e32 v17, v48, v26
	v_lshlrev_b64 v[34:35], 3, v[6:7]
	s_delay_alu instid0(VALU_DEP_3) | instskip(SKIP_1) | instid1(VALU_DEP_4)
	v_dual_fmac_f32 v13, v22, v27 :: v_dual_add_nc_u32 v6, -15, v4
	v_fmac_f32_e32 v16, v22, v26
	v_fma_f32 v8, -v49, v27, v17
	s_delay_alu instid0(VALU_DEP_3) | instskip(SKIP_3) | instid1(VALU_DEP_4)
	v_lshlrev_b64 v[38:39], 3, v[6:7]
	v_add_co_u32 v34, vcc_lo, s8, v34
	v_fmac_f32_e32 v13, v25, v28
	v_add_co_ci_u32_e32 v35, vcc_lo, s9, v35, vcc_lo
	v_add_co_u32 v38, vcc_lo, s8, v38
	v_add_co_ci_u32_e32 v39, vcc_lo, s9, v39, vcc_lo
	v_fma_f32 v3, -v23, v27, v16
	v_dual_fmac_f32 v13, v24, v29 :: v_dual_add_nc_u32 v6, 4, v42
	s_clause 0x1
	global_load_b64 v[56:57], v[38:39], off
	global_load_b64 v[54:55], v[34:35], off
	v_fmac_f32_e32 v3, v24, v28
	v_lshlrev_b64 v[36:37], 3, v[6:7]
	s_waitcnt vmcnt(3)
	v_dual_fmac_f32 v13, v19, v30 :: v_dual_add_nc_u32 v6, -5, v4
	s_delay_alu instid0(VALU_DEP_3) | instskip(NEXT) | instid1(VALU_DEP_2)
	v_fma_f32 v3, -v25, v29, v3
	v_lshlrev_b64 v[34:35], 3, v[6:7]
	s_delay_alu instid0(VALU_DEP_4) | instskip(SKIP_1) | instid1(VALU_DEP_4)
	v_add_co_u32 v36, vcc_lo, s10, v36
	v_add_co_ci_u32_e32 v37, vcc_lo, s11, v37, vcc_lo
	v_dual_fmac_f32 v3, v18, v30 :: v_dual_add_nc_u32 v6, -14, v4
	s_delay_alu instid0(VALU_DEP_4)
	v_add_co_u32 v40, vcc_lo, s8, v34
	v_add_co_ci_u32_e32 v41, vcc_lo, s9, v35, vcc_lo
	global_load_b128 v[34:37], v[36:37], off
	v_lshlrev_b64 v[38:39], 3, v[6:7]
	v_add_nc_u32_e32 v6, -4, v4
	global_load_b64 v[58:59], v[40:41], off
	v_fma_f32 v3, -v19, v31, v3
	v_fmac_f32_e32 v13, v18, v31
	v_lshlrev_b64 v[43:44], 3, v[6:7]
	v_add_co_u32 v38, vcc_lo, s8, v38
	v_add_co_ci_u32_e32 v39, vcc_lo, s9, v39, vcc_lo
	v_add_nc_u32_e32 v6, -13, v4
	s_delay_alu instid0(VALU_DEP_4)
	v_add_co_u32 v43, vcc_lo, s8, v43
	v_add_co_ci_u32_e32 v44, vcc_lo, s9, v44, vcc_lo
	v_fmac_f32_e32 v3, v20, v32
	v_fmac_f32_e32 v13, v21, v32
	s_clause 0x1
	global_load_b64 v[62:63], v[43:44], off
	global_load_b64 v[60:61], v[38:39], off
	v_lshlrev_b64 v[40:41], 3, v[6:7]
	v_add_nc_u32_e32 v6, 6, v42
	v_fma_f32 v3, -v21, v33, v3
	v_fmac_f32_e32 v13, v20, v33
	s_delay_alu instid0(VALU_DEP_3) | instskip(SKIP_3) | instid1(VALU_DEP_3)
	v_lshlrev_b64 v[38:39], 3, v[6:7]
	v_add_nc_u32_e32 v6, -3, v4
	v_add_co_u32 v40, vcc_lo, s8, v40
	v_add_co_ci_u32_e32 v41, vcc_lo, s9, v41, vcc_lo
	v_lshlrev_b64 v[43:44], 3, v[6:7]
	v_add_nc_u32_e32 v6, -12, v4
	v_add_co_u32 v38, vcc_lo, s10, v38
	v_add_co_ci_u32_e32 v39, vcc_lo, s11, v39, vcc_lo
	s_delay_alu instid0(VALU_DEP_4)
	v_add_co_u32 v43, vcc_lo, s8, v43
	v_add_co_ci_u32_e32 v44, vcc_lo, s9, v44, vcc_lo
	s_clause 0x1
	global_load_b64 v[64:65], v[40:41], off
	global_load_b64 v[70:71], v[43:44], off
	s_waitcnt vmcnt(5)
	v_fmac_f32_e32 v3, v56, v34
	v_lshlrev_b64 v[66:67], 3, v[6:7]
	v_dual_fmac_f32 v13, v57, v34 :: v_dual_add_nc_u32 v6, -2, v4
	s_delay_alu instid0(VALU_DEP_3) | instskip(NEXT) | instid1(VALU_DEP_2)
	v_fma_f32 v3, -v57, v35, v3
	v_lshlrev_b64 v[68:69], 3, v[6:7]
	s_delay_alu instid0(VALU_DEP_4) | instskip(SKIP_2) | instid1(VALU_DEP_4)
	v_add_co_u32 v66, vcc_lo, s8, v66
	v_add_co_ci_u32_e32 v67, vcc_lo, s9, v67, vcc_lo
	v_dual_fmac_f32 v13, v56, v35 :: v_dual_add_nc_u32 v6, -11, v4
	v_add_co_u32 v68, vcc_lo, s8, v68
	v_add_co_ci_u32_e32 v69, vcc_lo, s9, v69, vcc_lo
	s_clause 0x1
	global_load_b64 v[66:67], v[66:67], off
	global_load_b64 v[68:69], v[68:69], off
	v_lshlrev_b64 v[43:44], 3, v[6:7]
	s_waitcnt vmcnt(4)
	v_dual_fmac_f32 v3, v60, v36 :: v_dual_add_nc_u32 v6, 8, v42
	v_fmac_f32_e32 v13, v61, v36
	s_delay_alu instid0(VALU_DEP_3) | instskip(NEXT) | instid1(VALU_DEP_4)
	v_add_co_u32 v42, vcc_lo, s8, v43
	v_add_co_ci_u32_e32 v43, vcc_lo, s9, v44, vcc_lo
	s_delay_alu instid0(VALU_DEP_4) | instskip(NEXT) | instid1(VALU_DEP_4)
	v_lshlrev_b64 v[72:73], 3, v[6:7]
	v_dual_fmac_f32 v13, v60, v37 :: v_dual_add_nc_u32 v6, -1, v4
	global_load_b64 v[74:75], v[42:43], off
	global_load_b128 v[38:41], v[38:39], off
	v_fma_f32 v3, -v61, v37, v3
	v_lshlrev_b64 v[44:45], 3, v[6:7]
	v_add_co_u32 v42, vcc_lo, s10, v72
	v_add_co_ci_u32_e32 v43, vcc_lo, s11, v73, vcc_lo
	v_add_nc_u32_e32 v6, -10, v4
	s_delay_alu instid0(VALU_DEP_4)
	v_add_co_u32 v72, vcc_lo, s8, v44
	v_add_co_ci_u32_e32 v73, vcc_lo, s9, v45, vcc_lo
	global_load_b128 v[42:45], v[42:43], off
	global_load_b64 v[72:73], v[72:73], off
	v_fmac_f32_e32 v8, v50, v28
	s_waitcnt vmcnt(2)
	v_dual_fmac_f32 v13, v65, v38 :: v_dual_add_nc_u32 v4, 0xa0, v4
	v_fmac_f32_e32 v3, v64, v38
	v_lshlrev_b64 v[5:6], 3, v[6:7]
	v_fmac_f32_e32 v14, v49, v26
	v_fma_f32 v8, -v51, v29, v8
	v_fmac_f32_e32 v13, v64, v39
	v_fma_f32 v3, -v65, v39, v3
	v_add_co_u32 v5, vcc_lo, s8, v5
	v_add_co_ci_u32_e32 v6, vcc_lo, s9, v6, vcc_lo
	s_clause 0x1
	global_load_b64 v[5:6], v[5:6], off
	global_load_b64 v[46:47], v[46:47], off
	v_dual_fmac_f32 v14, v48, v27 :: v_dual_fmac_f32 v3, v66, v40
	v_dual_fmac_f32 v8, v52, v30 :: v_dual_fmac_f32 v13, v67, v40
	v_cmp_ge_i32_e32 vcc_lo, v2, v15
	s_delay_alu instid0(VALU_DEP_3) | instskip(NEXT) | instid1(VALU_DEP_4)
	v_fmac_f32_e32 v14, v51, v28
	v_fma_f32 v3, -v67, v41, v3
	s_delay_alu instid0(VALU_DEP_4)
	v_fma_f32 v8, -v53, v31, v8
	v_fmac_f32_e32 v13, v66, v41
	s_or_b32 s2, vcc_lo, s2
	v_fmac_f32_e32 v14, v50, v29
	s_waitcnt vmcnt(3)
	v_fmac_f32_e32 v3, v74, v42
	v_fmac_f32_e32 v13, v75, v42
	s_delay_alu instid0(VALU_DEP_3) | instskip(NEXT) | instid1(VALU_DEP_3)
	v_fmac_f32_e32 v14, v53, v30
	v_fma_f32 v3, -v75, v43, v3
	s_delay_alu instid0(VALU_DEP_3) | instskip(NEXT) | instid1(VALU_DEP_3)
	v_fmac_f32_e32 v13, v74, v43
	v_fmac_f32_e32 v14, v52, v31
	s_delay_alu instid0(VALU_DEP_1) | instskip(NEXT) | instid1(VALU_DEP_1)
	v_fmac_f32_e32 v14, v55, v32
	v_fmac_f32_e32 v14, v54, v33
	s_waitcnt vmcnt(1)
	s_delay_alu instid0(VALU_DEP_1) | instskip(SKIP_1) | instid1(VALU_DEP_2)
	v_dual_fmac_f32 v14, v59, v34 :: v_dual_fmac_f32 v13, v6, v44
	v_fmac_f32_e32 v8, v54, v32
	v_dual_fmac_f32 v14, v58, v35 :: v_dual_fmac_f32 v3, v5, v44
	s_delay_alu instid0(VALU_DEP_3) | instskip(NEXT) | instid1(VALU_DEP_3)
	v_fmac_f32_e32 v13, v5, v45
	v_fma_f32 v8, -v55, v33, v8
	s_delay_alu instid0(VALU_DEP_3) | instskip(NEXT) | instid1(VALU_DEP_4)
	v_fmac_f32_e32 v14, v63, v36
	v_fma_f32 v16, -v6, v45, v3
	s_delay_alu instid0(VALU_DEP_3) | instskip(NEXT) | instid1(VALU_DEP_3)
	v_fmac_f32_e32 v8, v58, v34
	v_fmac_f32_e32 v14, v62, v37
	s_delay_alu instid0(VALU_DEP_2) | instskip(NEXT) | instid1(VALU_DEP_2)
	v_fma_f32 v8, -v59, v35, v8
	v_fmac_f32_e32 v14, v71, v38
	s_delay_alu instid0(VALU_DEP_2) | instskip(NEXT) | instid1(VALU_DEP_2)
	v_fmac_f32_e32 v8, v62, v36
	v_fmac_f32_e32 v14, v70, v39
	s_delay_alu instid0(VALU_DEP_2) | instskip(NEXT) | instid1(VALU_DEP_2)
	v_fma_f32 v8, -v63, v37, v8
	v_fmac_f32_e32 v14, v69, v40
	s_delay_alu instid0(VALU_DEP_2) | instskip(NEXT) | instid1(VALU_DEP_2)
	;; [unrolled: 6-line block ×3, first 2 shown]
	v_fmac_f32_e32 v8, v68, v40
	v_fmac_f32_e32 v14, v72, v43
	s_delay_alu instid0(VALU_DEP_2) | instskip(SKIP_1) | instid1(VALU_DEP_2)
	v_fma_f32 v8, -v69, v41, v8
	s_waitcnt vmcnt(0)
	v_fmac_f32_e32 v14, v47, v44
	s_delay_alu instid0(VALU_DEP_2) | instskip(NEXT) | instid1(VALU_DEP_2)
	v_fmac_f32_e32 v8, v72, v42
	v_fmac_f32_e32 v14, v46, v45
	s_delay_alu instid0(VALU_DEP_2) | instskip(NEXT) | instid1(VALU_DEP_1)
	v_fma_f32 v8, -v73, v43, v8
	v_fmac_f32_e32 v8, v46, v44
	s_delay_alu instid0(VALU_DEP_1)
	v_fma_f32 v17, -v47, v45, v8
	s_and_not1_b32 exec_lo, exec_lo, s2
	s_cbranch_execnz .LBB193_21
; %bb.22:
	s_or_b32 exec_lo, exec_lo, s2
.LBB193_23:
	s_delay_alu instid0(SALU_CYCLE_1)
	s_or_b32 exec_lo, exec_lo, s3
.LBB193_24:
	v_mbcnt_lo_u32_b32 v2, -1, 0
	s_delay_alu instid0(VALU_DEP_1) | instskip(SKIP_2) | instid1(VALU_DEP_3)
	v_xor_b32_e32 v3, 4, v2
	v_xor_b32_e32 v7, 2, v2
	;; [unrolled: 1-line block ×3, first 2 shown]
	v_cmp_gt_i32_e32 vcc_lo, 32, v3
	v_cndmask_b32_e32 v3, v2, v3, vcc_lo
	s_delay_alu instid0(VALU_DEP_4) | instskip(NEXT) | instid1(VALU_DEP_2)
	v_cmp_gt_i32_e32 vcc_lo, 32, v7
	v_lshlrev_b32_e32 v3, 2, v3
	ds_bpermute_b32 v6, v3, v17
	s_waitcnt lgkmcnt(0)
	v_add_f32_e32 v6, v17, v6
	ds_bpermute_b32 v4, v3, v16
	ds_bpermute_b32 v5, v3, v13
	;; [unrolled: 1-line block ×3, first 2 shown]
	s_waitcnt lgkmcnt(2)
	v_dual_add_f32 v4, v16, v4 :: v_dual_cndmask_b32 v7, v2, v7
	s_waitcnt lgkmcnt(0)
	v_add_f32_e32 v3, v14, v3
	v_cmp_gt_i32_e32 vcc_lo, 32, v15
	v_add_f32_e32 v5, v13, v5
	v_lshlrev_b32_e32 v7, 2, v7
	v_cndmask_b32_e32 v2, v2, v15, vcc_lo
	v_cmp_eq_u32_e32 vcc_lo, 7, v0
	ds_bpermute_b32 v14, v7, v6
	v_lshlrev_b32_e32 v15, 2, v2
	s_waitcnt lgkmcnt(0)
	v_add_f32_e32 v2, v6, v14
	ds_bpermute_b32 v8, v7, v4
	ds_bpermute_b32 v13, v7, v5
	;; [unrolled: 1-line block ×4, first 2 shown]
	s_waitcnt lgkmcnt(2)
	v_dual_add_f32 v4, v4, v8 :: v_dual_add_f32 v5, v5, v13
	s_waitcnt lgkmcnt(1)
	v_add_f32_e32 v3, v3, v7
	ds_bpermute_b32 v8, v15, v4
	ds_bpermute_b32 v13, v15, v5
	;; [unrolled: 1-line block ×3, first 2 shown]
	s_and_b32 exec_lo, exec_lo, vcc_lo
	s_cbranch_execz .LBB193_29
; %bb.25:
	s_load_b64 s[2:3], s[0:1], 0x38
	v_cmp_eq_f32_e32 vcc_lo, 0, v11
	v_cmp_eq_f32_e64 s0, 0, v12
	s_waitcnt lgkmcnt(0)
	v_dual_add_f32 v0, v4, v8 :: v_dual_add_f32 v3, v3, v7
	v_add_f32_e32 v4, v5, v13
	v_add_f32_e32 v2, v2, v6
	s_and_b32 s0, vcc_lo, s0
	s_delay_alu instid0(SALU_CYCLE_1) | instskip(NEXT) | instid1(SALU_CYCLE_1)
	s_and_saveexec_b32 s1, s0
	s_xor_b32 s0, exec_lo, s1
	s_cbranch_execz .LBB193_27
; %bb.26:
	v_mul_f32_e64 v5, v4, -v10
	v_mul_f32_e32 v6, v4, v9
	v_mul_f32_e64 v7, v3, -v10
	v_mul_f32_e32 v8, v3, v9
                                        ; implicit-def: $vgpr4
                                        ; implicit-def: $vgpr3
	s_delay_alu instid0(VALU_DEP_4) | instskip(NEXT) | instid1(VALU_DEP_4)
	v_fmac_f32_e32 v5, v9, v0
	v_dual_fmac_f32 v6, v10, v0 :: v_dual_lshlrev_b32 v11, 1, v1
	s_delay_alu instid0(VALU_DEP_4) | instskip(NEXT) | instid1(VALU_DEP_4)
	v_fmac_f32_e32 v7, v9, v2
	v_fmac_f32_e32 v8, v10, v2
                                        ; implicit-def: $vgpr9
                                        ; implicit-def: $vgpr10
                                        ; implicit-def: $vgpr2
	s_delay_alu instid0(VALU_DEP_3) | instskip(NEXT) | instid1(VALU_DEP_1)
	v_ashrrev_i32_e32 v12, 31, v11
	v_lshlrev_b64 v[11:12], 3, v[11:12]
	s_delay_alu instid0(VALU_DEP_1) | instskip(NEXT) | instid1(VALU_DEP_2)
	v_add_co_u32 v0, vcc_lo, s2, v11
	v_add_co_ci_u32_e32 v1, vcc_lo, s3, v12, vcc_lo
                                        ; implicit-def: $vgpr11
                                        ; implicit-def: $vgpr12
	global_store_b128 v[0:1], v[5:8], off
                                        ; implicit-def: $vgpr1
                                        ; implicit-def: $vgpr0
.LBB193_27:
	s_and_not1_saveexec_b32 s0, s0
	s_cbranch_execz .LBB193_29
; %bb.28:
	v_lshlrev_b32_e32 v5, 1, v1
	v_mul_f32_e64 v15, v4, -v10
	v_mul_f32_e32 v1, v4, v9
	v_mul_f32_e64 v4, v3, -v10
	v_mul_f32_e32 v3, v3, v9
	s_delay_alu instid0(VALU_DEP_4) | instskip(NEXT) | instid1(VALU_DEP_3)
	v_fmac_f32_e32 v15, v9, v0
	v_fmac_f32_e32 v4, v9, v2
	v_ashrrev_i32_e32 v6, 31, v5
	s_delay_alu instid0(VALU_DEP_4) | instskip(NEXT) | instid1(VALU_DEP_2)
	v_fmac_f32_e32 v3, v10, v2
	v_lshlrev_b64 v[5:6], 3, v[5:6]
	s_delay_alu instid0(VALU_DEP_1) | instskip(NEXT) | instid1(VALU_DEP_2)
	v_add_co_u32 v13, vcc_lo, s2, v5
	v_add_co_ci_u32_e32 v14, vcc_lo, s3, v6, vcc_lo
	global_load_b128 v[5:8], v[13:14], off
	s_waitcnt vmcnt(0)
	v_dual_fmac_f32 v4, v11, v7 :: v_dual_fmac_f32 v1, v10, v0
	v_fmac_f32_e32 v15, v11, v5
	v_fmac_f32_e32 v3, v12, v7
	s_delay_alu instid0(VALU_DEP_3) | instskip(NEXT) | instid1(VALU_DEP_4)
	v_fma_f32 v2, -v12, v8, v4
	v_fmac_f32_e32 v1, v12, v5
	s_delay_alu instid0(VALU_DEP_4) | instskip(NEXT) | instid1(VALU_DEP_4)
	v_fma_f32 v0, -v12, v6, v15
	v_fmac_f32_e32 v3, v11, v8
	s_delay_alu instid0(VALU_DEP_3)
	v_fmac_f32_e32 v1, v11, v6
	global_store_b128 v[13:14], v[0:3], off
.LBB193_29:
	s_nop 0
	s_sendmsg sendmsg(MSG_DEALLOC_VGPRS)
	s_endpgm
	.section	.rodata,"a",@progbits
	.p2align	6, 0x0
	.amdhsa_kernel _ZN9rocsparseL19gebsrmvn_2xn_kernelILj128ELj10ELj8E21rocsparse_complex_numIfEEEvi20rocsparse_direction_NS_24const_host_device_scalarIT2_EEPKiS8_PKS5_SA_S6_PS5_21rocsparse_index_base_b
		.amdhsa_group_segment_fixed_size 0
		.amdhsa_private_segment_fixed_size 0
		.amdhsa_kernarg_size 72
		.amdhsa_user_sgpr_count 15
		.amdhsa_user_sgpr_dispatch_ptr 0
		.amdhsa_user_sgpr_queue_ptr 0
		.amdhsa_user_sgpr_kernarg_segment_ptr 1
		.amdhsa_user_sgpr_dispatch_id 0
		.amdhsa_user_sgpr_private_segment_size 0
		.amdhsa_wavefront_size32 1
		.amdhsa_uses_dynamic_stack 0
		.amdhsa_enable_private_segment 0
		.amdhsa_system_sgpr_workgroup_id_x 1
		.amdhsa_system_sgpr_workgroup_id_y 0
		.amdhsa_system_sgpr_workgroup_id_z 0
		.amdhsa_system_sgpr_workgroup_info 0
		.amdhsa_system_vgpr_workitem_id 0
		.amdhsa_next_free_vgpr 78
		.amdhsa_next_free_sgpr 16
		.amdhsa_reserve_vcc 1
		.amdhsa_float_round_mode_32 0
		.amdhsa_float_round_mode_16_64 0
		.amdhsa_float_denorm_mode_32 3
		.amdhsa_float_denorm_mode_16_64 3
		.amdhsa_dx10_clamp 1
		.amdhsa_ieee_mode 1
		.amdhsa_fp16_overflow 0
		.amdhsa_workgroup_processor_mode 1
		.amdhsa_memory_ordered 1
		.amdhsa_forward_progress 0
		.amdhsa_shared_vgpr_count 0
		.amdhsa_exception_fp_ieee_invalid_op 0
		.amdhsa_exception_fp_denorm_src 0
		.amdhsa_exception_fp_ieee_div_zero 0
		.amdhsa_exception_fp_ieee_overflow 0
		.amdhsa_exception_fp_ieee_underflow 0
		.amdhsa_exception_fp_ieee_inexact 0
		.amdhsa_exception_int_div_zero 0
	.end_amdhsa_kernel
	.section	.text._ZN9rocsparseL19gebsrmvn_2xn_kernelILj128ELj10ELj8E21rocsparse_complex_numIfEEEvi20rocsparse_direction_NS_24const_host_device_scalarIT2_EEPKiS8_PKS5_SA_S6_PS5_21rocsparse_index_base_b,"axG",@progbits,_ZN9rocsparseL19gebsrmvn_2xn_kernelILj128ELj10ELj8E21rocsparse_complex_numIfEEEvi20rocsparse_direction_NS_24const_host_device_scalarIT2_EEPKiS8_PKS5_SA_S6_PS5_21rocsparse_index_base_b,comdat
.Lfunc_end193:
	.size	_ZN9rocsparseL19gebsrmvn_2xn_kernelILj128ELj10ELj8E21rocsparse_complex_numIfEEEvi20rocsparse_direction_NS_24const_host_device_scalarIT2_EEPKiS8_PKS5_SA_S6_PS5_21rocsparse_index_base_b, .Lfunc_end193-_ZN9rocsparseL19gebsrmvn_2xn_kernelILj128ELj10ELj8E21rocsparse_complex_numIfEEEvi20rocsparse_direction_NS_24const_host_device_scalarIT2_EEPKiS8_PKS5_SA_S6_PS5_21rocsparse_index_base_b
                                        ; -- End function
	.section	.AMDGPU.csdata,"",@progbits
; Kernel info:
; codeLenInByte = 3764
; NumSgprs: 18
; NumVgprs: 78
; ScratchSize: 0
; MemoryBound: 0
; FloatMode: 240
; IeeeMode: 1
; LDSByteSize: 0 bytes/workgroup (compile time only)
; SGPRBlocks: 2
; VGPRBlocks: 9
; NumSGPRsForWavesPerEU: 18
; NumVGPRsForWavesPerEU: 78
; Occupancy: 16
; WaveLimiterHint : 1
; COMPUTE_PGM_RSRC2:SCRATCH_EN: 0
; COMPUTE_PGM_RSRC2:USER_SGPR: 15
; COMPUTE_PGM_RSRC2:TRAP_HANDLER: 0
; COMPUTE_PGM_RSRC2:TGID_X_EN: 1
; COMPUTE_PGM_RSRC2:TGID_Y_EN: 0
; COMPUTE_PGM_RSRC2:TGID_Z_EN: 0
; COMPUTE_PGM_RSRC2:TIDIG_COMP_CNT: 0
	.section	.text._ZN9rocsparseL19gebsrmvn_2xn_kernelILj128ELj10ELj16E21rocsparse_complex_numIfEEEvi20rocsparse_direction_NS_24const_host_device_scalarIT2_EEPKiS8_PKS5_SA_S6_PS5_21rocsparse_index_base_b,"axG",@progbits,_ZN9rocsparseL19gebsrmvn_2xn_kernelILj128ELj10ELj16E21rocsparse_complex_numIfEEEvi20rocsparse_direction_NS_24const_host_device_scalarIT2_EEPKiS8_PKS5_SA_S6_PS5_21rocsparse_index_base_b,comdat
	.globl	_ZN9rocsparseL19gebsrmvn_2xn_kernelILj128ELj10ELj16E21rocsparse_complex_numIfEEEvi20rocsparse_direction_NS_24const_host_device_scalarIT2_EEPKiS8_PKS5_SA_S6_PS5_21rocsparse_index_base_b ; -- Begin function _ZN9rocsparseL19gebsrmvn_2xn_kernelILj128ELj10ELj16E21rocsparse_complex_numIfEEEvi20rocsparse_direction_NS_24const_host_device_scalarIT2_EEPKiS8_PKS5_SA_S6_PS5_21rocsparse_index_base_b
	.p2align	8
	.type	_ZN9rocsparseL19gebsrmvn_2xn_kernelILj128ELj10ELj16E21rocsparse_complex_numIfEEEvi20rocsparse_direction_NS_24const_host_device_scalarIT2_EEPKiS8_PKS5_SA_S6_PS5_21rocsparse_index_base_b,@function
_ZN9rocsparseL19gebsrmvn_2xn_kernelILj128ELj10ELj16E21rocsparse_complex_numIfEEEvi20rocsparse_direction_NS_24const_host_device_scalarIT2_EEPKiS8_PKS5_SA_S6_PS5_21rocsparse_index_base_b: ; @_ZN9rocsparseL19gebsrmvn_2xn_kernelILj128ELj10ELj16E21rocsparse_complex_numIfEEEvi20rocsparse_direction_NS_24const_host_device_scalarIT2_EEPKiS8_PKS5_SA_S6_PS5_21rocsparse_index_base_b
; %bb.0:
	s_clause 0x2
	s_load_b64 s[12:13], s[0:1], 0x40
	s_load_b64 s[4:5], s[0:1], 0x8
	;; [unrolled: 1-line block ×3, first 2 shown]
	s_waitcnt lgkmcnt(0)
	s_bitcmp1_b32 s13, 0
	v_mov_b32_e32 v9, s4
	s_cselect_b32 s6, -1, 0
	s_delay_alu instid0(SALU_CYCLE_1)
	s_and_b32 vcc_lo, exec_lo, s6
	s_xor_b32 s6, s6, -1
	s_cbranch_vccz .LBB194_15
; %bb.1:
	v_cndmask_b32_e64 v1, 0, 1, s6
	v_mov_b32_e32 v10, s5
	s_and_not1_b32 vcc_lo, exec_lo, s6
	s_cbranch_vccz .LBB194_16
.LBB194_2:
	s_delay_alu instid0(VALU_DEP_2)
	v_cmp_ne_u32_e32 vcc_lo, 1, v1
	v_mov_b32_e32 v11, s2
	s_cbranch_vccz .LBB194_17
.LBB194_3:
	v_cmp_ne_u32_e32 vcc_lo, 1, v1
	v_mov_b32_e32 v12, s3
	s_cbranch_vccnz .LBB194_5
.LBB194_4:
	v_dual_mov_b32 v1, s2 :: v_dual_mov_b32 v2, s3
	flat_load_b32 v12, v[1:2] offset:4
.LBB194_5:
	s_waitcnt vmcnt(0) lgkmcnt(0)
	v_cmp_eq_f32_e32 vcc_lo, 0, v9
	v_cmp_eq_f32_e64 s2, 0, v10
	s_delay_alu instid0(VALU_DEP_1)
	s_and_b32 s4, vcc_lo, s2
	s_mov_b32 s2, -1
	s_and_saveexec_b32 s3, s4
; %bb.6:
	v_cmp_neq_f32_e32 vcc_lo, 1.0, v11
	v_cmp_neq_f32_e64 s2, 0, v12
	s_delay_alu instid0(VALU_DEP_1) | instskip(NEXT) | instid1(SALU_CYCLE_1)
	s_or_b32 s2, vcc_lo, s2
	s_or_not1_b32 s2, s2, exec_lo
; %bb.7:
	s_or_b32 exec_lo, exec_lo, s3
	s_and_saveexec_b32 s3, s2
	s_cbranch_execz .LBB194_29
; %bb.8:
	s_load_b64 s[2:3], s[0:1], 0x0
	v_lshrrev_b32_e32 v1, 4, v0
	s_delay_alu instid0(VALU_DEP_1) | instskip(SKIP_1) | instid1(VALU_DEP_1)
	v_lshl_or_b32 v1, s15, 3, v1
	s_waitcnt lgkmcnt(0)
	v_cmp_gt_i32_e32 vcc_lo, s2, v1
	s_and_b32 exec_lo, exec_lo, vcc_lo
	s_cbranch_execz .LBB194_29
; %bb.9:
	s_load_b256 s[4:11], s[0:1], 0x10
	v_ashrrev_i32_e32 v2, 31, v1
	v_and_b32_e32 v0, 15, v0
	s_cmp_lg_u32 s3, 0
	s_delay_alu instid0(VALU_DEP_2) | instskip(SKIP_1) | instid1(VALU_DEP_1)
	v_lshlrev_b64 v[2:3], 2, v[1:2]
	s_waitcnt lgkmcnt(0)
	v_add_co_u32 v2, vcc_lo, s4, v2
	s_delay_alu instid0(VALU_DEP_2) | instskip(SKIP_4) | instid1(VALU_DEP_2)
	v_add_co_ci_u32_e32 v3, vcc_lo, s5, v3, vcc_lo
	global_load_b64 v[2:3], v[2:3], off
	s_waitcnt vmcnt(0)
	v_subrev_nc_u32_e32 v2, s12, v2
	v_subrev_nc_u32_e32 v15, s12, v3
	v_add_nc_u32_e32 v2, v2, v0
	s_delay_alu instid0(VALU_DEP_1)
	v_cmp_lt_i32_e64 s2, v2, v15
	s_cbranch_scc0 .LBB194_18
; %bb.10:
	v_dual_mov_b32 v13, 0 :: v_dual_mov_b32 v16, 0
	v_dual_mov_b32 v17, 0 :: v_dual_mov_b32 v14, 0
	s_mov_b32 s4, 0
	s_and_saveexec_b32 s5, s2
	s_cbranch_execz .LBB194_14
; %bb.11:
	v_mad_u64_u32 v[3:4], null, v2, 20, 18
	v_dual_mov_b32 v6, 0 :: v_dual_mov_b32 v7, v2
	v_dual_mov_b32 v13, 0 :: v_dual_mov_b32 v16, 0
	;; [unrolled: 1-line block ×3, first 2 shown]
	s_mov_b32 s13, 0
.LBB194_12:                             ; =>This Inner Loop Header: Depth=1
	s_delay_alu instid0(VALU_DEP_3) | instskip(NEXT) | instid1(VALU_DEP_1)
	v_ashrrev_i32_e32 v8, 31, v7
	v_lshlrev_b64 v[4:5], 2, v[7:8]
	v_add_nc_u32_e32 v7, 16, v7
	s_delay_alu instid0(VALU_DEP_2) | instskip(NEXT) | instid1(VALU_DEP_3)
	v_add_co_u32 v4, vcc_lo, s6, v4
	v_add_co_ci_u32_e32 v5, vcc_lo, s7, v5, vcc_lo
	global_load_b32 v8, v[4:5], off
	v_subrev_nc_u32_e32 v5, 18, v3
	v_mov_b32_e32 v4, v6
	s_delay_alu instid0(VALU_DEP_2) | instskip(SKIP_1) | instid1(VALU_DEP_3)
	v_lshlrev_b64 v[18:19], 3, v[5:6]
	v_add_nc_u32_e32 v5, -14, v3
	v_lshlrev_b64 v[73:74], 3, v[3:4]
	s_delay_alu instid0(VALU_DEP_2) | instskip(NEXT) | instid1(VALU_DEP_4)
	v_lshlrev_b64 v[4:5], 3, v[5:6]
	v_add_co_u32 v22, vcc_lo, s8, v18
	v_add_co_ci_u32_e32 v23, vcc_lo, s9, v19, vcc_lo
	s_delay_alu instid0(VALU_DEP_4) | instskip(NEXT) | instid1(VALU_DEP_4)
	v_add_co_u32 v75, vcc_lo, s8, v73
	v_add_co_u32 v4, s3, s8, v4
	s_delay_alu instid0(VALU_DEP_1)
	v_add_co_ci_u32_e64 v5, s3, s9, v5, s3
	s_clause 0x2
	global_load_b128 v[18:21], v[22:23], off offset:16
	global_load_b128 v[22:25], v[22:23], off
	global_load_b128 v[26:29], v[4:5], off
	v_mov_b32_e32 v59, v6
	v_add_co_ci_u32_e32 v76, vcc_lo, s9, v74, vcc_lo
	v_cmp_ge_i32_e32 vcc_lo, v7, v15
	s_or_b32 s13, vcc_lo, s13
	s_waitcnt vmcnt(3)
	v_subrev_nc_u32_e32 v4, s12, v8
	s_delay_alu instid0(VALU_DEP_1) | instskip(NEXT) | instid1(VALU_DEP_1)
	v_mul_lo_u32 v58, v4, 10
	v_lshlrev_b64 v[30:31], 3, v[58:59]
	s_delay_alu instid0(VALU_DEP_1) | instskip(NEXT) | instid1(VALU_DEP_1)
	v_add_co_u32 v30, s3, s10, v30
	v_add_co_ci_u32_e64 v31, s3, s11, v31, s3
	global_load_b128 v[30:33], v[30:31], off
	v_add_nc_u32_e32 v5, 2, v58
	s_delay_alu instid0(VALU_DEP_1) | instskip(NEXT) | instid1(VALU_DEP_1)
	v_lshlrev_b64 v[34:35], 3, v[5:6]
	v_add_co_u32 v34, s3, s10, v34
	s_delay_alu instid0(VALU_DEP_1) | instskip(SKIP_3) | instid1(VALU_DEP_1)
	v_add_co_ci_u32_e64 v35, s3, s11, v35, s3
	global_load_b128 v[34:37], v[34:35], off
	s_waitcnt vmcnt(1)
	v_dual_fmac_f32 v16, v22, v30 :: v_dual_add_nc_u32 v5, -12, v3
	v_lshlrev_b64 v[38:39], 3, v[5:6]
	v_dual_fmac_f32 v14, v25, v30 :: v_dual_add_nc_u32 v5, -10, v3
	s_delay_alu instid0(VALU_DEP_1) | instskip(NEXT) | instid1(VALU_DEP_3)
	v_lshlrev_b64 v[40:41], 3, v[5:6]
	v_add_co_u32 v38, s3, s8, v38
	s_delay_alu instid0(VALU_DEP_1) | instskip(NEXT) | instid1(VALU_DEP_4)
	v_add_co_ci_u32_e64 v39, s3, s9, v39, s3
	v_fmac_f32_e32 v14, v24, v31
	s_delay_alu instid0(VALU_DEP_4) | instskip(NEXT) | instid1(VALU_DEP_1)
	v_add_co_u32 v42, s3, s8, v40
	v_add_co_ci_u32_e64 v43, s3, s9, v41, s3
	global_load_b128 v[38:41], v[38:39], off
	v_dual_fmac_f32 v14, v21, v32 :: v_dual_add_nc_u32 v5, 4, v58
	global_load_b128 v[42:45], v[42:43], off
	v_lshlrev_b64 v[46:47], 3, v[5:6]
	v_dual_fmac_f32 v14, v20, v33 :: v_dual_add_nc_u32 v5, -8, v3
	s_delay_alu instid0(VALU_DEP_1) | instskip(NEXT) | instid1(VALU_DEP_3)
	v_lshlrev_b64 v[48:49], 3, v[5:6]
	v_add_co_u32 v46, s3, s10, v46
	s_delay_alu instid0(VALU_DEP_1) | instskip(SKIP_1) | instid1(VALU_DEP_4)
	v_add_co_ci_u32_e64 v47, s3, s11, v47, s3
	v_add_nc_u32_e32 v5, -6, v3
	v_add_co_u32 v50, s3, s8, v48
	s_delay_alu instid0(VALU_DEP_1)
	v_add_co_ci_u32_e64 v51, s3, s9, v49, s3
	global_load_b128 v[46:49], v[46:47], off
	v_lshlrev_b64 v[54:55], 3, v[5:6]
	s_waitcnt vmcnt(3)
	v_fmac_f32_e32 v14, v29, v34
	global_load_b128 v[50:53], v[50:51], off
	v_dual_fmac_f32 v14, v28, v35 :: v_dual_add_nc_u32 v5, 6, v58
	v_add_co_u32 v54, s3, s8, v54
	s_delay_alu instid0(VALU_DEP_2) | instskip(SKIP_2) | instid1(VALU_DEP_3)
	v_lshlrev_b64 v[56:57], 3, v[5:6]
	v_add_nc_u32_e32 v5, -4, v3
	v_add_co_ci_u32_e64 v55, s3, s9, v55, s3
	v_add_co_u32 v59, s3, s10, v56
	s_delay_alu instid0(VALU_DEP_3)
	v_lshlrev_b64 v[62:63], 3, v[5:6]
	v_add_nc_u32_e32 v5, -2, v3
	v_add_co_ci_u32_e64 v60, s3, s11, v57, s3
	global_load_b128 v[54:57], v[54:55], off
	v_add_nc_u32_e32 v3, 0x140, v3
	v_add_co_u32 v62, s3, s8, v62
	s_delay_alu instid0(VALU_DEP_1)
	v_add_co_ci_u32_e64 v63, s3, s9, v63, s3
	global_load_b128 v[62:65], v[62:63], off
	s_waitcnt vmcnt(5)
	v_fmac_f32_e32 v14, v41, v36
	v_lshlrev_b64 v[66:67], 3, v[5:6]
	v_add_nc_u32_e32 v5, 8, v58
	global_load_b128 v[58:61], v[59:60], off
	v_fmac_f32_e32 v14, v40, v37
	v_lshlrev_b64 v[4:5], 3, v[5:6]
	v_add_co_u32 v66, s3, s8, v66
	s_delay_alu instid0(VALU_DEP_1) | instskip(NEXT) | instid1(VALU_DEP_3)
	v_add_co_ci_u32_e64 v67, s3, s9, v67, s3
	v_add_co_u32 v4, s3, s10, v4
	s_delay_alu instid0(VALU_DEP_1)
	v_add_co_ci_u32_e64 v5, s3, s11, v5, s3
	global_load_b128 v[66:69], v[66:67], off
	global_load_b128 v[70:73], v[4:5], off
	global_load_b128 v[74:77], v[75:76], off
	v_fma_f32 v4, -v23, v31, v16
	s_waitcnt vmcnt(7)
	v_fmac_f32_e32 v14, v45, v46
	s_delay_alu instid0(VALU_DEP_2) | instskip(NEXT) | instid1(VALU_DEP_2)
	v_dual_fmac_f32 v13, v23, v30 :: v_dual_fmac_f32 v4, v18, v32
	v_fmac_f32_e32 v14, v44, v47
	s_delay_alu instid0(VALU_DEP_2) | instskip(NEXT) | instid1(VALU_DEP_3)
	v_fmac_f32_e32 v13, v22, v31
	v_fma_f32 v4, -v19, v33, v4
	s_waitcnt vmcnt(6)
	s_delay_alu instid0(VALU_DEP_3) | instskip(NEXT) | instid1(VALU_DEP_2)
	v_fmac_f32_e32 v14, v53, v48
	v_fmac_f32_e32 v4, v26, v34
	s_delay_alu instid0(VALU_DEP_2) | instskip(NEXT) | instid1(VALU_DEP_2)
	v_fmac_f32_e32 v14, v52, v49
	v_fma_f32 v4, -v27, v35, v4
	s_delay_alu instid0(VALU_DEP_1) | instskip(NEXT) | instid1(VALU_DEP_1)
	v_fmac_f32_e32 v4, v38, v36
	v_fma_f32 v4, -v39, v37, v4
	s_delay_alu instid0(VALU_DEP_1) | instskip(NEXT) | instid1(VALU_DEP_1)
	v_dual_fmac_f32 v13, v19, v32 :: v_dual_fmac_f32 v4, v42, v46
	v_fmac_f32_e32 v13, v18, v33
	s_delay_alu instid0(VALU_DEP_2) | instskip(NEXT) | instid1(VALU_DEP_1)
	v_fma_f32 v4, -v43, v47, v4
	v_dual_fmac_f32 v17, v24, v30 :: v_dual_fmac_f32 v4, v50, v48
	s_delay_alu instid0(VALU_DEP_1) | instskip(NEXT) | instid1(VALU_DEP_2)
	v_fma_f32 v5, -v25, v31, v17
	v_fma_f32 v4, -v51, v49, v4
	s_waitcnt vmcnt(3)
	s_delay_alu instid0(VALU_DEP_1) | instskip(NEXT) | instid1(VALU_DEP_1)
	v_dual_fmac_f32 v5, v20, v32 :: v_dual_fmac_f32 v4, v54, v58
	v_fma_f32 v5, -v21, v33, v5
	v_fmac_f32_e32 v14, v57, v58
	v_fmac_f32_e32 v13, v27, v34
	s_delay_alu instid0(VALU_DEP_4) | instskip(NEXT) | instid1(VALU_DEP_4)
	v_fma_f32 v4, -v55, v59, v4
	v_fmac_f32_e32 v5, v28, v34
	s_delay_alu instid0(VALU_DEP_4) | instskip(NEXT) | instid1(VALU_DEP_4)
	v_fmac_f32_e32 v14, v56, v59
	v_fmac_f32_e32 v13, v26, v35
	s_delay_alu instid0(VALU_DEP_4) | instskip(NEXT) | instid1(VALU_DEP_4)
	v_fmac_f32_e32 v4, v62, v60
	v_fma_f32 v5, -v29, v35, v5
	s_delay_alu instid0(VALU_DEP_4) | instskip(NEXT) | instid1(VALU_DEP_4)
	v_fmac_f32_e32 v14, v65, v60
	v_fmac_f32_e32 v13, v39, v36
	s_delay_alu instid0(VALU_DEP_4) | instskip(NEXT) | instid1(VALU_DEP_4)
	v_fma_f32 v4, -v63, v61, v4
	v_fmac_f32_e32 v5, v40, v36
	s_delay_alu instid0(VALU_DEP_4) | instskip(NEXT) | instid1(VALU_DEP_4)
	v_fmac_f32_e32 v14, v64, v61
	v_fmac_f32_e32 v13, v38, v37
	s_waitcnt vmcnt(1)
	v_fmac_f32_e32 v4, v66, v70
	v_fma_f32 v5, -v41, v37, v5
	v_fmac_f32_e32 v14, v69, v70
	v_fmac_f32_e32 v13, v43, v46
	s_delay_alu instid0(VALU_DEP_4) | instskip(NEXT) | instid1(VALU_DEP_4)
	v_fma_f32 v4, -v67, v71, v4
	v_fmac_f32_e32 v5, v44, v46
	s_delay_alu instid0(VALU_DEP_4) | instskip(NEXT) | instid1(VALU_DEP_4)
	v_fmac_f32_e32 v14, v68, v71
	v_fmac_f32_e32 v13, v42, v47
	s_waitcnt vmcnt(0)
	v_fmac_f32_e32 v4, v74, v72
	v_fma_f32 v5, -v45, v47, v5
	v_fmac_f32_e32 v14, v77, v72
	v_fmac_f32_e32 v13, v51, v48
	s_delay_alu instid0(VALU_DEP_4) | instskip(NEXT) | instid1(VALU_DEP_4)
	v_fma_f32 v16, -v75, v73, v4
	v_fmac_f32_e32 v5, v52, v48
	s_delay_alu instid0(VALU_DEP_4) | instskip(NEXT) | instid1(VALU_DEP_4)
	v_fmac_f32_e32 v14, v76, v73
	v_fmac_f32_e32 v13, v50, v49
	s_delay_alu instid0(VALU_DEP_3) | instskip(NEXT) | instid1(VALU_DEP_2)
	v_fma_f32 v5, -v53, v49, v5
	v_fmac_f32_e32 v13, v55, v58
	s_delay_alu instid0(VALU_DEP_2) | instskip(NEXT) | instid1(VALU_DEP_2)
	v_fmac_f32_e32 v5, v56, v58
	v_fmac_f32_e32 v13, v54, v59
	s_delay_alu instid0(VALU_DEP_2) | instskip(NEXT) | instid1(VALU_DEP_2)
	v_fma_f32 v5, -v57, v59, v5
	v_fmac_f32_e32 v13, v63, v60
	s_delay_alu instid0(VALU_DEP_2) | instskip(NEXT) | instid1(VALU_DEP_2)
	v_fmac_f32_e32 v5, v64, v60
	v_fmac_f32_e32 v13, v62, v61
	s_delay_alu instid0(VALU_DEP_2) | instskip(NEXT) | instid1(VALU_DEP_2)
	;; [unrolled: 6-line block ×3, first 2 shown]
	v_fma_f32 v5, -v69, v71, v5
	v_fmac_f32_e32 v13, v75, v72
	s_delay_alu instid0(VALU_DEP_2) | instskip(NEXT) | instid1(VALU_DEP_2)
	v_fmac_f32_e32 v5, v76, v72
	v_fmac_f32_e32 v13, v74, v73
	s_delay_alu instid0(VALU_DEP_2)
	v_fma_f32 v17, -v77, v73, v5
	s_and_not1_b32 exec_lo, exec_lo, s13
	s_cbranch_execnz .LBB194_12
; %bb.13:
	s_or_b32 exec_lo, exec_lo, s13
.LBB194_14:
	s_delay_alu instid0(SALU_CYCLE_1) | instskip(NEXT) | instid1(SALU_CYCLE_1)
	s_or_b32 exec_lo, exec_lo, s5
	s_and_not1_b32 vcc_lo, exec_lo, s4
	s_cbranch_vccz .LBB194_19
	s_branch .LBB194_24
.LBB194_15:
	v_dual_mov_b32 v1, s4 :: v_dual_mov_b32 v2, s5
	flat_load_b32 v9, v[1:2]
	v_cndmask_b32_e64 v1, 0, 1, s6
	v_mov_b32_e32 v10, s5
	s_and_not1_b32 vcc_lo, exec_lo, s6
	s_cbranch_vccnz .LBB194_2
.LBB194_16:
	v_dual_mov_b32 v2, s4 :: v_dual_mov_b32 v3, s5
	flat_load_b32 v10, v[2:3] offset:4
	v_cmp_ne_u32_e32 vcc_lo, 1, v1
	v_mov_b32_e32 v11, s2
	s_cbranch_vccnz .LBB194_3
.LBB194_17:
	v_dual_mov_b32 v2, s2 :: v_dual_mov_b32 v3, s3
	flat_load_b32 v11, v[2:3]
	v_cmp_ne_u32_e32 vcc_lo, 1, v1
	v_mov_b32_e32 v12, s3
	s_cbranch_vccz .LBB194_4
	s_branch .LBB194_5
.LBB194_18:
                                        ; implicit-def: $vgpr13
                                        ; implicit-def: $vgpr16
                                        ; implicit-def: $vgpr17
                                        ; implicit-def: $vgpr14
.LBB194_19:
	v_dual_mov_b32 v13, 0 :: v_dual_mov_b32 v16, 0
	v_dual_mov_b32 v17, 0 :: v_dual_mov_b32 v14, 0
	s_delay_alu instid0(VALU_DEP_3)
	s_and_saveexec_b32 s3, s2
	s_cbranch_execz .LBB194_23
; %bb.20:
	v_mad_u64_u32 v[4:5], null, v2, 20, 19
	v_dual_mov_b32 v7, 0 :: v_dual_mov_b32 v16, 0
	v_dual_mov_b32 v13, 0 :: v_dual_mov_b32 v14, 0
	v_mov_b32_e32 v17, 0
	s_mov_b32 s2, 0
.LBB194_21:                             ; =>This Inner Loop Header: Depth=1
	v_ashrrev_i32_e32 v3, 31, v2
	v_dual_mov_b32 v43, v7 :: v_dual_add_nc_u32 v18, -9, v4
	v_mov_b32_e32 v19, v7
	s_delay_alu instid0(VALU_DEP_3) | instskip(SKIP_1) | instid1(VALU_DEP_2)
	v_lshlrev_b64 v[5:6], 2, v[2:3]
	v_add_nc_u32_e32 v2, 16, v2
	v_add_co_u32 v5, vcc_lo, s6, v5
	s_delay_alu instid0(VALU_DEP_3) | instskip(SKIP_2) | instid1(VALU_DEP_1)
	v_add_co_ci_u32_e32 v6, vcc_lo, s7, v6, vcc_lo
	global_load_b32 v3, v[5:6], off
	v_subrev_nc_u32_e32 v6, 19, v4
	v_lshlrev_b64 v[20:21], 3, v[6:7]
	v_add_nc_u32_e32 v6, -8, v4
	v_lshlrev_b64 v[18:19], 3, v[18:19]
	s_delay_alu instid0(VALU_DEP_3) | instskip(NEXT) | instid1(VALU_DEP_4)
	v_add_co_u32 v24, vcc_lo, s8, v20
	v_add_co_ci_u32_e32 v25, vcc_lo, s9, v21, vcc_lo
	s_delay_alu instid0(VALU_DEP_3) | instskip(NEXT) | instid1(VALU_DEP_4)
	v_add_co_u32 v26, vcc_lo, s8, v18
	v_add_co_ci_u32_e32 v27, vcc_lo, s9, v19, vcc_lo
	s_waitcnt vmcnt(0)
	v_subrev_nc_u32_e32 v3, s12, v3
	s_delay_alu instid0(VALU_DEP_1) | instskip(SKIP_1) | instid1(VALU_DEP_1)
	v_mul_lo_u32 v42, v3, 10
	v_mov_b32_e32 v5, v7
	v_lshlrev_b64 v[22:23], 3, v[4:5]
	v_lshlrev_b64 v[5:6], 3, v[6:7]
	s_delay_alu instid0(VALU_DEP_2) | instskip(NEXT) | instid1(VALU_DEP_3)
	v_add_co_u32 v46, vcc_lo, s8, v22
	v_add_co_ci_u32_e32 v47, vcc_lo, s9, v23, vcc_lo
	s_delay_alu instid0(VALU_DEP_3) | instskip(NEXT) | instid1(VALU_DEP_4)
	v_add_co_u32 v5, vcc_lo, s8, v5
	v_add_co_ci_u32_e32 v6, vcc_lo, s9, v6, vcc_lo
	s_clause 0x3
	global_load_b128 v[18:21], v[24:25], off offset:16
	global_load_b128 v[22:25], v[24:25], off
	global_load_b64 v[48:49], v[26:27], off
	global_load_b64 v[50:51], v[5:6], off
	v_add_nc_u32_e32 v6, 2, v42
	v_lshlrev_b64 v[26:27], 3, v[42:43]
	s_delay_alu instid0(VALU_DEP_2) | instskip(NEXT) | instid1(VALU_DEP_2)
	v_lshlrev_b64 v[30:31], 3, v[6:7]
	v_add_co_u32 v26, vcc_lo, s10, v26
	s_delay_alu instid0(VALU_DEP_3) | instskip(NEXT) | instid1(VALU_DEP_3)
	v_add_co_ci_u32_e32 v27, vcc_lo, s11, v27, vcc_lo
	v_add_co_u32 v30, vcc_lo, s10, v30
	s_delay_alu instid0(VALU_DEP_4) | instskip(SKIP_2) | instid1(VALU_DEP_1)
	v_add_co_ci_u32_e32 v31, vcc_lo, s11, v31, vcc_lo
	global_load_b128 v[26:29], v[26:27], off
	v_add_nc_u32_e32 v6, -7, v4
	v_lshlrev_b64 v[32:33], 3, v[6:7]
	s_delay_alu instid0(VALU_DEP_1) | instskip(NEXT) | instid1(VALU_DEP_2)
	v_add_co_u32 v36, vcc_lo, s8, v32
	v_add_co_ci_u32_e32 v37, vcc_lo, s9, v33, vcc_lo
	global_load_b128 v[30:33], v[30:31], off
	v_add_nc_u32_e32 v6, -6, v4
	global_load_b64 v[52:53], v[36:37], off
	s_waitcnt vmcnt(2)
	v_fmac_f32_e32 v13, v23, v26
	v_fmac_f32_e32 v17, v48, v26
	v_lshlrev_b64 v[34:35], 3, v[6:7]
	s_delay_alu instid0(VALU_DEP_3) | instskip(SKIP_1) | instid1(VALU_DEP_4)
	v_dual_fmac_f32 v13, v22, v27 :: v_dual_add_nc_u32 v6, -15, v4
	v_fmac_f32_e32 v16, v22, v26
	v_fma_f32 v8, -v49, v27, v17
	s_delay_alu instid0(VALU_DEP_3) | instskip(SKIP_3) | instid1(VALU_DEP_4)
	v_lshlrev_b64 v[38:39], 3, v[6:7]
	v_add_co_u32 v34, vcc_lo, s8, v34
	v_fmac_f32_e32 v13, v25, v28
	v_add_co_ci_u32_e32 v35, vcc_lo, s9, v35, vcc_lo
	v_add_co_u32 v38, vcc_lo, s8, v38
	v_add_co_ci_u32_e32 v39, vcc_lo, s9, v39, vcc_lo
	v_fma_f32 v3, -v23, v27, v16
	v_dual_fmac_f32 v13, v24, v29 :: v_dual_add_nc_u32 v6, 4, v42
	s_clause 0x1
	global_load_b64 v[56:57], v[38:39], off
	global_load_b64 v[54:55], v[34:35], off
	v_fmac_f32_e32 v3, v24, v28
	v_lshlrev_b64 v[36:37], 3, v[6:7]
	s_waitcnt vmcnt(3)
	v_dual_fmac_f32 v13, v19, v30 :: v_dual_add_nc_u32 v6, -5, v4
	s_delay_alu instid0(VALU_DEP_3) | instskip(NEXT) | instid1(VALU_DEP_2)
	v_fma_f32 v3, -v25, v29, v3
	v_lshlrev_b64 v[34:35], 3, v[6:7]
	s_delay_alu instid0(VALU_DEP_4) | instskip(SKIP_1) | instid1(VALU_DEP_4)
	v_add_co_u32 v36, vcc_lo, s10, v36
	v_add_co_ci_u32_e32 v37, vcc_lo, s11, v37, vcc_lo
	v_dual_fmac_f32 v3, v18, v30 :: v_dual_add_nc_u32 v6, -14, v4
	s_delay_alu instid0(VALU_DEP_4)
	v_add_co_u32 v40, vcc_lo, s8, v34
	v_add_co_ci_u32_e32 v41, vcc_lo, s9, v35, vcc_lo
	global_load_b128 v[34:37], v[36:37], off
	v_lshlrev_b64 v[38:39], 3, v[6:7]
	v_add_nc_u32_e32 v6, -4, v4
	global_load_b64 v[58:59], v[40:41], off
	v_fma_f32 v3, -v19, v31, v3
	v_fmac_f32_e32 v13, v18, v31
	v_lshlrev_b64 v[43:44], 3, v[6:7]
	v_add_co_u32 v38, vcc_lo, s8, v38
	v_add_co_ci_u32_e32 v39, vcc_lo, s9, v39, vcc_lo
	v_add_nc_u32_e32 v6, -13, v4
	s_delay_alu instid0(VALU_DEP_4)
	v_add_co_u32 v43, vcc_lo, s8, v43
	v_add_co_ci_u32_e32 v44, vcc_lo, s9, v44, vcc_lo
	v_fmac_f32_e32 v3, v20, v32
	v_fmac_f32_e32 v13, v21, v32
	s_clause 0x1
	global_load_b64 v[62:63], v[43:44], off
	global_load_b64 v[60:61], v[38:39], off
	v_lshlrev_b64 v[40:41], 3, v[6:7]
	v_add_nc_u32_e32 v6, 6, v42
	v_fma_f32 v3, -v21, v33, v3
	v_fmac_f32_e32 v13, v20, v33
	s_delay_alu instid0(VALU_DEP_3) | instskip(SKIP_3) | instid1(VALU_DEP_3)
	v_lshlrev_b64 v[38:39], 3, v[6:7]
	v_add_nc_u32_e32 v6, -3, v4
	v_add_co_u32 v40, vcc_lo, s8, v40
	v_add_co_ci_u32_e32 v41, vcc_lo, s9, v41, vcc_lo
	v_lshlrev_b64 v[43:44], 3, v[6:7]
	v_add_nc_u32_e32 v6, -12, v4
	v_add_co_u32 v38, vcc_lo, s10, v38
	v_add_co_ci_u32_e32 v39, vcc_lo, s11, v39, vcc_lo
	s_delay_alu instid0(VALU_DEP_4)
	v_add_co_u32 v43, vcc_lo, s8, v43
	v_add_co_ci_u32_e32 v44, vcc_lo, s9, v44, vcc_lo
	s_clause 0x1
	global_load_b64 v[64:65], v[40:41], off
	global_load_b64 v[70:71], v[43:44], off
	s_waitcnt vmcnt(5)
	v_fmac_f32_e32 v3, v56, v34
	v_lshlrev_b64 v[66:67], 3, v[6:7]
	v_dual_fmac_f32 v13, v57, v34 :: v_dual_add_nc_u32 v6, -2, v4
	s_delay_alu instid0(VALU_DEP_3) | instskip(NEXT) | instid1(VALU_DEP_2)
	v_fma_f32 v3, -v57, v35, v3
	v_lshlrev_b64 v[68:69], 3, v[6:7]
	s_delay_alu instid0(VALU_DEP_4) | instskip(SKIP_2) | instid1(VALU_DEP_4)
	v_add_co_u32 v66, vcc_lo, s8, v66
	v_add_co_ci_u32_e32 v67, vcc_lo, s9, v67, vcc_lo
	v_dual_fmac_f32 v13, v56, v35 :: v_dual_add_nc_u32 v6, -11, v4
	v_add_co_u32 v68, vcc_lo, s8, v68
	v_add_co_ci_u32_e32 v69, vcc_lo, s9, v69, vcc_lo
	s_clause 0x1
	global_load_b64 v[66:67], v[66:67], off
	global_load_b64 v[68:69], v[68:69], off
	v_lshlrev_b64 v[43:44], 3, v[6:7]
	s_waitcnt vmcnt(4)
	v_dual_fmac_f32 v3, v60, v36 :: v_dual_add_nc_u32 v6, 8, v42
	v_fmac_f32_e32 v13, v61, v36
	s_delay_alu instid0(VALU_DEP_3) | instskip(NEXT) | instid1(VALU_DEP_4)
	v_add_co_u32 v42, vcc_lo, s8, v43
	v_add_co_ci_u32_e32 v43, vcc_lo, s9, v44, vcc_lo
	s_delay_alu instid0(VALU_DEP_4) | instskip(NEXT) | instid1(VALU_DEP_4)
	v_lshlrev_b64 v[72:73], 3, v[6:7]
	v_dual_fmac_f32 v13, v60, v37 :: v_dual_add_nc_u32 v6, -1, v4
	global_load_b64 v[74:75], v[42:43], off
	global_load_b128 v[38:41], v[38:39], off
	v_fma_f32 v3, -v61, v37, v3
	v_lshlrev_b64 v[44:45], 3, v[6:7]
	v_add_co_u32 v42, vcc_lo, s10, v72
	v_add_co_ci_u32_e32 v43, vcc_lo, s11, v73, vcc_lo
	v_add_nc_u32_e32 v6, -10, v4
	s_delay_alu instid0(VALU_DEP_4)
	v_add_co_u32 v72, vcc_lo, s8, v44
	v_add_co_ci_u32_e32 v73, vcc_lo, s9, v45, vcc_lo
	global_load_b128 v[42:45], v[42:43], off
	global_load_b64 v[72:73], v[72:73], off
	v_fmac_f32_e32 v8, v50, v28
	s_waitcnt vmcnt(2)
	v_dual_fmac_f32 v13, v65, v38 :: v_dual_add_nc_u32 v4, 0x140, v4
	v_fmac_f32_e32 v3, v64, v38
	v_lshlrev_b64 v[5:6], 3, v[6:7]
	v_fmac_f32_e32 v14, v49, v26
	v_fma_f32 v8, -v51, v29, v8
	v_fmac_f32_e32 v13, v64, v39
	v_fma_f32 v3, -v65, v39, v3
	v_add_co_u32 v5, vcc_lo, s8, v5
	v_add_co_ci_u32_e32 v6, vcc_lo, s9, v6, vcc_lo
	s_clause 0x1
	global_load_b64 v[5:6], v[5:6], off
	global_load_b64 v[46:47], v[46:47], off
	v_dual_fmac_f32 v14, v48, v27 :: v_dual_fmac_f32 v3, v66, v40
	v_dual_fmac_f32 v8, v52, v30 :: v_dual_fmac_f32 v13, v67, v40
	v_cmp_ge_i32_e32 vcc_lo, v2, v15
	s_delay_alu instid0(VALU_DEP_3) | instskip(NEXT) | instid1(VALU_DEP_4)
	v_fmac_f32_e32 v14, v51, v28
	v_fma_f32 v3, -v67, v41, v3
	s_delay_alu instid0(VALU_DEP_4)
	v_fma_f32 v8, -v53, v31, v8
	v_fmac_f32_e32 v13, v66, v41
	s_or_b32 s2, vcc_lo, s2
	v_fmac_f32_e32 v14, v50, v29
	s_waitcnt vmcnt(3)
	v_fmac_f32_e32 v3, v74, v42
	v_fmac_f32_e32 v13, v75, v42
	s_delay_alu instid0(VALU_DEP_3) | instskip(NEXT) | instid1(VALU_DEP_3)
	v_fmac_f32_e32 v14, v53, v30
	v_fma_f32 v3, -v75, v43, v3
	s_delay_alu instid0(VALU_DEP_3) | instskip(NEXT) | instid1(VALU_DEP_3)
	v_fmac_f32_e32 v13, v74, v43
	v_fmac_f32_e32 v14, v52, v31
	s_delay_alu instid0(VALU_DEP_1) | instskip(NEXT) | instid1(VALU_DEP_1)
	v_fmac_f32_e32 v14, v55, v32
	v_fmac_f32_e32 v14, v54, v33
	s_waitcnt vmcnt(1)
	s_delay_alu instid0(VALU_DEP_1) | instskip(SKIP_1) | instid1(VALU_DEP_2)
	v_dual_fmac_f32 v14, v59, v34 :: v_dual_fmac_f32 v13, v6, v44
	v_fmac_f32_e32 v8, v54, v32
	v_dual_fmac_f32 v14, v58, v35 :: v_dual_fmac_f32 v3, v5, v44
	s_delay_alu instid0(VALU_DEP_3) | instskip(NEXT) | instid1(VALU_DEP_3)
	v_fmac_f32_e32 v13, v5, v45
	v_fma_f32 v8, -v55, v33, v8
	s_delay_alu instid0(VALU_DEP_3) | instskip(NEXT) | instid1(VALU_DEP_4)
	v_fmac_f32_e32 v14, v63, v36
	v_fma_f32 v16, -v6, v45, v3
	s_delay_alu instid0(VALU_DEP_3) | instskip(NEXT) | instid1(VALU_DEP_3)
	v_fmac_f32_e32 v8, v58, v34
	v_fmac_f32_e32 v14, v62, v37
	s_delay_alu instid0(VALU_DEP_2) | instskip(NEXT) | instid1(VALU_DEP_2)
	v_fma_f32 v8, -v59, v35, v8
	v_fmac_f32_e32 v14, v71, v38
	s_delay_alu instid0(VALU_DEP_2) | instskip(NEXT) | instid1(VALU_DEP_2)
	v_fmac_f32_e32 v8, v62, v36
	v_fmac_f32_e32 v14, v70, v39
	s_delay_alu instid0(VALU_DEP_2) | instskip(NEXT) | instid1(VALU_DEP_2)
	v_fma_f32 v8, -v63, v37, v8
	v_fmac_f32_e32 v14, v69, v40
	s_delay_alu instid0(VALU_DEP_2) | instskip(NEXT) | instid1(VALU_DEP_2)
	;; [unrolled: 6-line block ×3, first 2 shown]
	v_fmac_f32_e32 v8, v68, v40
	v_fmac_f32_e32 v14, v72, v43
	s_delay_alu instid0(VALU_DEP_2) | instskip(SKIP_1) | instid1(VALU_DEP_2)
	v_fma_f32 v8, -v69, v41, v8
	s_waitcnt vmcnt(0)
	v_fmac_f32_e32 v14, v47, v44
	s_delay_alu instid0(VALU_DEP_2) | instskip(NEXT) | instid1(VALU_DEP_2)
	v_fmac_f32_e32 v8, v72, v42
	v_fmac_f32_e32 v14, v46, v45
	s_delay_alu instid0(VALU_DEP_2) | instskip(NEXT) | instid1(VALU_DEP_1)
	v_fma_f32 v8, -v73, v43, v8
	v_fmac_f32_e32 v8, v46, v44
	s_delay_alu instid0(VALU_DEP_1)
	v_fma_f32 v17, -v47, v45, v8
	s_and_not1_b32 exec_lo, exec_lo, s2
	s_cbranch_execnz .LBB194_21
; %bb.22:
	s_or_b32 exec_lo, exec_lo, s2
.LBB194_23:
	s_delay_alu instid0(SALU_CYCLE_1)
	s_or_b32 exec_lo, exec_lo, s3
.LBB194_24:
	v_mbcnt_lo_u32_b32 v2, -1, 0
	s_delay_alu instid0(VALU_DEP_1) | instskip(SKIP_2) | instid1(VALU_DEP_3)
	v_xor_b32_e32 v3, 8, v2
	v_xor_b32_e32 v7, 4, v2
	;; [unrolled: 1-line block ×3, first 2 shown]
	v_cmp_gt_i32_e32 vcc_lo, 32, v3
	v_cndmask_b32_e32 v3, v2, v3, vcc_lo
	s_delay_alu instid0(VALU_DEP_4) | instskip(NEXT) | instid1(VALU_DEP_2)
	v_cmp_gt_i32_e32 vcc_lo, 32, v7
	v_lshlrev_b32_e32 v3, 2, v3
	ds_bpermute_b32 v6, v3, v17
	s_waitcnt lgkmcnt(0)
	v_add_f32_e32 v6, v17, v6
	ds_bpermute_b32 v4, v3, v16
	ds_bpermute_b32 v5, v3, v13
	;; [unrolled: 1-line block ×3, first 2 shown]
	s_waitcnt lgkmcnt(2)
	v_dual_add_f32 v4, v16, v4 :: v_dual_cndmask_b32 v7, v2, v7
	s_waitcnt lgkmcnt(0)
	v_add_f32_e32 v3, v14, v3
	v_add_f32_e32 v5, v13, v5
	v_cmp_gt_i32_e32 vcc_lo, 32, v15
	v_lshlrev_b32_e32 v7, 2, v7
	v_cndmask_b32_e32 v15, v2, v15, vcc_lo
	ds_bpermute_b32 v14, v7, v6
	s_waitcnt lgkmcnt(0)
	v_add_f32_e32 v6, v6, v14
	ds_bpermute_b32 v8, v7, v4
	ds_bpermute_b32 v13, v7, v5
	;; [unrolled: 1-line block ×3, first 2 shown]
	s_waitcnt lgkmcnt(2)
	v_dual_add_f32 v4, v4, v8 :: v_dual_lshlrev_b32 v15, 2, v15
	s_waitcnt lgkmcnt(0)
	v_add_f32_e32 v3, v3, v7
	ds_bpermute_b32 v7, v15, v4
	v_add_f32_e32 v5, v5, v13
	ds_bpermute_b32 v13, v15, v6
	ds_bpermute_b32 v14, v15, v3
	s_waitcnt lgkmcnt(2)
	v_add_f32_e32 v4, v4, v7
	ds_bpermute_b32 v8, v15, v5
	v_xor_b32_e32 v15, 1, v2
	s_waitcnt lgkmcnt(1)
	v_add_f32_e32 v3, v3, v14
	s_delay_alu instid0(VALU_DEP_2) | instskip(SKIP_2) | instid1(VALU_DEP_2)
	v_cmp_gt_i32_e32 vcc_lo, 32, v15
	v_cndmask_b32_e32 v2, v2, v15, vcc_lo
	v_cmp_eq_u32_e32 vcc_lo, 15, v0
	v_dual_add_f32 v2, v6, v13 :: v_dual_lshlrev_b32 v15, 2, v2
	s_waitcnt lgkmcnt(0)
	v_add_f32_e32 v5, v5, v8
	ds_bpermute_b32 v8, v15, v4
	ds_bpermute_b32 v6, v15, v2
	;; [unrolled: 1-line block ×4, first 2 shown]
	s_and_b32 exec_lo, exec_lo, vcc_lo
	s_cbranch_execz .LBB194_29
; %bb.25:
	s_load_b64 s[2:3], s[0:1], 0x38
	v_cmp_eq_f32_e32 vcc_lo, 0, v11
	v_cmp_eq_f32_e64 s0, 0, v12
	s_waitcnt lgkmcnt(0)
	v_dual_add_f32 v0, v4, v8 :: v_dual_add_f32 v3, v3, v7
	v_add_f32_e32 v4, v5, v13
	v_add_f32_e32 v2, v2, v6
	s_and_b32 s0, vcc_lo, s0
	s_delay_alu instid0(SALU_CYCLE_1) | instskip(NEXT) | instid1(SALU_CYCLE_1)
	s_and_saveexec_b32 s1, s0
	s_xor_b32 s0, exec_lo, s1
	s_cbranch_execz .LBB194_27
; %bb.26:
	v_mul_f32_e64 v5, v4, -v10
	v_mul_f32_e32 v6, v4, v9
	v_mul_f32_e64 v7, v3, -v10
	v_mul_f32_e32 v8, v3, v9
                                        ; implicit-def: $vgpr4
                                        ; implicit-def: $vgpr3
	s_delay_alu instid0(VALU_DEP_4) | instskip(NEXT) | instid1(VALU_DEP_4)
	v_fmac_f32_e32 v5, v9, v0
	v_dual_fmac_f32 v6, v10, v0 :: v_dual_lshlrev_b32 v11, 1, v1
	s_delay_alu instid0(VALU_DEP_4) | instskip(NEXT) | instid1(VALU_DEP_4)
	v_fmac_f32_e32 v7, v9, v2
	v_fmac_f32_e32 v8, v10, v2
                                        ; implicit-def: $vgpr9
                                        ; implicit-def: $vgpr10
                                        ; implicit-def: $vgpr2
	s_delay_alu instid0(VALU_DEP_3) | instskip(NEXT) | instid1(VALU_DEP_1)
	v_ashrrev_i32_e32 v12, 31, v11
	v_lshlrev_b64 v[11:12], 3, v[11:12]
	s_delay_alu instid0(VALU_DEP_1) | instskip(NEXT) | instid1(VALU_DEP_2)
	v_add_co_u32 v0, vcc_lo, s2, v11
	v_add_co_ci_u32_e32 v1, vcc_lo, s3, v12, vcc_lo
                                        ; implicit-def: $vgpr11
                                        ; implicit-def: $vgpr12
	global_store_b128 v[0:1], v[5:8], off
                                        ; implicit-def: $vgpr1
                                        ; implicit-def: $vgpr0
.LBB194_27:
	s_and_not1_saveexec_b32 s0, s0
	s_cbranch_execz .LBB194_29
; %bb.28:
	v_lshlrev_b32_e32 v5, 1, v1
	v_mul_f32_e64 v15, v4, -v10
	v_mul_f32_e32 v1, v4, v9
	v_mul_f32_e64 v4, v3, -v10
	v_mul_f32_e32 v3, v3, v9
	s_delay_alu instid0(VALU_DEP_4) | instskip(NEXT) | instid1(VALU_DEP_3)
	v_fmac_f32_e32 v15, v9, v0
	v_fmac_f32_e32 v4, v9, v2
	v_ashrrev_i32_e32 v6, 31, v5
	s_delay_alu instid0(VALU_DEP_4) | instskip(NEXT) | instid1(VALU_DEP_2)
	v_fmac_f32_e32 v3, v10, v2
	v_lshlrev_b64 v[5:6], 3, v[5:6]
	s_delay_alu instid0(VALU_DEP_1) | instskip(NEXT) | instid1(VALU_DEP_2)
	v_add_co_u32 v13, vcc_lo, s2, v5
	v_add_co_ci_u32_e32 v14, vcc_lo, s3, v6, vcc_lo
	global_load_b128 v[5:8], v[13:14], off
	s_waitcnt vmcnt(0)
	v_dual_fmac_f32 v4, v11, v7 :: v_dual_fmac_f32 v1, v10, v0
	v_fmac_f32_e32 v15, v11, v5
	v_fmac_f32_e32 v3, v12, v7
	s_delay_alu instid0(VALU_DEP_3) | instskip(NEXT) | instid1(VALU_DEP_4)
	v_fma_f32 v2, -v12, v8, v4
	v_fmac_f32_e32 v1, v12, v5
	s_delay_alu instid0(VALU_DEP_4) | instskip(NEXT) | instid1(VALU_DEP_4)
	v_fma_f32 v0, -v12, v6, v15
	v_fmac_f32_e32 v3, v11, v8
	s_delay_alu instid0(VALU_DEP_3)
	v_fmac_f32_e32 v1, v11, v6
	global_store_b128 v[13:14], v[0:3], off
.LBB194_29:
	s_nop 0
	s_sendmsg sendmsg(MSG_DEALLOC_VGPRS)
	s_endpgm
	.section	.rodata,"a",@progbits
	.p2align	6, 0x0
	.amdhsa_kernel _ZN9rocsparseL19gebsrmvn_2xn_kernelILj128ELj10ELj16E21rocsparse_complex_numIfEEEvi20rocsparse_direction_NS_24const_host_device_scalarIT2_EEPKiS8_PKS5_SA_S6_PS5_21rocsparse_index_base_b
		.amdhsa_group_segment_fixed_size 0
		.amdhsa_private_segment_fixed_size 0
		.amdhsa_kernarg_size 72
		.amdhsa_user_sgpr_count 15
		.amdhsa_user_sgpr_dispatch_ptr 0
		.amdhsa_user_sgpr_queue_ptr 0
		.amdhsa_user_sgpr_kernarg_segment_ptr 1
		.amdhsa_user_sgpr_dispatch_id 0
		.amdhsa_user_sgpr_private_segment_size 0
		.amdhsa_wavefront_size32 1
		.amdhsa_uses_dynamic_stack 0
		.amdhsa_enable_private_segment 0
		.amdhsa_system_sgpr_workgroup_id_x 1
		.amdhsa_system_sgpr_workgroup_id_y 0
		.amdhsa_system_sgpr_workgroup_id_z 0
		.amdhsa_system_sgpr_workgroup_info 0
		.amdhsa_system_vgpr_workitem_id 0
		.amdhsa_next_free_vgpr 78
		.amdhsa_next_free_sgpr 16
		.amdhsa_reserve_vcc 1
		.amdhsa_float_round_mode_32 0
		.amdhsa_float_round_mode_16_64 0
		.amdhsa_float_denorm_mode_32 3
		.amdhsa_float_denorm_mode_16_64 3
		.amdhsa_dx10_clamp 1
		.amdhsa_ieee_mode 1
		.amdhsa_fp16_overflow 0
		.amdhsa_workgroup_processor_mode 1
		.amdhsa_memory_ordered 1
		.amdhsa_forward_progress 0
		.amdhsa_shared_vgpr_count 0
		.amdhsa_exception_fp_ieee_invalid_op 0
		.amdhsa_exception_fp_denorm_src 0
		.amdhsa_exception_fp_ieee_div_zero 0
		.amdhsa_exception_fp_ieee_overflow 0
		.amdhsa_exception_fp_ieee_underflow 0
		.amdhsa_exception_fp_ieee_inexact 0
		.amdhsa_exception_int_div_zero 0
	.end_amdhsa_kernel
	.section	.text._ZN9rocsparseL19gebsrmvn_2xn_kernelILj128ELj10ELj16E21rocsparse_complex_numIfEEEvi20rocsparse_direction_NS_24const_host_device_scalarIT2_EEPKiS8_PKS5_SA_S6_PS5_21rocsparse_index_base_b,"axG",@progbits,_ZN9rocsparseL19gebsrmvn_2xn_kernelILj128ELj10ELj16E21rocsparse_complex_numIfEEEvi20rocsparse_direction_NS_24const_host_device_scalarIT2_EEPKiS8_PKS5_SA_S6_PS5_21rocsparse_index_base_b,comdat
.Lfunc_end194:
	.size	_ZN9rocsparseL19gebsrmvn_2xn_kernelILj128ELj10ELj16E21rocsparse_complex_numIfEEEvi20rocsparse_direction_NS_24const_host_device_scalarIT2_EEPKiS8_PKS5_SA_S6_PS5_21rocsparse_index_base_b, .Lfunc_end194-_ZN9rocsparseL19gebsrmvn_2xn_kernelILj128ELj10ELj16E21rocsparse_complex_numIfEEEvi20rocsparse_direction_NS_24const_host_device_scalarIT2_EEPKiS8_PKS5_SA_S6_PS5_21rocsparse_index_base_b
                                        ; -- End function
	.section	.AMDGPU.csdata,"",@progbits
; Kernel info:
; codeLenInByte = 3844
; NumSgprs: 18
; NumVgprs: 78
; ScratchSize: 0
; MemoryBound: 0
; FloatMode: 240
; IeeeMode: 1
; LDSByteSize: 0 bytes/workgroup (compile time only)
; SGPRBlocks: 2
; VGPRBlocks: 9
; NumSGPRsForWavesPerEU: 18
; NumVGPRsForWavesPerEU: 78
; Occupancy: 16
; WaveLimiterHint : 1
; COMPUTE_PGM_RSRC2:SCRATCH_EN: 0
; COMPUTE_PGM_RSRC2:USER_SGPR: 15
; COMPUTE_PGM_RSRC2:TRAP_HANDLER: 0
; COMPUTE_PGM_RSRC2:TGID_X_EN: 1
; COMPUTE_PGM_RSRC2:TGID_Y_EN: 0
; COMPUTE_PGM_RSRC2:TGID_Z_EN: 0
; COMPUTE_PGM_RSRC2:TIDIG_COMP_CNT: 0
	.section	.text._ZN9rocsparseL19gebsrmvn_2xn_kernelILj128ELj10ELj32E21rocsparse_complex_numIfEEEvi20rocsparse_direction_NS_24const_host_device_scalarIT2_EEPKiS8_PKS5_SA_S6_PS5_21rocsparse_index_base_b,"axG",@progbits,_ZN9rocsparseL19gebsrmvn_2xn_kernelILj128ELj10ELj32E21rocsparse_complex_numIfEEEvi20rocsparse_direction_NS_24const_host_device_scalarIT2_EEPKiS8_PKS5_SA_S6_PS5_21rocsparse_index_base_b,comdat
	.globl	_ZN9rocsparseL19gebsrmvn_2xn_kernelILj128ELj10ELj32E21rocsparse_complex_numIfEEEvi20rocsparse_direction_NS_24const_host_device_scalarIT2_EEPKiS8_PKS5_SA_S6_PS5_21rocsparse_index_base_b ; -- Begin function _ZN9rocsparseL19gebsrmvn_2xn_kernelILj128ELj10ELj32E21rocsparse_complex_numIfEEEvi20rocsparse_direction_NS_24const_host_device_scalarIT2_EEPKiS8_PKS5_SA_S6_PS5_21rocsparse_index_base_b
	.p2align	8
	.type	_ZN9rocsparseL19gebsrmvn_2xn_kernelILj128ELj10ELj32E21rocsparse_complex_numIfEEEvi20rocsparse_direction_NS_24const_host_device_scalarIT2_EEPKiS8_PKS5_SA_S6_PS5_21rocsparse_index_base_b,@function
_ZN9rocsparseL19gebsrmvn_2xn_kernelILj128ELj10ELj32E21rocsparse_complex_numIfEEEvi20rocsparse_direction_NS_24const_host_device_scalarIT2_EEPKiS8_PKS5_SA_S6_PS5_21rocsparse_index_base_b: ; @_ZN9rocsparseL19gebsrmvn_2xn_kernelILj128ELj10ELj32E21rocsparse_complex_numIfEEEvi20rocsparse_direction_NS_24const_host_device_scalarIT2_EEPKiS8_PKS5_SA_S6_PS5_21rocsparse_index_base_b
; %bb.0:
	s_clause 0x2
	s_load_b64 s[12:13], s[0:1], 0x40
	s_load_b64 s[4:5], s[0:1], 0x8
	;; [unrolled: 1-line block ×3, first 2 shown]
	s_waitcnt lgkmcnt(0)
	s_bitcmp1_b32 s13, 0
	v_mov_b32_e32 v9, s4
	s_cselect_b32 s6, -1, 0
	s_delay_alu instid0(SALU_CYCLE_1)
	s_and_b32 vcc_lo, exec_lo, s6
	s_xor_b32 s6, s6, -1
	s_cbranch_vccz .LBB195_15
; %bb.1:
	v_cndmask_b32_e64 v1, 0, 1, s6
	v_mov_b32_e32 v10, s5
	s_and_not1_b32 vcc_lo, exec_lo, s6
	s_cbranch_vccz .LBB195_16
.LBB195_2:
	s_delay_alu instid0(VALU_DEP_2)
	v_cmp_ne_u32_e32 vcc_lo, 1, v1
	v_mov_b32_e32 v11, s2
	s_cbranch_vccz .LBB195_17
.LBB195_3:
	v_cmp_ne_u32_e32 vcc_lo, 1, v1
	v_mov_b32_e32 v12, s3
	s_cbranch_vccnz .LBB195_5
.LBB195_4:
	v_dual_mov_b32 v1, s2 :: v_dual_mov_b32 v2, s3
	flat_load_b32 v12, v[1:2] offset:4
.LBB195_5:
	s_waitcnt vmcnt(0) lgkmcnt(0)
	v_cmp_eq_f32_e32 vcc_lo, 0, v9
	v_cmp_eq_f32_e64 s2, 0, v10
	s_delay_alu instid0(VALU_DEP_1)
	s_and_b32 s4, vcc_lo, s2
	s_mov_b32 s2, -1
	s_and_saveexec_b32 s3, s4
; %bb.6:
	v_cmp_neq_f32_e32 vcc_lo, 1.0, v11
	v_cmp_neq_f32_e64 s2, 0, v12
	s_delay_alu instid0(VALU_DEP_1) | instskip(NEXT) | instid1(SALU_CYCLE_1)
	s_or_b32 s2, vcc_lo, s2
	s_or_not1_b32 s2, s2, exec_lo
; %bb.7:
	s_or_b32 exec_lo, exec_lo, s3
	s_and_saveexec_b32 s3, s2
	s_cbranch_execz .LBB195_29
; %bb.8:
	s_load_b64 s[2:3], s[0:1], 0x0
	v_lshrrev_b32_e32 v1, 5, v0
	s_delay_alu instid0(VALU_DEP_1) | instskip(SKIP_1) | instid1(VALU_DEP_1)
	v_lshl_or_b32 v1, s15, 2, v1
	s_waitcnt lgkmcnt(0)
	v_cmp_gt_i32_e32 vcc_lo, s2, v1
	s_and_b32 exec_lo, exec_lo, vcc_lo
	s_cbranch_execz .LBB195_29
; %bb.9:
	s_load_b256 s[4:11], s[0:1], 0x10
	v_ashrrev_i32_e32 v2, 31, v1
	v_and_b32_e32 v0, 31, v0
	s_cmp_lg_u32 s3, 0
	s_delay_alu instid0(VALU_DEP_2) | instskip(SKIP_1) | instid1(VALU_DEP_1)
	v_lshlrev_b64 v[2:3], 2, v[1:2]
	s_waitcnt lgkmcnt(0)
	v_add_co_u32 v2, vcc_lo, s4, v2
	s_delay_alu instid0(VALU_DEP_2) | instskip(SKIP_4) | instid1(VALU_DEP_2)
	v_add_co_ci_u32_e32 v3, vcc_lo, s5, v3, vcc_lo
	global_load_b64 v[2:3], v[2:3], off
	s_waitcnt vmcnt(0)
	v_subrev_nc_u32_e32 v2, s12, v2
	v_subrev_nc_u32_e32 v15, s12, v3
	v_add_nc_u32_e32 v2, v2, v0
	s_delay_alu instid0(VALU_DEP_1)
	v_cmp_lt_i32_e64 s2, v2, v15
	s_cbranch_scc0 .LBB195_18
; %bb.10:
	v_dual_mov_b32 v13, 0 :: v_dual_mov_b32 v16, 0
	v_dual_mov_b32 v17, 0 :: v_dual_mov_b32 v14, 0
	s_mov_b32 s4, 0
	s_and_saveexec_b32 s5, s2
	s_cbranch_execz .LBB195_14
; %bb.11:
	v_mad_u64_u32 v[3:4], null, v2, 20, 18
	v_dual_mov_b32 v6, 0 :: v_dual_mov_b32 v7, v2
	v_dual_mov_b32 v13, 0 :: v_dual_mov_b32 v16, 0
	;; [unrolled: 1-line block ×3, first 2 shown]
	s_mov_b32 s13, 0
.LBB195_12:                             ; =>This Inner Loop Header: Depth=1
	s_delay_alu instid0(VALU_DEP_3) | instskip(NEXT) | instid1(VALU_DEP_1)
	v_ashrrev_i32_e32 v8, 31, v7
	v_lshlrev_b64 v[4:5], 2, v[7:8]
	v_add_nc_u32_e32 v7, 32, v7
	s_delay_alu instid0(VALU_DEP_2) | instskip(NEXT) | instid1(VALU_DEP_3)
	v_add_co_u32 v4, vcc_lo, s6, v4
	v_add_co_ci_u32_e32 v5, vcc_lo, s7, v5, vcc_lo
	global_load_b32 v8, v[4:5], off
	v_subrev_nc_u32_e32 v5, 18, v3
	v_mov_b32_e32 v4, v6
	s_delay_alu instid0(VALU_DEP_2) | instskip(SKIP_1) | instid1(VALU_DEP_3)
	v_lshlrev_b64 v[18:19], 3, v[5:6]
	v_add_nc_u32_e32 v5, -14, v3
	v_lshlrev_b64 v[73:74], 3, v[3:4]
	s_delay_alu instid0(VALU_DEP_2) | instskip(NEXT) | instid1(VALU_DEP_4)
	v_lshlrev_b64 v[4:5], 3, v[5:6]
	v_add_co_u32 v22, vcc_lo, s8, v18
	v_add_co_ci_u32_e32 v23, vcc_lo, s9, v19, vcc_lo
	s_delay_alu instid0(VALU_DEP_4) | instskip(NEXT) | instid1(VALU_DEP_4)
	v_add_co_u32 v75, vcc_lo, s8, v73
	v_add_co_u32 v4, s3, s8, v4
	s_delay_alu instid0(VALU_DEP_1)
	v_add_co_ci_u32_e64 v5, s3, s9, v5, s3
	s_clause 0x2
	global_load_b128 v[18:21], v[22:23], off offset:16
	global_load_b128 v[22:25], v[22:23], off
	global_load_b128 v[26:29], v[4:5], off
	v_mov_b32_e32 v59, v6
	v_add_co_ci_u32_e32 v76, vcc_lo, s9, v74, vcc_lo
	v_cmp_ge_i32_e32 vcc_lo, v7, v15
	s_or_b32 s13, vcc_lo, s13
	s_waitcnt vmcnt(3)
	v_subrev_nc_u32_e32 v4, s12, v8
	s_delay_alu instid0(VALU_DEP_1) | instskip(NEXT) | instid1(VALU_DEP_1)
	v_mul_lo_u32 v58, v4, 10
	v_lshlrev_b64 v[30:31], 3, v[58:59]
	s_delay_alu instid0(VALU_DEP_1) | instskip(NEXT) | instid1(VALU_DEP_1)
	v_add_co_u32 v30, s3, s10, v30
	v_add_co_ci_u32_e64 v31, s3, s11, v31, s3
	global_load_b128 v[30:33], v[30:31], off
	v_add_nc_u32_e32 v5, 2, v58
	s_delay_alu instid0(VALU_DEP_1) | instskip(NEXT) | instid1(VALU_DEP_1)
	v_lshlrev_b64 v[34:35], 3, v[5:6]
	v_add_co_u32 v34, s3, s10, v34
	s_delay_alu instid0(VALU_DEP_1) | instskip(SKIP_3) | instid1(VALU_DEP_1)
	v_add_co_ci_u32_e64 v35, s3, s11, v35, s3
	global_load_b128 v[34:37], v[34:35], off
	s_waitcnt vmcnt(1)
	v_dual_fmac_f32 v16, v22, v30 :: v_dual_add_nc_u32 v5, -12, v3
	v_lshlrev_b64 v[38:39], 3, v[5:6]
	v_dual_fmac_f32 v14, v25, v30 :: v_dual_add_nc_u32 v5, -10, v3
	s_delay_alu instid0(VALU_DEP_1) | instskip(NEXT) | instid1(VALU_DEP_3)
	v_lshlrev_b64 v[40:41], 3, v[5:6]
	v_add_co_u32 v38, s3, s8, v38
	s_delay_alu instid0(VALU_DEP_1) | instskip(NEXT) | instid1(VALU_DEP_4)
	v_add_co_ci_u32_e64 v39, s3, s9, v39, s3
	v_fmac_f32_e32 v14, v24, v31
	s_delay_alu instid0(VALU_DEP_4) | instskip(NEXT) | instid1(VALU_DEP_1)
	v_add_co_u32 v42, s3, s8, v40
	v_add_co_ci_u32_e64 v43, s3, s9, v41, s3
	global_load_b128 v[38:41], v[38:39], off
	v_dual_fmac_f32 v14, v21, v32 :: v_dual_add_nc_u32 v5, 4, v58
	global_load_b128 v[42:45], v[42:43], off
	v_lshlrev_b64 v[46:47], 3, v[5:6]
	v_dual_fmac_f32 v14, v20, v33 :: v_dual_add_nc_u32 v5, -8, v3
	s_delay_alu instid0(VALU_DEP_1) | instskip(NEXT) | instid1(VALU_DEP_3)
	v_lshlrev_b64 v[48:49], 3, v[5:6]
	v_add_co_u32 v46, s3, s10, v46
	s_delay_alu instid0(VALU_DEP_1) | instskip(SKIP_1) | instid1(VALU_DEP_4)
	v_add_co_ci_u32_e64 v47, s3, s11, v47, s3
	v_add_nc_u32_e32 v5, -6, v3
	v_add_co_u32 v50, s3, s8, v48
	s_delay_alu instid0(VALU_DEP_1)
	v_add_co_ci_u32_e64 v51, s3, s9, v49, s3
	global_load_b128 v[46:49], v[46:47], off
	v_lshlrev_b64 v[54:55], 3, v[5:6]
	s_waitcnt vmcnt(3)
	v_fmac_f32_e32 v14, v29, v34
	global_load_b128 v[50:53], v[50:51], off
	v_dual_fmac_f32 v14, v28, v35 :: v_dual_add_nc_u32 v5, 6, v58
	v_add_co_u32 v54, s3, s8, v54
	s_delay_alu instid0(VALU_DEP_2) | instskip(SKIP_2) | instid1(VALU_DEP_3)
	v_lshlrev_b64 v[56:57], 3, v[5:6]
	v_add_nc_u32_e32 v5, -4, v3
	v_add_co_ci_u32_e64 v55, s3, s9, v55, s3
	v_add_co_u32 v59, s3, s10, v56
	s_delay_alu instid0(VALU_DEP_3)
	v_lshlrev_b64 v[62:63], 3, v[5:6]
	v_add_nc_u32_e32 v5, -2, v3
	v_add_co_ci_u32_e64 v60, s3, s11, v57, s3
	global_load_b128 v[54:57], v[54:55], off
	v_add_nc_u32_e32 v3, 0x280, v3
	v_add_co_u32 v62, s3, s8, v62
	s_delay_alu instid0(VALU_DEP_1)
	v_add_co_ci_u32_e64 v63, s3, s9, v63, s3
	global_load_b128 v[62:65], v[62:63], off
	s_waitcnt vmcnt(5)
	v_fmac_f32_e32 v14, v41, v36
	v_lshlrev_b64 v[66:67], 3, v[5:6]
	v_add_nc_u32_e32 v5, 8, v58
	global_load_b128 v[58:61], v[59:60], off
	v_fmac_f32_e32 v14, v40, v37
	v_lshlrev_b64 v[4:5], 3, v[5:6]
	v_add_co_u32 v66, s3, s8, v66
	s_delay_alu instid0(VALU_DEP_1) | instskip(NEXT) | instid1(VALU_DEP_3)
	v_add_co_ci_u32_e64 v67, s3, s9, v67, s3
	v_add_co_u32 v4, s3, s10, v4
	s_delay_alu instid0(VALU_DEP_1)
	v_add_co_ci_u32_e64 v5, s3, s11, v5, s3
	global_load_b128 v[66:69], v[66:67], off
	global_load_b128 v[70:73], v[4:5], off
	;; [unrolled: 1-line block ×3, first 2 shown]
	v_fma_f32 v4, -v23, v31, v16
	s_waitcnt vmcnt(7)
	v_fmac_f32_e32 v14, v45, v46
	s_delay_alu instid0(VALU_DEP_2) | instskip(NEXT) | instid1(VALU_DEP_2)
	v_dual_fmac_f32 v13, v23, v30 :: v_dual_fmac_f32 v4, v18, v32
	v_fmac_f32_e32 v14, v44, v47
	s_delay_alu instid0(VALU_DEP_2) | instskip(NEXT) | instid1(VALU_DEP_3)
	v_fmac_f32_e32 v13, v22, v31
	v_fma_f32 v4, -v19, v33, v4
	s_waitcnt vmcnt(6)
	s_delay_alu instid0(VALU_DEP_3) | instskip(NEXT) | instid1(VALU_DEP_2)
	v_fmac_f32_e32 v14, v53, v48
	v_fmac_f32_e32 v4, v26, v34
	s_delay_alu instid0(VALU_DEP_2) | instskip(NEXT) | instid1(VALU_DEP_2)
	v_fmac_f32_e32 v14, v52, v49
	v_fma_f32 v4, -v27, v35, v4
	s_delay_alu instid0(VALU_DEP_1) | instskip(NEXT) | instid1(VALU_DEP_1)
	v_fmac_f32_e32 v4, v38, v36
	v_fma_f32 v4, -v39, v37, v4
	s_delay_alu instid0(VALU_DEP_1) | instskip(NEXT) | instid1(VALU_DEP_1)
	v_dual_fmac_f32 v13, v19, v32 :: v_dual_fmac_f32 v4, v42, v46
	v_fmac_f32_e32 v13, v18, v33
	s_delay_alu instid0(VALU_DEP_2) | instskip(NEXT) | instid1(VALU_DEP_1)
	v_fma_f32 v4, -v43, v47, v4
	v_dual_fmac_f32 v17, v24, v30 :: v_dual_fmac_f32 v4, v50, v48
	s_delay_alu instid0(VALU_DEP_1) | instskip(NEXT) | instid1(VALU_DEP_2)
	v_fma_f32 v5, -v25, v31, v17
	v_fma_f32 v4, -v51, v49, v4
	s_waitcnt vmcnt(3)
	s_delay_alu instid0(VALU_DEP_1) | instskip(NEXT) | instid1(VALU_DEP_1)
	v_dual_fmac_f32 v5, v20, v32 :: v_dual_fmac_f32 v4, v54, v58
	v_fma_f32 v5, -v21, v33, v5
	v_fmac_f32_e32 v14, v57, v58
	v_fmac_f32_e32 v13, v27, v34
	s_delay_alu instid0(VALU_DEP_4) | instskip(NEXT) | instid1(VALU_DEP_4)
	v_fma_f32 v4, -v55, v59, v4
	v_fmac_f32_e32 v5, v28, v34
	s_delay_alu instid0(VALU_DEP_4) | instskip(NEXT) | instid1(VALU_DEP_4)
	v_fmac_f32_e32 v14, v56, v59
	v_fmac_f32_e32 v13, v26, v35
	s_delay_alu instid0(VALU_DEP_4) | instskip(NEXT) | instid1(VALU_DEP_4)
	v_fmac_f32_e32 v4, v62, v60
	v_fma_f32 v5, -v29, v35, v5
	s_delay_alu instid0(VALU_DEP_4) | instskip(NEXT) | instid1(VALU_DEP_4)
	v_fmac_f32_e32 v14, v65, v60
	v_fmac_f32_e32 v13, v39, v36
	s_delay_alu instid0(VALU_DEP_4) | instskip(NEXT) | instid1(VALU_DEP_4)
	v_fma_f32 v4, -v63, v61, v4
	v_fmac_f32_e32 v5, v40, v36
	s_delay_alu instid0(VALU_DEP_4) | instskip(NEXT) | instid1(VALU_DEP_4)
	v_fmac_f32_e32 v14, v64, v61
	v_fmac_f32_e32 v13, v38, v37
	s_waitcnt vmcnt(1)
	v_fmac_f32_e32 v4, v66, v70
	v_fma_f32 v5, -v41, v37, v5
	v_fmac_f32_e32 v14, v69, v70
	v_fmac_f32_e32 v13, v43, v46
	s_delay_alu instid0(VALU_DEP_4) | instskip(NEXT) | instid1(VALU_DEP_4)
	v_fma_f32 v4, -v67, v71, v4
	v_fmac_f32_e32 v5, v44, v46
	s_delay_alu instid0(VALU_DEP_4) | instskip(NEXT) | instid1(VALU_DEP_4)
	v_fmac_f32_e32 v14, v68, v71
	v_fmac_f32_e32 v13, v42, v47
	s_waitcnt vmcnt(0)
	v_fmac_f32_e32 v4, v74, v72
	v_fma_f32 v5, -v45, v47, v5
	v_fmac_f32_e32 v14, v77, v72
	v_fmac_f32_e32 v13, v51, v48
	s_delay_alu instid0(VALU_DEP_4) | instskip(NEXT) | instid1(VALU_DEP_4)
	v_fma_f32 v16, -v75, v73, v4
	v_fmac_f32_e32 v5, v52, v48
	s_delay_alu instid0(VALU_DEP_4) | instskip(NEXT) | instid1(VALU_DEP_4)
	v_fmac_f32_e32 v14, v76, v73
	v_fmac_f32_e32 v13, v50, v49
	s_delay_alu instid0(VALU_DEP_3) | instskip(NEXT) | instid1(VALU_DEP_2)
	v_fma_f32 v5, -v53, v49, v5
	v_fmac_f32_e32 v13, v55, v58
	s_delay_alu instid0(VALU_DEP_2) | instskip(NEXT) | instid1(VALU_DEP_2)
	v_fmac_f32_e32 v5, v56, v58
	v_fmac_f32_e32 v13, v54, v59
	s_delay_alu instid0(VALU_DEP_2) | instskip(NEXT) | instid1(VALU_DEP_2)
	v_fma_f32 v5, -v57, v59, v5
	v_fmac_f32_e32 v13, v63, v60
	s_delay_alu instid0(VALU_DEP_2) | instskip(NEXT) | instid1(VALU_DEP_2)
	v_fmac_f32_e32 v5, v64, v60
	v_fmac_f32_e32 v13, v62, v61
	s_delay_alu instid0(VALU_DEP_2) | instskip(NEXT) | instid1(VALU_DEP_2)
	;; [unrolled: 6-line block ×3, first 2 shown]
	v_fma_f32 v5, -v69, v71, v5
	v_fmac_f32_e32 v13, v75, v72
	s_delay_alu instid0(VALU_DEP_2) | instskip(NEXT) | instid1(VALU_DEP_2)
	v_fmac_f32_e32 v5, v76, v72
	v_fmac_f32_e32 v13, v74, v73
	s_delay_alu instid0(VALU_DEP_2)
	v_fma_f32 v17, -v77, v73, v5
	s_and_not1_b32 exec_lo, exec_lo, s13
	s_cbranch_execnz .LBB195_12
; %bb.13:
	s_or_b32 exec_lo, exec_lo, s13
.LBB195_14:
	s_delay_alu instid0(SALU_CYCLE_1) | instskip(NEXT) | instid1(SALU_CYCLE_1)
	s_or_b32 exec_lo, exec_lo, s5
	s_and_not1_b32 vcc_lo, exec_lo, s4
	s_cbranch_vccz .LBB195_19
	s_branch .LBB195_24
.LBB195_15:
	v_dual_mov_b32 v1, s4 :: v_dual_mov_b32 v2, s5
	flat_load_b32 v9, v[1:2]
	v_cndmask_b32_e64 v1, 0, 1, s6
	v_mov_b32_e32 v10, s5
	s_and_not1_b32 vcc_lo, exec_lo, s6
	s_cbranch_vccnz .LBB195_2
.LBB195_16:
	v_dual_mov_b32 v2, s4 :: v_dual_mov_b32 v3, s5
	flat_load_b32 v10, v[2:3] offset:4
	v_cmp_ne_u32_e32 vcc_lo, 1, v1
	v_mov_b32_e32 v11, s2
	s_cbranch_vccnz .LBB195_3
.LBB195_17:
	v_dual_mov_b32 v2, s2 :: v_dual_mov_b32 v3, s3
	flat_load_b32 v11, v[2:3]
	v_cmp_ne_u32_e32 vcc_lo, 1, v1
	v_mov_b32_e32 v12, s3
	s_cbranch_vccz .LBB195_4
	s_branch .LBB195_5
.LBB195_18:
                                        ; implicit-def: $vgpr13
                                        ; implicit-def: $vgpr16
                                        ; implicit-def: $vgpr17
                                        ; implicit-def: $vgpr14
.LBB195_19:
	v_dual_mov_b32 v13, 0 :: v_dual_mov_b32 v16, 0
	v_dual_mov_b32 v17, 0 :: v_dual_mov_b32 v14, 0
	s_delay_alu instid0(VALU_DEP_3)
	s_and_saveexec_b32 s3, s2
	s_cbranch_execz .LBB195_23
; %bb.20:
	v_mad_u64_u32 v[4:5], null, v2, 20, 19
	v_dual_mov_b32 v7, 0 :: v_dual_mov_b32 v16, 0
	v_dual_mov_b32 v13, 0 :: v_dual_mov_b32 v14, 0
	v_mov_b32_e32 v17, 0
	s_mov_b32 s2, 0
.LBB195_21:                             ; =>This Inner Loop Header: Depth=1
	v_ashrrev_i32_e32 v3, 31, v2
	v_dual_mov_b32 v43, v7 :: v_dual_add_nc_u32 v18, -9, v4
	v_mov_b32_e32 v19, v7
	s_delay_alu instid0(VALU_DEP_3) | instskip(SKIP_1) | instid1(VALU_DEP_2)
	v_lshlrev_b64 v[5:6], 2, v[2:3]
	v_add_nc_u32_e32 v2, 32, v2
	v_add_co_u32 v5, vcc_lo, s6, v5
	s_delay_alu instid0(VALU_DEP_3) | instskip(SKIP_2) | instid1(VALU_DEP_1)
	v_add_co_ci_u32_e32 v6, vcc_lo, s7, v6, vcc_lo
	global_load_b32 v3, v[5:6], off
	v_subrev_nc_u32_e32 v6, 19, v4
	v_lshlrev_b64 v[20:21], 3, v[6:7]
	v_add_nc_u32_e32 v6, -8, v4
	v_lshlrev_b64 v[18:19], 3, v[18:19]
	s_delay_alu instid0(VALU_DEP_3) | instskip(NEXT) | instid1(VALU_DEP_4)
	v_add_co_u32 v24, vcc_lo, s8, v20
	v_add_co_ci_u32_e32 v25, vcc_lo, s9, v21, vcc_lo
	s_delay_alu instid0(VALU_DEP_3) | instskip(NEXT) | instid1(VALU_DEP_4)
	v_add_co_u32 v26, vcc_lo, s8, v18
	v_add_co_ci_u32_e32 v27, vcc_lo, s9, v19, vcc_lo
	s_waitcnt vmcnt(0)
	v_subrev_nc_u32_e32 v3, s12, v3
	s_delay_alu instid0(VALU_DEP_1) | instskip(SKIP_1) | instid1(VALU_DEP_1)
	v_mul_lo_u32 v42, v3, 10
	v_mov_b32_e32 v5, v7
	v_lshlrev_b64 v[22:23], 3, v[4:5]
	v_lshlrev_b64 v[5:6], 3, v[6:7]
	s_delay_alu instid0(VALU_DEP_2) | instskip(NEXT) | instid1(VALU_DEP_3)
	v_add_co_u32 v46, vcc_lo, s8, v22
	v_add_co_ci_u32_e32 v47, vcc_lo, s9, v23, vcc_lo
	s_delay_alu instid0(VALU_DEP_3) | instskip(NEXT) | instid1(VALU_DEP_4)
	v_add_co_u32 v5, vcc_lo, s8, v5
	v_add_co_ci_u32_e32 v6, vcc_lo, s9, v6, vcc_lo
	s_clause 0x3
	global_load_b128 v[18:21], v[24:25], off offset:16
	global_load_b128 v[22:25], v[24:25], off
	global_load_b64 v[48:49], v[26:27], off
	global_load_b64 v[50:51], v[5:6], off
	v_add_nc_u32_e32 v6, 2, v42
	v_lshlrev_b64 v[26:27], 3, v[42:43]
	s_delay_alu instid0(VALU_DEP_2) | instskip(NEXT) | instid1(VALU_DEP_2)
	v_lshlrev_b64 v[30:31], 3, v[6:7]
	v_add_co_u32 v26, vcc_lo, s10, v26
	s_delay_alu instid0(VALU_DEP_3) | instskip(NEXT) | instid1(VALU_DEP_3)
	v_add_co_ci_u32_e32 v27, vcc_lo, s11, v27, vcc_lo
	v_add_co_u32 v30, vcc_lo, s10, v30
	s_delay_alu instid0(VALU_DEP_4) | instskip(SKIP_2) | instid1(VALU_DEP_1)
	v_add_co_ci_u32_e32 v31, vcc_lo, s11, v31, vcc_lo
	global_load_b128 v[26:29], v[26:27], off
	v_add_nc_u32_e32 v6, -7, v4
	v_lshlrev_b64 v[32:33], 3, v[6:7]
	s_delay_alu instid0(VALU_DEP_1) | instskip(NEXT) | instid1(VALU_DEP_2)
	v_add_co_u32 v36, vcc_lo, s8, v32
	v_add_co_ci_u32_e32 v37, vcc_lo, s9, v33, vcc_lo
	global_load_b128 v[30:33], v[30:31], off
	v_add_nc_u32_e32 v6, -6, v4
	global_load_b64 v[52:53], v[36:37], off
	s_waitcnt vmcnt(2)
	v_fmac_f32_e32 v13, v23, v26
	v_fmac_f32_e32 v17, v48, v26
	v_lshlrev_b64 v[34:35], 3, v[6:7]
	s_delay_alu instid0(VALU_DEP_3) | instskip(SKIP_1) | instid1(VALU_DEP_4)
	v_dual_fmac_f32 v13, v22, v27 :: v_dual_add_nc_u32 v6, -15, v4
	v_fmac_f32_e32 v16, v22, v26
	v_fma_f32 v8, -v49, v27, v17
	s_delay_alu instid0(VALU_DEP_3) | instskip(SKIP_3) | instid1(VALU_DEP_4)
	v_lshlrev_b64 v[38:39], 3, v[6:7]
	v_add_co_u32 v34, vcc_lo, s8, v34
	v_fmac_f32_e32 v13, v25, v28
	v_add_co_ci_u32_e32 v35, vcc_lo, s9, v35, vcc_lo
	v_add_co_u32 v38, vcc_lo, s8, v38
	v_add_co_ci_u32_e32 v39, vcc_lo, s9, v39, vcc_lo
	v_fma_f32 v3, -v23, v27, v16
	v_dual_fmac_f32 v13, v24, v29 :: v_dual_add_nc_u32 v6, 4, v42
	s_clause 0x1
	global_load_b64 v[56:57], v[38:39], off
	global_load_b64 v[54:55], v[34:35], off
	v_fmac_f32_e32 v3, v24, v28
	v_lshlrev_b64 v[36:37], 3, v[6:7]
	s_waitcnt vmcnt(3)
	v_dual_fmac_f32 v13, v19, v30 :: v_dual_add_nc_u32 v6, -5, v4
	s_delay_alu instid0(VALU_DEP_3) | instskip(NEXT) | instid1(VALU_DEP_2)
	v_fma_f32 v3, -v25, v29, v3
	v_lshlrev_b64 v[34:35], 3, v[6:7]
	s_delay_alu instid0(VALU_DEP_4) | instskip(SKIP_1) | instid1(VALU_DEP_4)
	v_add_co_u32 v36, vcc_lo, s10, v36
	v_add_co_ci_u32_e32 v37, vcc_lo, s11, v37, vcc_lo
	v_dual_fmac_f32 v3, v18, v30 :: v_dual_add_nc_u32 v6, -14, v4
	s_delay_alu instid0(VALU_DEP_4)
	v_add_co_u32 v40, vcc_lo, s8, v34
	v_add_co_ci_u32_e32 v41, vcc_lo, s9, v35, vcc_lo
	global_load_b128 v[34:37], v[36:37], off
	v_lshlrev_b64 v[38:39], 3, v[6:7]
	v_add_nc_u32_e32 v6, -4, v4
	global_load_b64 v[58:59], v[40:41], off
	v_fma_f32 v3, -v19, v31, v3
	v_fmac_f32_e32 v13, v18, v31
	v_lshlrev_b64 v[43:44], 3, v[6:7]
	v_add_co_u32 v38, vcc_lo, s8, v38
	v_add_co_ci_u32_e32 v39, vcc_lo, s9, v39, vcc_lo
	v_add_nc_u32_e32 v6, -13, v4
	s_delay_alu instid0(VALU_DEP_4)
	v_add_co_u32 v43, vcc_lo, s8, v43
	v_add_co_ci_u32_e32 v44, vcc_lo, s9, v44, vcc_lo
	v_fmac_f32_e32 v3, v20, v32
	v_fmac_f32_e32 v13, v21, v32
	s_clause 0x1
	global_load_b64 v[62:63], v[43:44], off
	global_load_b64 v[60:61], v[38:39], off
	v_lshlrev_b64 v[40:41], 3, v[6:7]
	v_add_nc_u32_e32 v6, 6, v42
	v_fma_f32 v3, -v21, v33, v3
	v_fmac_f32_e32 v13, v20, v33
	s_delay_alu instid0(VALU_DEP_3) | instskip(SKIP_3) | instid1(VALU_DEP_3)
	v_lshlrev_b64 v[38:39], 3, v[6:7]
	v_add_nc_u32_e32 v6, -3, v4
	v_add_co_u32 v40, vcc_lo, s8, v40
	v_add_co_ci_u32_e32 v41, vcc_lo, s9, v41, vcc_lo
	v_lshlrev_b64 v[43:44], 3, v[6:7]
	v_add_nc_u32_e32 v6, -12, v4
	v_add_co_u32 v38, vcc_lo, s10, v38
	v_add_co_ci_u32_e32 v39, vcc_lo, s11, v39, vcc_lo
	s_delay_alu instid0(VALU_DEP_4)
	v_add_co_u32 v43, vcc_lo, s8, v43
	v_add_co_ci_u32_e32 v44, vcc_lo, s9, v44, vcc_lo
	s_clause 0x1
	global_load_b64 v[64:65], v[40:41], off
	global_load_b64 v[70:71], v[43:44], off
	s_waitcnt vmcnt(5)
	v_fmac_f32_e32 v3, v56, v34
	v_lshlrev_b64 v[66:67], 3, v[6:7]
	v_dual_fmac_f32 v13, v57, v34 :: v_dual_add_nc_u32 v6, -2, v4
	s_delay_alu instid0(VALU_DEP_3) | instskip(NEXT) | instid1(VALU_DEP_2)
	v_fma_f32 v3, -v57, v35, v3
	v_lshlrev_b64 v[68:69], 3, v[6:7]
	s_delay_alu instid0(VALU_DEP_4) | instskip(SKIP_2) | instid1(VALU_DEP_4)
	v_add_co_u32 v66, vcc_lo, s8, v66
	v_add_co_ci_u32_e32 v67, vcc_lo, s9, v67, vcc_lo
	v_dual_fmac_f32 v13, v56, v35 :: v_dual_add_nc_u32 v6, -11, v4
	v_add_co_u32 v68, vcc_lo, s8, v68
	v_add_co_ci_u32_e32 v69, vcc_lo, s9, v69, vcc_lo
	s_clause 0x1
	global_load_b64 v[66:67], v[66:67], off
	global_load_b64 v[68:69], v[68:69], off
	v_lshlrev_b64 v[43:44], 3, v[6:7]
	s_waitcnt vmcnt(4)
	v_dual_fmac_f32 v3, v60, v36 :: v_dual_add_nc_u32 v6, 8, v42
	v_fmac_f32_e32 v13, v61, v36
	s_delay_alu instid0(VALU_DEP_3) | instskip(NEXT) | instid1(VALU_DEP_4)
	v_add_co_u32 v42, vcc_lo, s8, v43
	v_add_co_ci_u32_e32 v43, vcc_lo, s9, v44, vcc_lo
	s_delay_alu instid0(VALU_DEP_4) | instskip(NEXT) | instid1(VALU_DEP_4)
	v_lshlrev_b64 v[72:73], 3, v[6:7]
	v_dual_fmac_f32 v13, v60, v37 :: v_dual_add_nc_u32 v6, -1, v4
	global_load_b64 v[74:75], v[42:43], off
	global_load_b128 v[38:41], v[38:39], off
	v_fma_f32 v3, -v61, v37, v3
	v_lshlrev_b64 v[44:45], 3, v[6:7]
	v_add_co_u32 v42, vcc_lo, s10, v72
	v_add_co_ci_u32_e32 v43, vcc_lo, s11, v73, vcc_lo
	v_add_nc_u32_e32 v6, -10, v4
	s_delay_alu instid0(VALU_DEP_4)
	v_add_co_u32 v72, vcc_lo, s8, v44
	v_add_co_ci_u32_e32 v73, vcc_lo, s9, v45, vcc_lo
	global_load_b128 v[42:45], v[42:43], off
	global_load_b64 v[72:73], v[72:73], off
	v_fmac_f32_e32 v8, v50, v28
	s_waitcnt vmcnt(2)
	v_dual_fmac_f32 v13, v65, v38 :: v_dual_add_nc_u32 v4, 0x280, v4
	v_fmac_f32_e32 v3, v64, v38
	v_lshlrev_b64 v[5:6], 3, v[6:7]
	v_fmac_f32_e32 v14, v49, v26
	v_fma_f32 v8, -v51, v29, v8
	v_fmac_f32_e32 v13, v64, v39
	v_fma_f32 v3, -v65, v39, v3
	v_add_co_u32 v5, vcc_lo, s8, v5
	v_add_co_ci_u32_e32 v6, vcc_lo, s9, v6, vcc_lo
	s_clause 0x1
	global_load_b64 v[5:6], v[5:6], off
	global_load_b64 v[46:47], v[46:47], off
	v_dual_fmac_f32 v14, v48, v27 :: v_dual_fmac_f32 v3, v66, v40
	v_dual_fmac_f32 v8, v52, v30 :: v_dual_fmac_f32 v13, v67, v40
	v_cmp_ge_i32_e32 vcc_lo, v2, v15
	s_delay_alu instid0(VALU_DEP_3) | instskip(NEXT) | instid1(VALU_DEP_4)
	v_fmac_f32_e32 v14, v51, v28
	v_fma_f32 v3, -v67, v41, v3
	s_delay_alu instid0(VALU_DEP_4)
	v_fma_f32 v8, -v53, v31, v8
	v_fmac_f32_e32 v13, v66, v41
	s_or_b32 s2, vcc_lo, s2
	v_fmac_f32_e32 v14, v50, v29
	s_waitcnt vmcnt(3)
	v_fmac_f32_e32 v3, v74, v42
	v_fmac_f32_e32 v13, v75, v42
	s_delay_alu instid0(VALU_DEP_3) | instskip(NEXT) | instid1(VALU_DEP_3)
	v_fmac_f32_e32 v14, v53, v30
	v_fma_f32 v3, -v75, v43, v3
	s_delay_alu instid0(VALU_DEP_3) | instskip(NEXT) | instid1(VALU_DEP_3)
	v_fmac_f32_e32 v13, v74, v43
	v_fmac_f32_e32 v14, v52, v31
	s_delay_alu instid0(VALU_DEP_1) | instskip(NEXT) | instid1(VALU_DEP_1)
	v_fmac_f32_e32 v14, v55, v32
	v_fmac_f32_e32 v14, v54, v33
	s_waitcnt vmcnt(1)
	s_delay_alu instid0(VALU_DEP_1) | instskip(SKIP_1) | instid1(VALU_DEP_2)
	v_dual_fmac_f32 v14, v59, v34 :: v_dual_fmac_f32 v13, v6, v44
	v_fmac_f32_e32 v8, v54, v32
	v_dual_fmac_f32 v14, v58, v35 :: v_dual_fmac_f32 v3, v5, v44
	s_delay_alu instid0(VALU_DEP_3) | instskip(NEXT) | instid1(VALU_DEP_3)
	v_fmac_f32_e32 v13, v5, v45
	v_fma_f32 v8, -v55, v33, v8
	s_delay_alu instid0(VALU_DEP_3) | instskip(NEXT) | instid1(VALU_DEP_4)
	v_fmac_f32_e32 v14, v63, v36
	v_fma_f32 v16, -v6, v45, v3
	s_delay_alu instid0(VALU_DEP_3) | instskip(NEXT) | instid1(VALU_DEP_3)
	v_fmac_f32_e32 v8, v58, v34
	v_fmac_f32_e32 v14, v62, v37
	s_delay_alu instid0(VALU_DEP_2) | instskip(NEXT) | instid1(VALU_DEP_2)
	v_fma_f32 v8, -v59, v35, v8
	v_fmac_f32_e32 v14, v71, v38
	s_delay_alu instid0(VALU_DEP_2) | instskip(NEXT) | instid1(VALU_DEP_2)
	v_fmac_f32_e32 v8, v62, v36
	v_fmac_f32_e32 v14, v70, v39
	s_delay_alu instid0(VALU_DEP_2) | instskip(NEXT) | instid1(VALU_DEP_2)
	v_fma_f32 v8, -v63, v37, v8
	v_fmac_f32_e32 v14, v69, v40
	s_delay_alu instid0(VALU_DEP_2) | instskip(NEXT) | instid1(VALU_DEP_2)
	;; [unrolled: 6-line block ×3, first 2 shown]
	v_fmac_f32_e32 v8, v68, v40
	v_fmac_f32_e32 v14, v72, v43
	s_delay_alu instid0(VALU_DEP_2) | instskip(SKIP_1) | instid1(VALU_DEP_2)
	v_fma_f32 v8, -v69, v41, v8
	s_waitcnt vmcnt(0)
	v_fmac_f32_e32 v14, v47, v44
	s_delay_alu instid0(VALU_DEP_2) | instskip(NEXT) | instid1(VALU_DEP_2)
	v_fmac_f32_e32 v8, v72, v42
	v_fmac_f32_e32 v14, v46, v45
	s_delay_alu instid0(VALU_DEP_2) | instskip(NEXT) | instid1(VALU_DEP_1)
	v_fma_f32 v8, -v73, v43, v8
	v_fmac_f32_e32 v8, v46, v44
	s_delay_alu instid0(VALU_DEP_1)
	v_fma_f32 v17, -v47, v45, v8
	s_and_not1_b32 exec_lo, exec_lo, s2
	s_cbranch_execnz .LBB195_21
; %bb.22:
	s_or_b32 exec_lo, exec_lo, s2
.LBB195_23:
	s_delay_alu instid0(SALU_CYCLE_1)
	s_or_b32 exec_lo, exec_lo, s3
.LBB195_24:
	v_mbcnt_lo_u32_b32 v2, -1, 0
	s_delay_alu instid0(VALU_DEP_1) | instskip(SKIP_2) | instid1(VALU_DEP_3)
	v_xor_b32_e32 v3, 16, v2
	v_xor_b32_e32 v7, 8, v2
	;; [unrolled: 1-line block ×3, first 2 shown]
	v_cmp_gt_i32_e32 vcc_lo, 32, v3
	v_cndmask_b32_e32 v3, v2, v3, vcc_lo
	s_delay_alu instid0(VALU_DEP_4) | instskip(NEXT) | instid1(VALU_DEP_2)
	v_cmp_gt_i32_e32 vcc_lo, 32, v7
	v_lshlrev_b32_e32 v3, 2, v3
	ds_bpermute_b32 v6, v3, v17
	s_waitcnt lgkmcnt(0)
	v_add_f32_e32 v6, v17, v6
	ds_bpermute_b32 v4, v3, v16
	ds_bpermute_b32 v5, v3, v13
	;; [unrolled: 1-line block ×3, first 2 shown]
	s_waitcnt lgkmcnt(2)
	v_dual_add_f32 v4, v16, v4 :: v_dual_cndmask_b32 v7, v2, v7
	s_waitcnt lgkmcnt(0)
	v_add_f32_e32 v3, v14, v3
	v_cmp_gt_i32_e32 vcc_lo, 32, v15
	s_delay_alu instid0(VALU_DEP_3)
	v_lshlrev_b32_e32 v7, 2, v7
	v_cndmask_b32_e32 v15, v2, v15, vcc_lo
	ds_bpermute_b32 v14, v7, v6
	s_waitcnt lgkmcnt(0)
	v_add_f32_e32 v6, v6, v14
	ds_bpermute_b32 v8, v7, v4
	s_waitcnt lgkmcnt(0)
	v_dual_add_f32 v4, v4, v8 :: v_dual_lshlrev_b32 v15, 2, v15
	v_add_f32_e32 v5, v13, v5
	ds_bpermute_b32 v13, v7, v5
	ds_bpermute_b32 v7, v7, v3
	s_waitcnt lgkmcnt(0)
	v_add_f32_e32 v3, v3, v7
	ds_bpermute_b32 v7, v15, v4
	s_waitcnt lgkmcnt(0)
	v_dual_add_f32 v4, v4, v7 :: v_dual_add_f32 v5, v5, v13
	ds_bpermute_b32 v13, v15, v6
	s_waitcnt lgkmcnt(0)
	v_add_f32_e32 v6, v6, v13
	ds_bpermute_b32 v8, v15, v5
	ds_bpermute_b32 v14, v15, v3
	v_xor_b32_e32 v15, 2, v2
	s_delay_alu instid0(VALU_DEP_1) | instskip(SKIP_1) | instid1(VALU_DEP_1)
	v_cmp_gt_i32_e32 vcc_lo, 32, v15
	v_cndmask_b32_e32 v15, v2, v15, vcc_lo
	v_lshlrev_b32_e32 v15, 2, v15
	s_waitcnt lgkmcnt(0)
	v_add_f32_e32 v3, v3, v14
	ds_bpermute_b32 v7, v15, v4
	v_add_f32_e32 v5, v5, v8
	ds_bpermute_b32 v13, v15, v6
	ds_bpermute_b32 v14, v15, v3
	s_waitcnt lgkmcnt(2)
	v_add_f32_e32 v4, v4, v7
	ds_bpermute_b32 v8, v15, v5
	v_xor_b32_e32 v15, 1, v2
	s_waitcnt lgkmcnt(1)
	v_add_f32_e32 v3, v3, v14
	s_delay_alu instid0(VALU_DEP_2) | instskip(SKIP_2) | instid1(VALU_DEP_2)
	v_cmp_gt_i32_e32 vcc_lo, 32, v15
	v_cndmask_b32_e32 v2, v2, v15, vcc_lo
	v_cmp_eq_u32_e32 vcc_lo, 31, v0
	v_dual_add_f32 v2, v6, v13 :: v_dual_lshlrev_b32 v15, 2, v2
	s_waitcnt lgkmcnt(0)
	v_add_f32_e32 v5, v5, v8
	ds_bpermute_b32 v8, v15, v4
	ds_bpermute_b32 v6, v15, v2
	ds_bpermute_b32 v7, v15, v3
	ds_bpermute_b32 v13, v15, v5
	s_and_b32 exec_lo, exec_lo, vcc_lo
	s_cbranch_execz .LBB195_29
; %bb.25:
	s_load_b64 s[2:3], s[0:1], 0x38
	v_cmp_eq_f32_e32 vcc_lo, 0, v11
	v_cmp_eq_f32_e64 s0, 0, v12
	s_waitcnt lgkmcnt(0)
	v_dual_add_f32 v0, v4, v8 :: v_dual_add_f32 v3, v3, v7
	v_add_f32_e32 v4, v5, v13
	v_add_f32_e32 v2, v2, v6
	s_and_b32 s0, vcc_lo, s0
	s_delay_alu instid0(SALU_CYCLE_1) | instskip(NEXT) | instid1(SALU_CYCLE_1)
	s_and_saveexec_b32 s1, s0
	s_xor_b32 s0, exec_lo, s1
	s_cbranch_execz .LBB195_27
; %bb.26:
	v_mul_f32_e64 v5, v4, -v10
	v_mul_f32_e32 v6, v4, v9
	v_mul_f32_e64 v7, v3, -v10
	v_mul_f32_e32 v8, v3, v9
                                        ; implicit-def: $vgpr4
                                        ; implicit-def: $vgpr3
	s_delay_alu instid0(VALU_DEP_4) | instskip(NEXT) | instid1(VALU_DEP_4)
	v_fmac_f32_e32 v5, v9, v0
	v_dual_fmac_f32 v6, v10, v0 :: v_dual_lshlrev_b32 v11, 1, v1
	s_delay_alu instid0(VALU_DEP_4) | instskip(NEXT) | instid1(VALU_DEP_4)
	v_fmac_f32_e32 v7, v9, v2
	v_fmac_f32_e32 v8, v10, v2
                                        ; implicit-def: $vgpr9
                                        ; implicit-def: $vgpr10
                                        ; implicit-def: $vgpr2
	s_delay_alu instid0(VALU_DEP_3) | instskip(NEXT) | instid1(VALU_DEP_1)
	v_ashrrev_i32_e32 v12, 31, v11
	v_lshlrev_b64 v[11:12], 3, v[11:12]
	s_delay_alu instid0(VALU_DEP_1) | instskip(NEXT) | instid1(VALU_DEP_2)
	v_add_co_u32 v0, vcc_lo, s2, v11
	v_add_co_ci_u32_e32 v1, vcc_lo, s3, v12, vcc_lo
                                        ; implicit-def: $vgpr11
                                        ; implicit-def: $vgpr12
	global_store_b128 v[0:1], v[5:8], off
                                        ; implicit-def: $vgpr1
                                        ; implicit-def: $vgpr0
.LBB195_27:
	s_and_not1_saveexec_b32 s0, s0
	s_cbranch_execz .LBB195_29
; %bb.28:
	v_lshlrev_b32_e32 v5, 1, v1
	v_mul_f32_e64 v15, v4, -v10
	v_mul_f32_e32 v1, v4, v9
	v_mul_f32_e64 v4, v3, -v10
	v_mul_f32_e32 v3, v3, v9
	s_delay_alu instid0(VALU_DEP_4) | instskip(NEXT) | instid1(VALU_DEP_3)
	v_fmac_f32_e32 v15, v9, v0
	v_fmac_f32_e32 v4, v9, v2
	v_ashrrev_i32_e32 v6, 31, v5
	s_delay_alu instid0(VALU_DEP_4) | instskip(NEXT) | instid1(VALU_DEP_2)
	v_fmac_f32_e32 v3, v10, v2
	v_lshlrev_b64 v[5:6], 3, v[5:6]
	s_delay_alu instid0(VALU_DEP_1) | instskip(NEXT) | instid1(VALU_DEP_2)
	v_add_co_u32 v13, vcc_lo, s2, v5
	v_add_co_ci_u32_e32 v14, vcc_lo, s3, v6, vcc_lo
	global_load_b128 v[5:8], v[13:14], off
	s_waitcnt vmcnt(0)
	v_dual_fmac_f32 v4, v11, v7 :: v_dual_fmac_f32 v1, v10, v0
	v_fmac_f32_e32 v15, v11, v5
	v_fmac_f32_e32 v3, v12, v7
	s_delay_alu instid0(VALU_DEP_3) | instskip(NEXT) | instid1(VALU_DEP_4)
	v_fma_f32 v2, -v12, v8, v4
	v_fmac_f32_e32 v1, v12, v5
	s_delay_alu instid0(VALU_DEP_4) | instskip(NEXT) | instid1(VALU_DEP_4)
	v_fma_f32 v0, -v12, v6, v15
	v_fmac_f32_e32 v3, v11, v8
	s_delay_alu instid0(VALU_DEP_3)
	v_fmac_f32_e32 v1, v11, v6
	global_store_b128 v[13:14], v[0:3], off
.LBB195_29:
	s_nop 0
	s_sendmsg sendmsg(MSG_DEALLOC_VGPRS)
	s_endpgm
	.section	.rodata,"a",@progbits
	.p2align	6, 0x0
	.amdhsa_kernel _ZN9rocsparseL19gebsrmvn_2xn_kernelILj128ELj10ELj32E21rocsparse_complex_numIfEEEvi20rocsparse_direction_NS_24const_host_device_scalarIT2_EEPKiS8_PKS5_SA_S6_PS5_21rocsparse_index_base_b
		.amdhsa_group_segment_fixed_size 0
		.amdhsa_private_segment_fixed_size 0
		.amdhsa_kernarg_size 72
		.amdhsa_user_sgpr_count 15
		.amdhsa_user_sgpr_dispatch_ptr 0
		.amdhsa_user_sgpr_queue_ptr 0
		.amdhsa_user_sgpr_kernarg_segment_ptr 1
		.amdhsa_user_sgpr_dispatch_id 0
		.amdhsa_user_sgpr_private_segment_size 0
		.amdhsa_wavefront_size32 1
		.amdhsa_uses_dynamic_stack 0
		.amdhsa_enable_private_segment 0
		.amdhsa_system_sgpr_workgroup_id_x 1
		.amdhsa_system_sgpr_workgroup_id_y 0
		.amdhsa_system_sgpr_workgroup_id_z 0
		.amdhsa_system_sgpr_workgroup_info 0
		.amdhsa_system_vgpr_workitem_id 0
		.amdhsa_next_free_vgpr 78
		.amdhsa_next_free_sgpr 16
		.amdhsa_reserve_vcc 1
		.amdhsa_float_round_mode_32 0
		.amdhsa_float_round_mode_16_64 0
		.amdhsa_float_denorm_mode_32 3
		.amdhsa_float_denorm_mode_16_64 3
		.amdhsa_dx10_clamp 1
		.amdhsa_ieee_mode 1
		.amdhsa_fp16_overflow 0
		.amdhsa_workgroup_processor_mode 1
		.amdhsa_memory_ordered 1
		.amdhsa_forward_progress 0
		.amdhsa_shared_vgpr_count 0
		.amdhsa_exception_fp_ieee_invalid_op 0
		.amdhsa_exception_fp_denorm_src 0
		.amdhsa_exception_fp_ieee_div_zero 0
		.amdhsa_exception_fp_ieee_overflow 0
		.amdhsa_exception_fp_ieee_underflow 0
		.amdhsa_exception_fp_ieee_inexact 0
		.amdhsa_exception_int_div_zero 0
	.end_amdhsa_kernel
	.section	.text._ZN9rocsparseL19gebsrmvn_2xn_kernelILj128ELj10ELj32E21rocsparse_complex_numIfEEEvi20rocsparse_direction_NS_24const_host_device_scalarIT2_EEPKiS8_PKS5_SA_S6_PS5_21rocsparse_index_base_b,"axG",@progbits,_ZN9rocsparseL19gebsrmvn_2xn_kernelILj128ELj10ELj32E21rocsparse_complex_numIfEEEvi20rocsparse_direction_NS_24const_host_device_scalarIT2_EEPKiS8_PKS5_SA_S6_PS5_21rocsparse_index_base_b,comdat
.Lfunc_end195:
	.size	_ZN9rocsparseL19gebsrmvn_2xn_kernelILj128ELj10ELj32E21rocsparse_complex_numIfEEEvi20rocsparse_direction_NS_24const_host_device_scalarIT2_EEPKiS8_PKS5_SA_S6_PS5_21rocsparse_index_base_b, .Lfunc_end195-_ZN9rocsparseL19gebsrmvn_2xn_kernelILj128ELj10ELj32E21rocsparse_complex_numIfEEEvi20rocsparse_direction_NS_24const_host_device_scalarIT2_EEPKiS8_PKS5_SA_S6_PS5_21rocsparse_index_base_b
                                        ; -- End function
	.section	.AMDGPU.csdata,"",@progbits
; Kernel info:
; codeLenInByte = 3928
; NumSgprs: 18
; NumVgprs: 78
; ScratchSize: 0
; MemoryBound: 0
; FloatMode: 240
; IeeeMode: 1
; LDSByteSize: 0 bytes/workgroup (compile time only)
; SGPRBlocks: 2
; VGPRBlocks: 9
; NumSGPRsForWavesPerEU: 18
; NumVGPRsForWavesPerEU: 78
; Occupancy: 16
; WaveLimiterHint : 1
; COMPUTE_PGM_RSRC2:SCRATCH_EN: 0
; COMPUTE_PGM_RSRC2:USER_SGPR: 15
; COMPUTE_PGM_RSRC2:TRAP_HANDLER: 0
; COMPUTE_PGM_RSRC2:TGID_X_EN: 1
; COMPUTE_PGM_RSRC2:TGID_Y_EN: 0
; COMPUTE_PGM_RSRC2:TGID_Z_EN: 0
; COMPUTE_PGM_RSRC2:TIDIG_COMP_CNT: 0
	.section	.text._ZN9rocsparseL19gebsrmvn_2xn_kernelILj128ELj10ELj64E21rocsparse_complex_numIfEEEvi20rocsparse_direction_NS_24const_host_device_scalarIT2_EEPKiS8_PKS5_SA_S6_PS5_21rocsparse_index_base_b,"axG",@progbits,_ZN9rocsparseL19gebsrmvn_2xn_kernelILj128ELj10ELj64E21rocsparse_complex_numIfEEEvi20rocsparse_direction_NS_24const_host_device_scalarIT2_EEPKiS8_PKS5_SA_S6_PS5_21rocsparse_index_base_b,comdat
	.globl	_ZN9rocsparseL19gebsrmvn_2xn_kernelILj128ELj10ELj64E21rocsparse_complex_numIfEEEvi20rocsparse_direction_NS_24const_host_device_scalarIT2_EEPKiS8_PKS5_SA_S6_PS5_21rocsparse_index_base_b ; -- Begin function _ZN9rocsparseL19gebsrmvn_2xn_kernelILj128ELj10ELj64E21rocsparse_complex_numIfEEEvi20rocsparse_direction_NS_24const_host_device_scalarIT2_EEPKiS8_PKS5_SA_S6_PS5_21rocsparse_index_base_b
	.p2align	8
	.type	_ZN9rocsparseL19gebsrmvn_2xn_kernelILj128ELj10ELj64E21rocsparse_complex_numIfEEEvi20rocsparse_direction_NS_24const_host_device_scalarIT2_EEPKiS8_PKS5_SA_S6_PS5_21rocsparse_index_base_b,@function
_ZN9rocsparseL19gebsrmvn_2xn_kernelILj128ELj10ELj64E21rocsparse_complex_numIfEEEvi20rocsparse_direction_NS_24const_host_device_scalarIT2_EEPKiS8_PKS5_SA_S6_PS5_21rocsparse_index_base_b: ; @_ZN9rocsparseL19gebsrmvn_2xn_kernelILj128ELj10ELj64E21rocsparse_complex_numIfEEEvi20rocsparse_direction_NS_24const_host_device_scalarIT2_EEPKiS8_PKS5_SA_S6_PS5_21rocsparse_index_base_b
; %bb.0:
	s_clause 0x2
	s_load_b64 s[12:13], s[0:1], 0x40
	s_load_b64 s[4:5], s[0:1], 0x8
	;; [unrolled: 1-line block ×3, first 2 shown]
	s_waitcnt lgkmcnt(0)
	s_bitcmp1_b32 s13, 0
	v_mov_b32_e32 v9, s4
	s_cselect_b32 s6, -1, 0
	s_delay_alu instid0(SALU_CYCLE_1)
	s_and_b32 vcc_lo, exec_lo, s6
	s_xor_b32 s6, s6, -1
	s_cbranch_vccz .LBB196_15
; %bb.1:
	v_cndmask_b32_e64 v1, 0, 1, s6
	v_mov_b32_e32 v10, s5
	s_and_not1_b32 vcc_lo, exec_lo, s6
	s_cbranch_vccz .LBB196_16
.LBB196_2:
	s_delay_alu instid0(VALU_DEP_2)
	v_cmp_ne_u32_e32 vcc_lo, 1, v1
	v_mov_b32_e32 v11, s2
	s_cbranch_vccz .LBB196_17
.LBB196_3:
	v_cmp_ne_u32_e32 vcc_lo, 1, v1
	v_mov_b32_e32 v12, s3
	s_cbranch_vccnz .LBB196_5
.LBB196_4:
	v_dual_mov_b32 v1, s2 :: v_dual_mov_b32 v2, s3
	flat_load_b32 v12, v[1:2] offset:4
.LBB196_5:
	s_waitcnt vmcnt(0) lgkmcnt(0)
	v_cmp_eq_f32_e32 vcc_lo, 0, v9
	v_cmp_eq_f32_e64 s2, 0, v10
	s_delay_alu instid0(VALU_DEP_1)
	s_and_b32 s4, vcc_lo, s2
	s_mov_b32 s2, -1
	s_and_saveexec_b32 s3, s4
; %bb.6:
	v_cmp_neq_f32_e32 vcc_lo, 1.0, v11
	v_cmp_neq_f32_e64 s2, 0, v12
	s_delay_alu instid0(VALU_DEP_1) | instskip(NEXT) | instid1(SALU_CYCLE_1)
	s_or_b32 s2, vcc_lo, s2
	s_or_not1_b32 s2, s2, exec_lo
; %bb.7:
	s_or_b32 exec_lo, exec_lo, s3
	s_and_saveexec_b32 s3, s2
	s_cbranch_execz .LBB196_29
; %bb.8:
	s_load_b64 s[2:3], s[0:1], 0x0
	v_lshrrev_b32_e32 v1, 6, v0
	s_delay_alu instid0(VALU_DEP_1) | instskip(SKIP_1) | instid1(VALU_DEP_1)
	v_lshl_or_b32 v1, s15, 1, v1
	s_waitcnt lgkmcnt(0)
	v_cmp_gt_i32_e32 vcc_lo, s2, v1
	s_and_b32 exec_lo, exec_lo, vcc_lo
	s_cbranch_execz .LBB196_29
; %bb.9:
	s_load_b256 s[4:11], s[0:1], 0x10
	v_ashrrev_i32_e32 v2, 31, v1
	v_and_b32_e32 v0, 63, v0
	s_cmp_lg_u32 s3, 0
	s_delay_alu instid0(VALU_DEP_2) | instskip(SKIP_1) | instid1(VALU_DEP_1)
	v_lshlrev_b64 v[2:3], 2, v[1:2]
	s_waitcnt lgkmcnt(0)
	v_add_co_u32 v2, vcc_lo, s4, v2
	s_delay_alu instid0(VALU_DEP_2) | instskip(SKIP_4) | instid1(VALU_DEP_2)
	v_add_co_ci_u32_e32 v3, vcc_lo, s5, v3, vcc_lo
	global_load_b64 v[2:3], v[2:3], off
	s_waitcnt vmcnt(0)
	v_subrev_nc_u32_e32 v2, s12, v2
	v_subrev_nc_u32_e32 v15, s12, v3
	v_add_nc_u32_e32 v2, v2, v0
	s_delay_alu instid0(VALU_DEP_1)
	v_cmp_lt_i32_e64 s2, v2, v15
	s_cbranch_scc0 .LBB196_18
; %bb.10:
	v_dual_mov_b32 v13, 0 :: v_dual_mov_b32 v16, 0
	v_dual_mov_b32 v17, 0 :: v_dual_mov_b32 v14, 0
	s_mov_b32 s4, 0
	s_and_saveexec_b32 s5, s2
	s_cbranch_execz .LBB196_14
; %bb.11:
	v_mad_u64_u32 v[3:4], null, v2, 20, 18
	v_dual_mov_b32 v6, 0 :: v_dual_mov_b32 v7, v2
	v_dual_mov_b32 v13, 0 :: v_dual_mov_b32 v16, 0
	;; [unrolled: 1-line block ×3, first 2 shown]
	s_mov_b32 s13, 0
.LBB196_12:                             ; =>This Inner Loop Header: Depth=1
	s_delay_alu instid0(VALU_DEP_3) | instskip(NEXT) | instid1(VALU_DEP_1)
	v_ashrrev_i32_e32 v8, 31, v7
	v_lshlrev_b64 v[4:5], 2, v[7:8]
	v_add_nc_u32_e32 v7, 64, v7
	s_delay_alu instid0(VALU_DEP_2) | instskip(NEXT) | instid1(VALU_DEP_3)
	v_add_co_u32 v4, vcc_lo, s6, v4
	v_add_co_ci_u32_e32 v5, vcc_lo, s7, v5, vcc_lo
	global_load_b32 v8, v[4:5], off
	v_subrev_nc_u32_e32 v5, 18, v3
	v_mov_b32_e32 v4, v6
	s_delay_alu instid0(VALU_DEP_2) | instskip(SKIP_1) | instid1(VALU_DEP_3)
	v_lshlrev_b64 v[18:19], 3, v[5:6]
	v_add_nc_u32_e32 v5, -14, v3
	v_lshlrev_b64 v[73:74], 3, v[3:4]
	s_delay_alu instid0(VALU_DEP_2) | instskip(NEXT) | instid1(VALU_DEP_4)
	v_lshlrev_b64 v[4:5], 3, v[5:6]
	v_add_co_u32 v22, vcc_lo, s8, v18
	v_add_co_ci_u32_e32 v23, vcc_lo, s9, v19, vcc_lo
	s_delay_alu instid0(VALU_DEP_4) | instskip(NEXT) | instid1(VALU_DEP_4)
	v_add_co_u32 v75, vcc_lo, s8, v73
	v_add_co_u32 v4, s3, s8, v4
	s_delay_alu instid0(VALU_DEP_1)
	v_add_co_ci_u32_e64 v5, s3, s9, v5, s3
	s_clause 0x2
	global_load_b128 v[18:21], v[22:23], off offset:16
	global_load_b128 v[22:25], v[22:23], off
	global_load_b128 v[26:29], v[4:5], off
	v_mov_b32_e32 v59, v6
	v_add_co_ci_u32_e32 v76, vcc_lo, s9, v74, vcc_lo
	v_cmp_ge_i32_e32 vcc_lo, v7, v15
	s_or_b32 s13, vcc_lo, s13
	s_waitcnt vmcnt(3)
	v_subrev_nc_u32_e32 v4, s12, v8
	s_delay_alu instid0(VALU_DEP_1) | instskip(NEXT) | instid1(VALU_DEP_1)
	v_mul_lo_u32 v58, v4, 10
	v_lshlrev_b64 v[30:31], 3, v[58:59]
	s_delay_alu instid0(VALU_DEP_1) | instskip(NEXT) | instid1(VALU_DEP_1)
	v_add_co_u32 v30, s3, s10, v30
	v_add_co_ci_u32_e64 v31, s3, s11, v31, s3
	global_load_b128 v[30:33], v[30:31], off
	v_add_nc_u32_e32 v5, 2, v58
	s_delay_alu instid0(VALU_DEP_1) | instskip(NEXT) | instid1(VALU_DEP_1)
	v_lshlrev_b64 v[34:35], 3, v[5:6]
	v_add_co_u32 v34, s3, s10, v34
	s_delay_alu instid0(VALU_DEP_1) | instskip(SKIP_3) | instid1(VALU_DEP_1)
	v_add_co_ci_u32_e64 v35, s3, s11, v35, s3
	global_load_b128 v[34:37], v[34:35], off
	s_waitcnt vmcnt(1)
	v_dual_fmac_f32 v16, v22, v30 :: v_dual_add_nc_u32 v5, -12, v3
	v_lshlrev_b64 v[38:39], 3, v[5:6]
	v_dual_fmac_f32 v14, v25, v30 :: v_dual_add_nc_u32 v5, -10, v3
	s_delay_alu instid0(VALU_DEP_1) | instskip(NEXT) | instid1(VALU_DEP_3)
	v_lshlrev_b64 v[40:41], 3, v[5:6]
	v_add_co_u32 v38, s3, s8, v38
	s_delay_alu instid0(VALU_DEP_1) | instskip(NEXT) | instid1(VALU_DEP_4)
	v_add_co_ci_u32_e64 v39, s3, s9, v39, s3
	v_fmac_f32_e32 v14, v24, v31
	s_delay_alu instid0(VALU_DEP_4) | instskip(NEXT) | instid1(VALU_DEP_1)
	v_add_co_u32 v42, s3, s8, v40
	v_add_co_ci_u32_e64 v43, s3, s9, v41, s3
	global_load_b128 v[38:41], v[38:39], off
	v_dual_fmac_f32 v14, v21, v32 :: v_dual_add_nc_u32 v5, 4, v58
	global_load_b128 v[42:45], v[42:43], off
	v_lshlrev_b64 v[46:47], 3, v[5:6]
	v_dual_fmac_f32 v14, v20, v33 :: v_dual_add_nc_u32 v5, -8, v3
	s_delay_alu instid0(VALU_DEP_1) | instskip(NEXT) | instid1(VALU_DEP_3)
	v_lshlrev_b64 v[48:49], 3, v[5:6]
	v_add_co_u32 v46, s3, s10, v46
	s_delay_alu instid0(VALU_DEP_1) | instskip(SKIP_1) | instid1(VALU_DEP_4)
	v_add_co_ci_u32_e64 v47, s3, s11, v47, s3
	v_add_nc_u32_e32 v5, -6, v3
	v_add_co_u32 v50, s3, s8, v48
	s_delay_alu instid0(VALU_DEP_1)
	v_add_co_ci_u32_e64 v51, s3, s9, v49, s3
	global_load_b128 v[46:49], v[46:47], off
	v_lshlrev_b64 v[54:55], 3, v[5:6]
	s_waitcnt vmcnt(3)
	v_fmac_f32_e32 v14, v29, v34
	global_load_b128 v[50:53], v[50:51], off
	v_dual_fmac_f32 v14, v28, v35 :: v_dual_add_nc_u32 v5, 6, v58
	v_add_co_u32 v54, s3, s8, v54
	s_delay_alu instid0(VALU_DEP_2) | instskip(SKIP_2) | instid1(VALU_DEP_3)
	v_lshlrev_b64 v[56:57], 3, v[5:6]
	v_add_nc_u32_e32 v5, -4, v3
	v_add_co_ci_u32_e64 v55, s3, s9, v55, s3
	v_add_co_u32 v59, s3, s10, v56
	s_delay_alu instid0(VALU_DEP_3)
	v_lshlrev_b64 v[62:63], 3, v[5:6]
	v_add_nc_u32_e32 v5, -2, v3
	v_add_co_ci_u32_e64 v60, s3, s11, v57, s3
	global_load_b128 v[54:57], v[54:55], off
	v_add_nc_u32_e32 v3, 0x500, v3
	v_add_co_u32 v62, s3, s8, v62
	s_delay_alu instid0(VALU_DEP_1)
	v_add_co_ci_u32_e64 v63, s3, s9, v63, s3
	global_load_b128 v[62:65], v[62:63], off
	s_waitcnt vmcnt(5)
	v_fmac_f32_e32 v14, v41, v36
	v_lshlrev_b64 v[66:67], 3, v[5:6]
	v_add_nc_u32_e32 v5, 8, v58
	global_load_b128 v[58:61], v[59:60], off
	v_fmac_f32_e32 v14, v40, v37
	v_lshlrev_b64 v[4:5], 3, v[5:6]
	v_add_co_u32 v66, s3, s8, v66
	s_delay_alu instid0(VALU_DEP_1) | instskip(NEXT) | instid1(VALU_DEP_3)
	v_add_co_ci_u32_e64 v67, s3, s9, v67, s3
	v_add_co_u32 v4, s3, s10, v4
	s_delay_alu instid0(VALU_DEP_1)
	v_add_co_ci_u32_e64 v5, s3, s11, v5, s3
	global_load_b128 v[66:69], v[66:67], off
	global_load_b128 v[70:73], v[4:5], off
	;; [unrolled: 1-line block ×3, first 2 shown]
	v_fma_f32 v4, -v23, v31, v16
	s_waitcnt vmcnt(7)
	v_fmac_f32_e32 v14, v45, v46
	s_delay_alu instid0(VALU_DEP_2) | instskip(NEXT) | instid1(VALU_DEP_2)
	v_dual_fmac_f32 v13, v23, v30 :: v_dual_fmac_f32 v4, v18, v32
	v_fmac_f32_e32 v14, v44, v47
	s_delay_alu instid0(VALU_DEP_2) | instskip(NEXT) | instid1(VALU_DEP_3)
	v_fmac_f32_e32 v13, v22, v31
	v_fma_f32 v4, -v19, v33, v4
	s_waitcnt vmcnt(6)
	s_delay_alu instid0(VALU_DEP_3) | instskip(NEXT) | instid1(VALU_DEP_2)
	v_fmac_f32_e32 v14, v53, v48
	v_fmac_f32_e32 v4, v26, v34
	s_delay_alu instid0(VALU_DEP_2) | instskip(NEXT) | instid1(VALU_DEP_2)
	v_fmac_f32_e32 v14, v52, v49
	v_fma_f32 v4, -v27, v35, v4
	s_delay_alu instid0(VALU_DEP_1) | instskip(NEXT) | instid1(VALU_DEP_1)
	v_fmac_f32_e32 v4, v38, v36
	v_fma_f32 v4, -v39, v37, v4
	s_delay_alu instid0(VALU_DEP_1) | instskip(NEXT) | instid1(VALU_DEP_1)
	v_dual_fmac_f32 v13, v19, v32 :: v_dual_fmac_f32 v4, v42, v46
	v_fmac_f32_e32 v13, v18, v33
	s_delay_alu instid0(VALU_DEP_2) | instskip(NEXT) | instid1(VALU_DEP_1)
	v_fma_f32 v4, -v43, v47, v4
	v_dual_fmac_f32 v17, v24, v30 :: v_dual_fmac_f32 v4, v50, v48
	s_delay_alu instid0(VALU_DEP_1) | instskip(NEXT) | instid1(VALU_DEP_2)
	v_fma_f32 v5, -v25, v31, v17
	v_fma_f32 v4, -v51, v49, v4
	s_waitcnt vmcnt(3)
	s_delay_alu instid0(VALU_DEP_1) | instskip(NEXT) | instid1(VALU_DEP_1)
	v_dual_fmac_f32 v5, v20, v32 :: v_dual_fmac_f32 v4, v54, v58
	v_fma_f32 v5, -v21, v33, v5
	v_fmac_f32_e32 v14, v57, v58
	v_fmac_f32_e32 v13, v27, v34
	s_delay_alu instid0(VALU_DEP_4) | instskip(NEXT) | instid1(VALU_DEP_4)
	v_fma_f32 v4, -v55, v59, v4
	v_fmac_f32_e32 v5, v28, v34
	s_delay_alu instid0(VALU_DEP_4) | instskip(NEXT) | instid1(VALU_DEP_4)
	v_fmac_f32_e32 v14, v56, v59
	v_fmac_f32_e32 v13, v26, v35
	s_delay_alu instid0(VALU_DEP_4) | instskip(NEXT) | instid1(VALU_DEP_4)
	v_fmac_f32_e32 v4, v62, v60
	v_fma_f32 v5, -v29, v35, v5
	s_delay_alu instid0(VALU_DEP_4) | instskip(NEXT) | instid1(VALU_DEP_4)
	v_fmac_f32_e32 v14, v65, v60
	v_fmac_f32_e32 v13, v39, v36
	s_delay_alu instid0(VALU_DEP_4) | instskip(NEXT) | instid1(VALU_DEP_4)
	v_fma_f32 v4, -v63, v61, v4
	v_fmac_f32_e32 v5, v40, v36
	s_delay_alu instid0(VALU_DEP_4) | instskip(NEXT) | instid1(VALU_DEP_4)
	v_fmac_f32_e32 v14, v64, v61
	v_fmac_f32_e32 v13, v38, v37
	s_waitcnt vmcnt(1)
	v_fmac_f32_e32 v4, v66, v70
	v_fma_f32 v5, -v41, v37, v5
	v_fmac_f32_e32 v14, v69, v70
	v_fmac_f32_e32 v13, v43, v46
	s_delay_alu instid0(VALU_DEP_4) | instskip(NEXT) | instid1(VALU_DEP_4)
	v_fma_f32 v4, -v67, v71, v4
	v_fmac_f32_e32 v5, v44, v46
	s_delay_alu instid0(VALU_DEP_4) | instskip(NEXT) | instid1(VALU_DEP_4)
	v_fmac_f32_e32 v14, v68, v71
	v_fmac_f32_e32 v13, v42, v47
	s_waitcnt vmcnt(0)
	v_fmac_f32_e32 v4, v74, v72
	v_fma_f32 v5, -v45, v47, v5
	v_fmac_f32_e32 v14, v77, v72
	v_fmac_f32_e32 v13, v51, v48
	s_delay_alu instid0(VALU_DEP_4) | instskip(NEXT) | instid1(VALU_DEP_4)
	v_fma_f32 v16, -v75, v73, v4
	v_fmac_f32_e32 v5, v52, v48
	s_delay_alu instid0(VALU_DEP_4) | instskip(NEXT) | instid1(VALU_DEP_4)
	v_fmac_f32_e32 v14, v76, v73
	v_fmac_f32_e32 v13, v50, v49
	s_delay_alu instid0(VALU_DEP_3) | instskip(NEXT) | instid1(VALU_DEP_2)
	v_fma_f32 v5, -v53, v49, v5
	v_fmac_f32_e32 v13, v55, v58
	s_delay_alu instid0(VALU_DEP_2) | instskip(NEXT) | instid1(VALU_DEP_2)
	v_fmac_f32_e32 v5, v56, v58
	v_fmac_f32_e32 v13, v54, v59
	s_delay_alu instid0(VALU_DEP_2) | instskip(NEXT) | instid1(VALU_DEP_2)
	v_fma_f32 v5, -v57, v59, v5
	v_fmac_f32_e32 v13, v63, v60
	s_delay_alu instid0(VALU_DEP_2) | instskip(NEXT) | instid1(VALU_DEP_2)
	v_fmac_f32_e32 v5, v64, v60
	v_fmac_f32_e32 v13, v62, v61
	s_delay_alu instid0(VALU_DEP_2) | instskip(NEXT) | instid1(VALU_DEP_2)
	;; [unrolled: 6-line block ×3, first 2 shown]
	v_fma_f32 v5, -v69, v71, v5
	v_fmac_f32_e32 v13, v75, v72
	s_delay_alu instid0(VALU_DEP_2) | instskip(NEXT) | instid1(VALU_DEP_2)
	v_fmac_f32_e32 v5, v76, v72
	v_fmac_f32_e32 v13, v74, v73
	s_delay_alu instid0(VALU_DEP_2)
	v_fma_f32 v17, -v77, v73, v5
	s_and_not1_b32 exec_lo, exec_lo, s13
	s_cbranch_execnz .LBB196_12
; %bb.13:
	s_or_b32 exec_lo, exec_lo, s13
.LBB196_14:
	s_delay_alu instid0(SALU_CYCLE_1) | instskip(NEXT) | instid1(SALU_CYCLE_1)
	s_or_b32 exec_lo, exec_lo, s5
	s_and_not1_b32 vcc_lo, exec_lo, s4
	s_cbranch_vccz .LBB196_19
	s_branch .LBB196_24
.LBB196_15:
	v_dual_mov_b32 v1, s4 :: v_dual_mov_b32 v2, s5
	flat_load_b32 v9, v[1:2]
	v_cndmask_b32_e64 v1, 0, 1, s6
	v_mov_b32_e32 v10, s5
	s_and_not1_b32 vcc_lo, exec_lo, s6
	s_cbranch_vccnz .LBB196_2
.LBB196_16:
	v_dual_mov_b32 v2, s4 :: v_dual_mov_b32 v3, s5
	flat_load_b32 v10, v[2:3] offset:4
	v_cmp_ne_u32_e32 vcc_lo, 1, v1
	v_mov_b32_e32 v11, s2
	s_cbranch_vccnz .LBB196_3
.LBB196_17:
	v_dual_mov_b32 v2, s2 :: v_dual_mov_b32 v3, s3
	flat_load_b32 v11, v[2:3]
	v_cmp_ne_u32_e32 vcc_lo, 1, v1
	v_mov_b32_e32 v12, s3
	s_cbranch_vccz .LBB196_4
	s_branch .LBB196_5
.LBB196_18:
                                        ; implicit-def: $vgpr13
                                        ; implicit-def: $vgpr16
                                        ; implicit-def: $vgpr17
                                        ; implicit-def: $vgpr14
.LBB196_19:
	v_dual_mov_b32 v13, 0 :: v_dual_mov_b32 v16, 0
	v_dual_mov_b32 v17, 0 :: v_dual_mov_b32 v14, 0
	s_delay_alu instid0(VALU_DEP_3)
	s_and_saveexec_b32 s3, s2
	s_cbranch_execz .LBB196_23
; %bb.20:
	v_mad_u64_u32 v[4:5], null, v2, 20, 19
	v_dual_mov_b32 v7, 0 :: v_dual_mov_b32 v16, 0
	v_dual_mov_b32 v13, 0 :: v_dual_mov_b32 v14, 0
	v_mov_b32_e32 v17, 0
	s_mov_b32 s2, 0
.LBB196_21:                             ; =>This Inner Loop Header: Depth=1
	v_ashrrev_i32_e32 v3, 31, v2
	v_dual_mov_b32 v43, v7 :: v_dual_add_nc_u32 v18, -9, v4
	v_mov_b32_e32 v19, v7
	s_delay_alu instid0(VALU_DEP_3) | instskip(SKIP_1) | instid1(VALU_DEP_2)
	v_lshlrev_b64 v[5:6], 2, v[2:3]
	v_add_nc_u32_e32 v2, 64, v2
	v_add_co_u32 v5, vcc_lo, s6, v5
	s_delay_alu instid0(VALU_DEP_3) | instskip(SKIP_2) | instid1(VALU_DEP_1)
	v_add_co_ci_u32_e32 v6, vcc_lo, s7, v6, vcc_lo
	global_load_b32 v3, v[5:6], off
	v_subrev_nc_u32_e32 v6, 19, v4
	v_lshlrev_b64 v[20:21], 3, v[6:7]
	v_add_nc_u32_e32 v6, -8, v4
	v_lshlrev_b64 v[18:19], 3, v[18:19]
	s_delay_alu instid0(VALU_DEP_3) | instskip(NEXT) | instid1(VALU_DEP_4)
	v_add_co_u32 v24, vcc_lo, s8, v20
	v_add_co_ci_u32_e32 v25, vcc_lo, s9, v21, vcc_lo
	s_delay_alu instid0(VALU_DEP_3) | instskip(NEXT) | instid1(VALU_DEP_4)
	v_add_co_u32 v26, vcc_lo, s8, v18
	v_add_co_ci_u32_e32 v27, vcc_lo, s9, v19, vcc_lo
	s_waitcnt vmcnt(0)
	v_subrev_nc_u32_e32 v3, s12, v3
	s_delay_alu instid0(VALU_DEP_1) | instskip(SKIP_1) | instid1(VALU_DEP_1)
	v_mul_lo_u32 v42, v3, 10
	v_mov_b32_e32 v5, v7
	v_lshlrev_b64 v[22:23], 3, v[4:5]
	v_lshlrev_b64 v[5:6], 3, v[6:7]
	s_delay_alu instid0(VALU_DEP_2) | instskip(NEXT) | instid1(VALU_DEP_3)
	v_add_co_u32 v46, vcc_lo, s8, v22
	v_add_co_ci_u32_e32 v47, vcc_lo, s9, v23, vcc_lo
	s_delay_alu instid0(VALU_DEP_3) | instskip(NEXT) | instid1(VALU_DEP_4)
	v_add_co_u32 v5, vcc_lo, s8, v5
	v_add_co_ci_u32_e32 v6, vcc_lo, s9, v6, vcc_lo
	s_clause 0x3
	global_load_b128 v[18:21], v[24:25], off offset:16
	global_load_b128 v[22:25], v[24:25], off
	global_load_b64 v[48:49], v[26:27], off
	global_load_b64 v[50:51], v[5:6], off
	v_add_nc_u32_e32 v6, 2, v42
	v_lshlrev_b64 v[26:27], 3, v[42:43]
	s_delay_alu instid0(VALU_DEP_2) | instskip(NEXT) | instid1(VALU_DEP_2)
	v_lshlrev_b64 v[30:31], 3, v[6:7]
	v_add_co_u32 v26, vcc_lo, s10, v26
	s_delay_alu instid0(VALU_DEP_3) | instskip(NEXT) | instid1(VALU_DEP_3)
	v_add_co_ci_u32_e32 v27, vcc_lo, s11, v27, vcc_lo
	v_add_co_u32 v30, vcc_lo, s10, v30
	s_delay_alu instid0(VALU_DEP_4) | instskip(SKIP_2) | instid1(VALU_DEP_1)
	v_add_co_ci_u32_e32 v31, vcc_lo, s11, v31, vcc_lo
	global_load_b128 v[26:29], v[26:27], off
	v_add_nc_u32_e32 v6, -7, v4
	v_lshlrev_b64 v[32:33], 3, v[6:7]
	s_delay_alu instid0(VALU_DEP_1) | instskip(NEXT) | instid1(VALU_DEP_2)
	v_add_co_u32 v36, vcc_lo, s8, v32
	v_add_co_ci_u32_e32 v37, vcc_lo, s9, v33, vcc_lo
	global_load_b128 v[30:33], v[30:31], off
	v_add_nc_u32_e32 v6, -6, v4
	global_load_b64 v[52:53], v[36:37], off
	s_waitcnt vmcnt(2)
	v_fmac_f32_e32 v13, v23, v26
	v_fmac_f32_e32 v17, v48, v26
	v_lshlrev_b64 v[34:35], 3, v[6:7]
	s_delay_alu instid0(VALU_DEP_3) | instskip(SKIP_1) | instid1(VALU_DEP_4)
	v_dual_fmac_f32 v13, v22, v27 :: v_dual_add_nc_u32 v6, -15, v4
	v_fmac_f32_e32 v16, v22, v26
	v_fma_f32 v8, -v49, v27, v17
	s_delay_alu instid0(VALU_DEP_3) | instskip(SKIP_3) | instid1(VALU_DEP_4)
	v_lshlrev_b64 v[38:39], 3, v[6:7]
	v_add_co_u32 v34, vcc_lo, s8, v34
	v_fmac_f32_e32 v13, v25, v28
	v_add_co_ci_u32_e32 v35, vcc_lo, s9, v35, vcc_lo
	v_add_co_u32 v38, vcc_lo, s8, v38
	v_add_co_ci_u32_e32 v39, vcc_lo, s9, v39, vcc_lo
	v_fma_f32 v3, -v23, v27, v16
	v_dual_fmac_f32 v13, v24, v29 :: v_dual_add_nc_u32 v6, 4, v42
	s_clause 0x1
	global_load_b64 v[56:57], v[38:39], off
	global_load_b64 v[54:55], v[34:35], off
	v_fmac_f32_e32 v3, v24, v28
	v_lshlrev_b64 v[36:37], 3, v[6:7]
	s_waitcnt vmcnt(3)
	v_dual_fmac_f32 v13, v19, v30 :: v_dual_add_nc_u32 v6, -5, v4
	s_delay_alu instid0(VALU_DEP_3) | instskip(NEXT) | instid1(VALU_DEP_2)
	v_fma_f32 v3, -v25, v29, v3
	v_lshlrev_b64 v[34:35], 3, v[6:7]
	s_delay_alu instid0(VALU_DEP_4) | instskip(SKIP_1) | instid1(VALU_DEP_4)
	v_add_co_u32 v36, vcc_lo, s10, v36
	v_add_co_ci_u32_e32 v37, vcc_lo, s11, v37, vcc_lo
	v_dual_fmac_f32 v3, v18, v30 :: v_dual_add_nc_u32 v6, -14, v4
	s_delay_alu instid0(VALU_DEP_4)
	v_add_co_u32 v40, vcc_lo, s8, v34
	v_add_co_ci_u32_e32 v41, vcc_lo, s9, v35, vcc_lo
	global_load_b128 v[34:37], v[36:37], off
	v_lshlrev_b64 v[38:39], 3, v[6:7]
	v_add_nc_u32_e32 v6, -4, v4
	global_load_b64 v[58:59], v[40:41], off
	v_fma_f32 v3, -v19, v31, v3
	v_fmac_f32_e32 v13, v18, v31
	v_lshlrev_b64 v[43:44], 3, v[6:7]
	v_add_co_u32 v38, vcc_lo, s8, v38
	v_add_co_ci_u32_e32 v39, vcc_lo, s9, v39, vcc_lo
	v_add_nc_u32_e32 v6, -13, v4
	s_delay_alu instid0(VALU_DEP_4)
	v_add_co_u32 v43, vcc_lo, s8, v43
	v_add_co_ci_u32_e32 v44, vcc_lo, s9, v44, vcc_lo
	v_fmac_f32_e32 v3, v20, v32
	v_fmac_f32_e32 v13, v21, v32
	s_clause 0x1
	global_load_b64 v[62:63], v[43:44], off
	global_load_b64 v[60:61], v[38:39], off
	v_lshlrev_b64 v[40:41], 3, v[6:7]
	v_add_nc_u32_e32 v6, 6, v42
	v_fma_f32 v3, -v21, v33, v3
	v_fmac_f32_e32 v13, v20, v33
	s_delay_alu instid0(VALU_DEP_3) | instskip(SKIP_3) | instid1(VALU_DEP_3)
	v_lshlrev_b64 v[38:39], 3, v[6:7]
	v_add_nc_u32_e32 v6, -3, v4
	v_add_co_u32 v40, vcc_lo, s8, v40
	v_add_co_ci_u32_e32 v41, vcc_lo, s9, v41, vcc_lo
	v_lshlrev_b64 v[43:44], 3, v[6:7]
	v_add_nc_u32_e32 v6, -12, v4
	v_add_co_u32 v38, vcc_lo, s10, v38
	v_add_co_ci_u32_e32 v39, vcc_lo, s11, v39, vcc_lo
	s_delay_alu instid0(VALU_DEP_4)
	v_add_co_u32 v43, vcc_lo, s8, v43
	v_add_co_ci_u32_e32 v44, vcc_lo, s9, v44, vcc_lo
	s_clause 0x1
	global_load_b64 v[64:65], v[40:41], off
	global_load_b64 v[70:71], v[43:44], off
	s_waitcnt vmcnt(5)
	v_fmac_f32_e32 v3, v56, v34
	v_lshlrev_b64 v[66:67], 3, v[6:7]
	v_dual_fmac_f32 v13, v57, v34 :: v_dual_add_nc_u32 v6, -2, v4
	s_delay_alu instid0(VALU_DEP_3) | instskip(NEXT) | instid1(VALU_DEP_2)
	v_fma_f32 v3, -v57, v35, v3
	v_lshlrev_b64 v[68:69], 3, v[6:7]
	s_delay_alu instid0(VALU_DEP_4) | instskip(SKIP_2) | instid1(VALU_DEP_4)
	v_add_co_u32 v66, vcc_lo, s8, v66
	v_add_co_ci_u32_e32 v67, vcc_lo, s9, v67, vcc_lo
	v_dual_fmac_f32 v13, v56, v35 :: v_dual_add_nc_u32 v6, -11, v4
	v_add_co_u32 v68, vcc_lo, s8, v68
	v_add_co_ci_u32_e32 v69, vcc_lo, s9, v69, vcc_lo
	s_clause 0x1
	global_load_b64 v[66:67], v[66:67], off
	global_load_b64 v[68:69], v[68:69], off
	v_lshlrev_b64 v[43:44], 3, v[6:7]
	s_waitcnt vmcnt(4)
	v_dual_fmac_f32 v3, v60, v36 :: v_dual_add_nc_u32 v6, 8, v42
	v_fmac_f32_e32 v13, v61, v36
	s_delay_alu instid0(VALU_DEP_3) | instskip(NEXT) | instid1(VALU_DEP_4)
	v_add_co_u32 v42, vcc_lo, s8, v43
	v_add_co_ci_u32_e32 v43, vcc_lo, s9, v44, vcc_lo
	s_delay_alu instid0(VALU_DEP_4) | instskip(NEXT) | instid1(VALU_DEP_4)
	v_lshlrev_b64 v[72:73], 3, v[6:7]
	v_dual_fmac_f32 v13, v60, v37 :: v_dual_add_nc_u32 v6, -1, v4
	global_load_b64 v[74:75], v[42:43], off
	global_load_b128 v[38:41], v[38:39], off
	v_fma_f32 v3, -v61, v37, v3
	v_lshlrev_b64 v[44:45], 3, v[6:7]
	v_add_co_u32 v42, vcc_lo, s10, v72
	v_add_co_ci_u32_e32 v43, vcc_lo, s11, v73, vcc_lo
	v_add_nc_u32_e32 v6, -10, v4
	s_delay_alu instid0(VALU_DEP_4)
	v_add_co_u32 v72, vcc_lo, s8, v44
	v_add_co_ci_u32_e32 v73, vcc_lo, s9, v45, vcc_lo
	global_load_b128 v[42:45], v[42:43], off
	global_load_b64 v[72:73], v[72:73], off
	v_fmac_f32_e32 v8, v50, v28
	s_waitcnt vmcnt(2)
	v_dual_fmac_f32 v13, v65, v38 :: v_dual_add_nc_u32 v4, 0x500, v4
	v_fmac_f32_e32 v3, v64, v38
	v_lshlrev_b64 v[5:6], 3, v[6:7]
	v_fmac_f32_e32 v14, v49, v26
	v_fma_f32 v8, -v51, v29, v8
	v_fmac_f32_e32 v13, v64, v39
	v_fma_f32 v3, -v65, v39, v3
	v_add_co_u32 v5, vcc_lo, s8, v5
	v_add_co_ci_u32_e32 v6, vcc_lo, s9, v6, vcc_lo
	s_clause 0x1
	global_load_b64 v[5:6], v[5:6], off
	global_load_b64 v[46:47], v[46:47], off
	v_dual_fmac_f32 v14, v48, v27 :: v_dual_fmac_f32 v3, v66, v40
	v_dual_fmac_f32 v8, v52, v30 :: v_dual_fmac_f32 v13, v67, v40
	v_cmp_ge_i32_e32 vcc_lo, v2, v15
	s_delay_alu instid0(VALU_DEP_3) | instskip(NEXT) | instid1(VALU_DEP_4)
	v_fmac_f32_e32 v14, v51, v28
	v_fma_f32 v3, -v67, v41, v3
	s_delay_alu instid0(VALU_DEP_4)
	v_fma_f32 v8, -v53, v31, v8
	v_fmac_f32_e32 v13, v66, v41
	s_or_b32 s2, vcc_lo, s2
	v_fmac_f32_e32 v14, v50, v29
	s_waitcnt vmcnt(3)
	v_fmac_f32_e32 v3, v74, v42
	v_fmac_f32_e32 v13, v75, v42
	s_delay_alu instid0(VALU_DEP_3) | instskip(NEXT) | instid1(VALU_DEP_3)
	v_fmac_f32_e32 v14, v53, v30
	v_fma_f32 v3, -v75, v43, v3
	s_delay_alu instid0(VALU_DEP_3) | instskip(NEXT) | instid1(VALU_DEP_3)
	v_fmac_f32_e32 v13, v74, v43
	v_fmac_f32_e32 v14, v52, v31
	s_delay_alu instid0(VALU_DEP_1) | instskip(NEXT) | instid1(VALU_DEP_1)
	v_fmac_f32_e32 v14, v55, v32
	v_fmac_f32_e32 v14, v54, v33
	s_waitcnt vmcnt(1)
	s_delay_alu instid0(VALU_DEP_1) | instskip(SKIP_1) | instid1(VALU_DEP_2)
	v_dual_fmac_f32 v14, v59, v34 :: v_dual_fmac_f32 v13, v6, v44
	v_fmac_f32_e32 v8, v54, v32
	v_dual_fmac_f32 v14, v58, v35 :: v_dual_fmac_f32 v3, v5, v44
	s_delay_alu instid0(VALU_DEP_3) | instskip(NEXT) | instid1(VALU_DEP_3)
	v_fmac_f32_e32 v13, v5, v45
	v_fma_f32 v8, -v55, v33, v8
	s_delay_alu instid0(VALU_DEP_3) | instskip(NEXT) | instid1(VALU_DEP_4)
	v_fmac_f32_e32 v14, v63, v36
	v_fma_f32 v16, -v6, v45, v3
	s_delay_alu instid0(VALU_DEP_3) | instskip(NEXT) | instid1(VALU_DEP_3)
	v_fmac_f32_e32 v8, v58, v34
	v_fmac_f32_e32 v14, v62, v37
	s_delay_alu instid0(VALU_DEP_2) | instskip(NEXT) | instid1(VALU_DEP_2)
	v_fma_f32 v8, -v59, v35, v8
	v_fmac_f32_e32 v14, v71, v38
	s_delay_alu instid0(VALU_DEP_2) | instskip(NEXT) | instid1(VALU_DEP_2)
	v_fmac_f32_e32 v8, v62, v36
	v_fmac_f32_e32 v14, v70, v39
	s_delay_alu instid0(VALU_DEP_2) | instskip(NEXT) | instid1(VALU_DEP_2)
	v_fma_f32 v8, -v63, v37, v8
	v_fmac_f32_e32 v14, v69, v40
	s_delay_alu instid0(VALU_DEP_2) | instskip(NEXT) | instid1(VALU_DEP_2)
	;; [unrolled: 6-line block ×3, first 2 shown]
	v_fmac_f32_e32 v8, v68, v40
	v_fmac_f32_e32 v14, v72, v43
	s_delay_alu instid0(VALU_DEP_2) | instskip(SKIP_1) | instid1(VALU_DEP_2)
	v_fma_f32 v8, -v69, v41, v8
	s_waitcnt vmcnt(0)
	v_fmac_f32_e32 v14, v47, v44
	s_delay_alu instid0(VALU_DEP_2) | instskip(NEXT) | instid1(VALU_DEP_2)
	v_fmac_f32_e32 v8, v72, v42
	v_fmac_f32_e32 v14, v46, v45
	s_delay_alu instid0(VALU_DEP_2) | instskip(NEXT) | instid1(VALU_DEP_1)
	v_fma_f32 v8, -v73, v43, v8
	v_fmac_f32_e32 v8, v46, v44
	s_delay_alu instid0(VALU_DEP_1)
	v_fma_f32 v17, -v47, v45, v8
	s_and_not1_b32 exec_lo, exec_lo, s2
	s_cbranch_execnz .LBB196_21
; %bb.22:
	s_or_b32 exec_lo, exec_lo, s2
.LBB196_23:
	s_delay_alu instid0(SALU_CYCLE_1)
	s_or_b32 exec_lo, exec_lo, s3
.LBB196_24:
	v_mbcnt_lo_u32_b32 v2, -1, 0
	s_delay_alu instid0(VALU_DEP_1) | instskip(SKIP_2) | instid1(VALU_DEP_3)
	v_or_b32_e32 v3, 32, v2
	v_xor_b32_e32 v7, 16, v2
	v_xor_b32_e32 v15, 8, v2
	v_cmp_gt_i32_e32 vcc_lo, 32, v3
	v_cndmask_b32_e32 v3, v2, v3, vcc_lo
	s_delay_alu instid0(VALU_DEP_4) | instskip(NEXT) | instid1(VALU_DEP_2)
	v_cmp_gt_i32_e32 vcc_lo, 32, v7
	v_lshlrev_b32_e32 v3, 2, v3
	ds_bpermute_b32 v6, v3, v17
	s_waitcnt lgkmcnt(0)
	v_add_f32_e32 v6, v17, v6
	ds_bpermute_b32 v4, v3, v16
	ds_bpermute_b32 v5, v3, v13
	;; [unrolled: 1-line block ×3, first 2 shown]
	s_waitcnt lgkmcnt(2)
	v_dual_add_f32 v4, v16, v4 :: v_dual_cndmask_b32 v7, v2, v7
	s_waitcnt lgkmcnt(0)
	v_add_f32_e32 v3, v14, v3
	v_cmp_gt_i32_e32 vcc_lo, 32, v15
	s_delay_alu instid0(VALU_DEP_3)
	v_lshlrev_b32_e32 v7, 2, v7
	v_cndmask_b32_e32 v15, v2, v15, vcc_lo
	ds_bpermute_b32 v14, v7, v6
	s_waitcnt lgkmcnt(0)
	v_add_f32_e32 v6, v6, v14
	ds_bpermute_b32 v8, v7, v4
	s_waitcnt lgkmcnt(0)
	v_dual_add_f32 v4, v4, v8 :: v_dual_lshlrev_b32 v15, 2, v15
	v_add_f32_e32 v5, v13, v5
	ds_bpermute_b32 v13, v7, v5
	ds_bpermute_b32 v7, v7, v3
	s_waitcnt lgkmcnt(0)
	v_add_f32_e32 v3, v3, v7
	ds_bpermute_b32 v7, v15, v4
	s_waitcnt lgkmcnt(0)
	v_dual_add_f32 v4, v4, v7 :: v_dual_add_f32 v5, v5, v13
	ds_bpermute_b32 v13, v15, v6
	s_waitcnt lgkmcnt(0)
	v_add_f32_e32 v6, v6, v13
	ds_bpermute_b32 v8, v15, v5
	ds_bpermute_b32 v14, v15, v3
	v_xor_b32_e32 v15, 4, v2
	s_delay_alu instid0(VALU_DEP_1) | instskip(SKIP_1) | instid1(VALU_DEP_1)
	v_cmp_gt_i32_e32 vcc_lo, 32, v15
	v_cndmask_b32_e32 v15, v2, v15, vcc_lo
	v_lshlrev_b32_e32 v15, 2, v15
	ds_bpermute_b32 v7, v15, v4
	ds_bpermute_b32 v13, v15, v6
	s_waitcnt lgkmcnt(1)
	v_dual_add_f32 v4, v4, v7 :: v_dual_add_f32 v5, v5, v8
	s_waitcnt lgkmcnt(0)
	v_dual_add_f32 v6, v6, v13 :: v_dual_add_f32 v3, v3, v14
	ds_bpermute_b32 v8, v15, v5
	ds_bpermute_b32 v14, v15, v3
	v_xor_b32_e32 v15, 2, v2
	s_delay_alu instid0(VALU_DEP_1) | instskip(SKIP_1) | instid1(VALU_DEP_1)
	v_cmp_gt_i32_e32 vcc_lo, 32, v15
	v_cndmask_b32_e32 v15, v2, v15, vcc_lo
	v_lshlrev_b32_e32 v15, 2, v15
	s_waitcnt lgkmcnt(1)
	v_add_f32_e32 v5, v5, v8
	ds_bpermute_b32 v7, v15, v4
	ds_bpermute_b32 v13, v15, v6
	;; [unrolled: 1-line block ×3, first 2 shown]
	s_waitcnt lgkmcnt(2)
	v_dual_add_f32 v4, v4, v7 :: v_dual_add_f32 v3, v3, v14
	s_waitcnt lgkmcnt(0)
	v_add_f32_e32 v5, v5, v8
	ds_bpermute_b32 v14, v15, v3
	v_xor_b32_e32 v15, 1, v2
	s_delay_alu instid0(VALU_DEP_1) | instskip(SKIP_2) | instid1(VALU_DEP_2)
	v_cmp_gt_i32_e32 vcc_lo, 32, v15
	v_cndmask_b32_e32 v2, v2, v15, vcc_lo
	v_cmp_eq_u32_e32 vcc_lo, 63, v0
	v_dual_add_f32 v2, v6, v13 :: v_dual_lshlrev_b32 v15, 2, v2
	s_waitcnt lgkmcnt(0)
	v_add_f32_e32 v3, v3, v14
	ds_bpermute_b32 v8, v15, v4
	ds_bpermute_b32 v13, v15, v5
	ds_bpermute_b32 v6, v15, v2
	ds_bpermute_b32 v7, v15, v3
	s_and_b32 exec_lo, exec_lo, vcc_lo
	s_cbranch_execz .LBB196_29
; %bb.25:
	s_load_b64 s[2:3], s[0:1], 0x38
	v_cmp_eq_f32_e32 vcc_lo, 0, v11
	v_cmp_eq_f32_e64 s0, 0, v12
	s_waitcnt lgkmcnt(0)
	v_dual_add_f32 v0, v4, v8 :: v_dual_add_f32 v3, v3, v7
	v_add_f32_e32 v4, v5, v13
	v_add_f32_e32 v2, v2, v6
	s_and_b32 s0, vcc_lo, s0
	s_delay_alu instid0(SALU_CYCLE_1) | instskip(NEXT) | instid1(SALU_CYCLE_1)
	s_and_saveexec_b32 s1, s0
	s_xor_b32 s0, exec_lo, s1
	s_cbranch_execz .LBB196_27
; %bb.26:
	v_mul_f32_e64 v5, v4, -v10
	v_mul_f32_e32 v6, v4, v9
	v_mul_f32_e64 v7, v3, -v10
	v_mul_f32_e32 v8, v3, v9
                                        ; implicit-def: $vgpr4
                                        ; implicit-def: $vgpr3
	s_delay_alu instid0(VALU_DEP_4) | instskip(NEXT) | instid1(VALU_DEP_4)
	v_fmac_f32_e32 v5, v9, v0
	v_dual_fmac_f32 v6, v10, v0 :: v_dual_lshlrev_b32 v11, 1, v1
	s_delay_alu instid0(VALU_DEP_4) | instskip(NEXT) | instid1(VALU_DEP_4)
	v_fmac_f32_e32 v7, v9, v2
	v_fmac_f32_e32 v8, v10, v2
                                        ; implicit-def: $vgpr9
                                        ; implicit-def: $vgpr10
                                        ; implicit-def: $vgpr2
	s_delay_alu instid0(VALU_DEP_3) | instskip(NEXT) | instid1(VALU_DEP_1)
	v_ashrrev_i32_e32 v12, 31, v11
	v_lshlrev_b64 v[11:12], 3, v[11:12]
	s_delay_alu instid0(VALU_DEP_1) | instskip(NEXT) | instid1(VALU_DEP_2)
	v_add_co_u32 v0, vcc_lo, s2, v11
	v_add_co_ci_u32_e32 v1, vcc_lo, s3, v12, vcc_lo
                                        ; implicit-def: $vgpr11
                                        ; implicit-def: $vgpr12
	global_store_b128 v[0:1], v[5:8], off
                                        ; implicit-def: $vgpr1
                                        ; implicit-def: $vgpr0
.LBB196_27:
	s_and_not1_saveexec_b32 s0, s0
	s_cbranch_execz .LBB196_29
; %bb.28:
	v_lshlrev_b32_e32 v5, 1, v1
	v_mul_f32_e64 v15, v4, -v10
	v_mul_f32_e32 v1, v4, v9
	v_mul_f32_e64 v4, v3, -v10
	v_mul_f32_e32 v3, v3, v9
	s_delay_alu instid0(VALU_DEP_4) | instskip(NEXT) | instid1(VALU_DEP_3)
	v_fmac_f32_e32 v15, v9, v0
	v_fmac_f32_e32 v4, v9, v2
	v_ashrrev_i32_e32 v6, 31, v5
	s_delay_alu instid0(VALU_DEP_4) | instskip(NEXT) | instid1(VALU_DEP_2)
	v_fmac_f32_e32 v3, v10, v2
	v_lshlrev_b64 v[5:6], 3, v[5:6]
	s_delay_alu instid0(VALU_DEP_1) | instskip(NEXT) | instid1(VALU_DEP_2)
	v_add_co_u32 v13, vcc_lo, s2, v5
	v_add_co_ci_u32_e32 v14, vcc_lo, s3, v6, vcc_lo
	global_load_b128 v[5:8], v[13:14], off
	s_waitcnt vmcnt(0)
	v_dual_fmac_f32 v4, v11, v7 :: v_dual_fmac_f32 v1, v10, v0
	v_fmac_f32_e32 v15, v11, v5
	v_fmac_f32_e32 v3, v12, v7
	s_delay_alu instid0(VALU_DEP_3) | instskip(NEXT) | instid1(VALU_DEP_4)
	v_fma_f32 v2, -v12, v8, v4
	v_fmac_f32_e32 v1, v12, v5
	s_delay_alu instid0(VALU_DEP_4) | instskip(NEXT) | instid1(VALU_DEP_4)
	v_fma_f32 v0, -v12, v6, v15
	v_fmac_f32_e32 v3, v11, v8
	s_delay_alu instid0(VALU_DEP_3)
	v_fmac_f32_e32 v1, v11, v6
	global_store_b128 v[13:14], v[0:3], off
.LBB196_29:
	s_nop 0
	s_sendmsg sendmsg(MSG_DEALLOC_VGPRS)
	s_endpgm
	.section	.rodata,"a",@progbits
	.p2align	6, 0x0
	.amdhsa_kernel _ZN9rocsparseL19gebsrmvn_2xn_kernelILj128ELj10ELj64E21rocsparse_complex_numIfEEEvi20rocsparse_direction_NS_24const_host_device_scalarIT2_EEPKiS8_PKS5_SA_S6_PS5_21rocsparse_index_base_b
		.amdhsa_group_segment_fixed_size 0
		.amdhsa_private_segment_fixed_size 0
		.amdhsa_kernarg_size 72
		.amdhsa_user_sgpr_count 15
		.amdhsa_user_sgpr_dispatch_ptr 0
		.amdhsa_user_sgpr_queue_ptr 0
		.amdhsa_user_sgpr_kernarg_segment_ptr 1
		.amdhsa_user_sgpr_dispatch_id 0
		.amdhsa_user_sgpr_private_segment_size 0
		.amdhsa_wavefront_size32 1
		.amdhsa_uses_dynamic_stack 0
		.amdhsa_enable_private_segment 0
		.amdhsa_system_sgpr_workgroup_id_x 1
		.amdhsa_system_sgpr_workgroup_id_y 0
		.amdhsa_system_sgpr_workgroup_id_z 0
		.amdhsa_system_sgpr_workgroup_info 0
		.amdhsa_system_vgpr_workitem_id 0
		.amdhsa_next_free_vgpr 78
		.amdhsa_next_free_sgpr 16
		.amdhsa_reserve_vcc 1
		.amdhsa_float_round_mode_32 0
		.amdhsa_float_round_mode_16_64 0
		.amdhsa_float_denorm_mode_32 3
		.amdhsa_float_denorm_mode_16_64 3
		.amdhsa_dx10_clamp 1
		.amdhsa_ieee_mode 1
		.amdhsa_fp16_overflow 0
		.amdhsa_workgroup_processor_mode 1
		.amdhsa_memory_ordered 1
		.amdhsa_forward_progress 0
		.amdhsa_shared_vgpr_count 0
		.amdhsa_exception_fp_ieee_invalid_op 0
		.amdhsa_exception_fp_denorm_src 0
		.amdhsa_exception_fp_ieee_div_zero 0
		.amdhsa_exception_fp_ieee_overflow 0
		.amdhsa_exception_fp_ieee_underflow 0
		.amdhsa_exception_fp_ieee_inexact 0
		.amdhsa_exception_int_div_zero 0
	.end_amdhsa_kernel
	.section	.text._ZN9rocsparseL19gebsrmvn_2xn_kernelILj128ELj10ELj64E21rocsparse_complex_numIfEEEvi20rocsparse_direction_NS_24const_host_device_scalarIT2_EEPKiS8_PKS5_SA_S6_PS5_21rocsparse_index_base_b,"axG",@progbits,_ZN9rocsparseL19gebsrmvn_2xn_kernelILj128ELj10ELj64E21rocsparse_complex_numIfEEEvi20rocsparse_direction_NS_24const_host_device_scalarIT2_EEPKiS8_PKS5_SA_S6_PS5_21rocsparse_index_base_b,comdat
.Lfunc_end196:
	.size	_ZN9rocsparseL19gebsrmvn_2xn_kernelILj128ELj10ELj64E21rocsparse_complex_numIfEEEvi20rocsparse_direction_NS_24const_host_device_scalarIT2_EEPKiS8_PKS5_SA_S6_PS5_21rocsparse_index_base_b, .Lfunc_end196-_ZN9rocsparseL19gebsrmvn_2xn_kernelILj128ELj10ELj64E21rocsparse_complex_numIfEEEvi20rocsparse_direction_NS_24const_host_device_scalarIT2_EEPKiS8_PKS5_SA_S6_PS5_21rocsparse_index_base_b
                                        ; -- End function
	.section	.AMDGPU.csdata,"",@progbits
; Kernel info:
; codeLenInByte = 4004
; NumSgprs: 18
; NumVgprs: 78
; ScratchSize: 0
; MemoryBound: 0
; FloatMode: 240
; IeeeMode: 1
; LDSByteSize: 0 bytes/workgroup (compile time only)
; SGPRBlocks: 2
; VGPRBlocks: 9
; NumSGPRsForWavesPerEU: 18
; NumVGPRsForWavesPerEU: 78
; Occupancy: 16
; WaveLimiterHint : 1
; COMPUTE_PGM_RSRC2:SCRATCH_EN: 0
; COMPUTE_PGM_RSRC2:USER_SGPR: 15
; COMPUTE_PGM_RSRC2:TRAP_HANDLER: 0
; COMPUTE_PGM_RSRC2:TGID_X_EN: 1
; COMPUTE_PGM_RSRC2:TGID_Y_EN: 0
; COMPUTE_PGM_RSRC2:TGID_Z_EN: 0
; COMPUTE_PGM_RSRC2:TIDIG_COMP_CNT: 0
	.section	.text._ZN9rocsparseL19gebsrmvn_2xn_kernelILj128ELj11ELj4E21rocsparse_complex_numIfEEEvi20rocsparse_direction_NS_24const_host_device_scalarIT2_EEPKiS8_PKS5_SA_S6_PS5_21rocsparse_index_base_b,"axG",@progbits,_ZN9rocsparseL19gebsrmvn_2xn_kernelILj128ELj11ELj4E21rocsparse_complex_numIfEEEvi20rocsparse_direction_NS_24const_host_device_scalarIT2_EEPKiS8_PKS5_SA_S6_PS5_21rocsparse_index_base_b,comdat
	.globl	_ZN9rocsparseL19gebsrmvn_2xn_kernelILj128ELj11ELj4E21rocsparse_complex_numIfEEEvi20rocsparse_direction_NS_24const_host_device_scalarIT2_EEPKiS8_PKS5_SA_S6_PS5_21rocsparse_index_base_b ; -- Begin function _ZN9rocsparseL19gebsrmvn_2xn_kernelILj128ELj11ELj4E21rocsparse_complex_numIfEEEvi20rocsparse_direction_NS_24const_host_device_scalarIT2_EEPKiS8_PKS5_SA_S6_PS5_21rocsparse_index_base_b
	.p2align	8
	.type	_ZN9rocsparseL19gebsrmvn_2xn_kernelILj128ELj11ELj4E21rocsparse_complex_numIfEEEvi20rocsparse_direction_NS_24const_host_device_scalarIT2_EEPKiS8_PKS5_SA_S6_PS5_21rocsparse_index_base_b,@function
_ZN9rocsparseL19gebsrmvn_2xn_kernelILj128ELj11ELj4E21rocsparse_complex_numIfEEEvi20rocsparse_direction_NS_24const_host_device_scalarIT2_EEPKiS8_PKS5_SA_S6_PS5_21rocsparse_index_base_b: ; @_ZN9rocsparseL19gebsrmvn_2xn_kernelILj128ELj11ELj4E21rocsparse_complex_numIfEEEvi20rocsparse_direction_NS_24const_host_device_scalarIT2_EEPKiS8_PKS5_SA_S6_PS5_21rocsparse_index_base_b
; %bb.0:
	s_clause 0x2
	s_load_b64 s[12:13], s[0:1], 0x40
	s_load_b64 s[4:5], s[0:1], 0x8
	;; [unrolled: 1-line block ×3, first 2 shown]
	s_waitcnt lgkmcnt(0)
	s_bitcmp1_b32 s13, 0
	v_mov_b32_e32 v9, s4
	s_cselect_b32 s6, -1, 0
	s_delay_alu instid0(SALU_CYCLE_1)
	s_and_b32 vcc_lo, exec_lo, s6
	s_xor_b32 s6, s6, -1
	s_cbranch_vccz .LBB197_17
; %bb.1:
	v_cndmask_b32_e64 v1, 0, 1, s6
	v_mov_b32_e32 v10, s5
	s_and_not1_b32 vcc_lo, exec_lo, s6
	s_cbranch_vccz .LBB197_18
.LBB197_2:
	s_delay_alu instid0(VALU_DEP_2)
	v_cmp_ne_u32_e32 vcc_lo, 1, v1
	v_mov_b32_e32 v11, s2
	s_cbranch_vccz .LBB197_19
.LBB197_3:
	v_cmp_ne_u32_e32 vcc_lo, 1, v1
	v_mov_b32_e32 v12, s3
	s_cbranch_vccnz .LBB197_5
.LBB197_4:
	v_dual_mov_b32 v1, s2 :: v_dual_mov_b32 v2, s3
	flat_load_b32 v12, v[1:2] offset:4
.LBB197_5:
	s_waitcnt vmcnt(0) lgkmcnt(0)
	v_cmp_eq_f32_e32 vcc_lo, 0, v9
	v_cmp_eq_f32_e64 s2, 0, v10
	s_delay_alu instid0(VALU_DEP_1)
	s_and_b32 s4, vcc_lo, s2
	s_mov_b32 s2, -1
	s_and_saveexec_b32 s3, s4
; %bb.6:
	v_cmp_neq_f32_e32 vcc_lo, 1.0, v11
	v_cmp_neq_f32_e64 s2, 0, v12
	s_delay_alu instid0(VALU_DEP_1) | instskip(NEXT) | instid1(SALU_CYCLE_1)
	s_or_b32 s2, vcc_lo, s2
	s_or_not1_b32 s2, s2, exec_lo
; %bb.7:
	s_or_b32 exec_lo, exec_lo, s3
	s_and_saveexec_b32 s3, s2
	s_cbranch_execz .LBB197_37
; %bb.8:
	s_load_b64 s[2:3], s[0:1], 0x0
	v_lshrrev_b32_e32 v1, 2, v0
	s_delay_alu instid0(VALU_DEP_1) | instskip(SKIP_1) | instid1(VALU_DEP_1)
	v_lshl_or_b32 v1, s15, 5, v1
	s_waitcnt lgkmcnt(0)
	v_cmp_gt_i32_e32 vcc_lo, s2, v1
	s_and_b32 exec_lo, exec_lo, vcc_lo
	s_cbranch_execz .LBB197_37
; %bb.9:
	s_load_b256 s[4:11], s[0:1], 0x10
	v_ashrrev_i32_e32 v2, 31, v1
	v_and_b32_e32 v0, 3, v0
	s_cmp_lg_u32 s3, 0
	s_delay_alu instid0(VALU_DEP_2) | instskip(SKIP_1) | instid1(VALU_DEP_1)
	v_lshlrev_b64 v[2:3], 2, v[1:2]
	s_waitcnt lgkmcnt(0)
	v_add_co_u32 v2, vcc_lo, s4, v2
	s_delay_alu instid0(VALU_DEP_2) | instskip(SKIP_4) | instid1(VALU_DEP_2)
	v_add_co_ci_u32_e32 v3, vcc_lo, s5, v3, vcc_lo
	global_load_b64 v[3:4], v[2:3], off
	s_waitcnt vmcnt(0)
	v_subrev_nc_u32_e32 v2, s12, v3
	v_subrev_nc_u32_e32 v13, s12, v4
	v_add_nc_u32_e32 v2, v2, v0
	s_delay_alu instid0(VALU_DEP_1)
	v_cmp_lt_i32_e64 s2, v2, v13
	s_cbranch_scc0 .LBB197_20
; %bb.10:
	v_dual_mov_b32 v8, 0 :: v_dual_mov_b32 v15, 0
	v_mov_b32_e32 v14, 0
	v_mov_b32_e32 v16, 0
	s_mov_b32 s3, 0
	s_and_saveexec_b32 s4, s2
	s_cbranch_execz .LBB197_22
; %bb.11:
	v_mul_lo_u32 v4, v3, 22
	v_mul_lo_u32 v17, v2, 22
	s_mul_i32 s5, s12, 22
	v_dual_mov_b32 v5, 0 :: v_dual_mov_b32 v6, v2
	v_dual_mov_b32 v8, 0 :: v_dual_mov_b32 v15, 0
	v_mov_b32_e32 v14, 0
	v_mad_u32_u24 v4, v0, 22, v4
	v_mov_b32_e32 v16, 0
	s_delay_alu instid0(VALU_DEP_2)
	v_subrev_nc_u32_e32 v18, s5, v4
	s_mov_b32 s5, 0
	s_branch .LBB197_13
.LBB197_12:                             ;   in Loop: Header=BB197_13 Depth=1
	v_add_nc_u32_e32 v6, 4, v6
	v_add_nc_u32_e32 v17, 0x58, v17
	;; [unrolled: 1-line block ×3, first 2 shown]
	s_delay_alu instid0(VALU_DEP_3) | instskip(SKIP_1) | instid1(SALU_CYCLE_1)
	v_cmp_ge_i32_e32 vcc_lo, v6, v13
	s_or_b32 s5, vcc_lo, s5
	s_and_not1_b32 exec_lo, exec_lo, s5
	s_cbranch_execz .LBB197_21
.LBB197_13:                             ; =>This Loop Header: Depth=1
                                        ;     Child Loop BB197_15 Depth 2
	v_ashrrev_i32_e32 v7, 31, v6
	v_dual_mov_b32 v21, v14 :: v_dual_mov_b32 v22, v16
	s_mov_b32 s13, 0
	s_delay_alu instid0(VALU_DEP_2) | instskip(NEXT) | instid1(VALU_DEP_1)
	v_lshlrev_b64 v[19:20], 2, v[6:7]
	v_add_co_u32 v19, vcc_lo, s6, v19
	s_delay_alu instid0(VALU_DEP_2) | instskip(SKIP_4) | instid1(VALU_DEP_1)
	v_add_co_ci_u32_e32 v20, vcc_lo, s7, v20, vcc_lo
	global_load_b32 v4, v[19:20], off
	v_dual_mov_b32 v19, v8 :: v_dual_mov_b32 v20, v15
	s_waitcnt vmcnt(0)
	v_subrev_nc_u32_e32 v4, s12, v4
	v_mul_lo_u32 v7, v4, 11
	s_branch .LBB197_15
.LBB197_14:                             ;   in Loop: Header=BB197_13 Depth=1
                                        ; implicit-def: $vgpr20
                                        ; implicit-def: $vgpr22
                                        ; implicit-def: $vgpr21
                                        ; implicit-def: $vgpr19
                                        ; implicit-def: $sgpr13
                                        ; implicit-def: $vgpr7
	s_branch .LBB197_12
.LBB197_15:                             ;   Parent Loop BB197_13 Depth=1
                                        ; =>  This Inner Loop Header: Depth=2
	v_add_nc_u32_e32 v4, s13, v18
	v_dual_mov_b32 v8, v5 :: v_dual_add_nc_u32 v23, s13, v17
	s_cmp_eq_u32 s13, 16
	s_delay_alu instid0(VALU_DEP_2) | instskip(NEXT) | instid1(VALU_DEP_2)
	v_lshlrev_b64 v[14:15], 3, v[4:5]
	v_lshlrev_b64 v[24:25], 3, v[7:8]
	s_delay_alu instid0(VALU_DEP_2) | instskip(NEXT) | instid1(VALU_DEP_3)
	v_add_co_u32 v14, vcc_lo, s8, v14
	v_add_co_ci_u32_e32 v15, vcc_lo, s9, v15, vcc_lo
	s_delay_alu instid0(VALU_DEP_3) | instskip(NEXT) | instid1(VALU_DEP_4)
	v_add_co_u32 v28, vcc_lo, s10, v24
	v_add_co_ci_u32_e32 v29, vcc_lo, s11, v25, vcc_lo
	global_load_b128 v[24:27], v[14:15], off
	global_load_b64 v[14:15], v[28:29], off
	s_waitcnt vmcnt(0)
	v_dual_fmac_f32 v19, v25, v14 :: v_dual_add_nc_u32 v4, 2, v23
	s_delay_alu instid0(VALU_DEP_1) | instskip(SKIP_1) | instid1(VALU_DEP_3)
	v_lshlrev_b64 v[30:31], 3, v[4:5]
	v_dual_fmac_f32 v21, v24, v14 :: v_dual_add_nc_u32 v4, 1, v7
	v_fmac_f32_e32 v19, v24, v15
	s_delay_alu instid0(VALU_DEP_2) | instskip(NEXT) | instid1(VALU_DEP_4)
	v_lshlrev_b64 v[28:29], 3, v[4:5]
	v_add_co_u32 v30, vcc_lo, s8, v30
	v_add_co_ci_u32_e32 v31, vcc_lo, s9, v31, vcc_lo
	s_delay_alu instid0(VALU_DEP_3) | instskip(NEXT) | instid1(VALU_DEP_4)
	v_add_co_u32 v32, vcc_lo, s10, v28
	v_add_co_ci_u32_e32 v33, vcc_lo, s11, v29, vcc_lo
	global_load_b128 v[28:31], v[30:31], off
	global_load_b64 v[36:37], v[32:33], off
	s_waitcnt vmcnt(0)
	v_dual_fmac_f32 v19, v29, v36 :: v_dual_add_nc_u32 v4, 4, v23
	s_delay_alu instid0(VALU_DEP_1) | instskip(NEXT) | instid1(VALU_DEP_2)
	v_lshlrev_b64 v[34:35], 3, v[4:5]
	v_dual_fmac_f32 v19, v28, v37 :: v_dual_add_nc_u32 v4, 2, v7
	s_delay_alu instid0(VALU_DEP_1) | instskip(NEXT) | instid1(VALU_DEP_3)
	v_lshlrev_b64 v[32:33], 3, v[4:5]
	v_add_co_u32 v34, vcc_lo, s8, v34
	s_delay_alu instid0(VALU_DEP_4) | instskip(SKIP_1) | instid1(VALU_DEP_4)
	v_add_co_ci_u32_e32 v35, vcc_lo, s9, v35, vcc_lo
	v_fma_f32 v4, -v25, v15, v21
	v_add_co_u32 v38, vcc_lo, s10, v32
	v_add_co_ci_u32_e32 v39, vcc_lo, s11, v33, vcc_lo
	global_load_b128 v[32:35], v[34:35], off
	global_load_b64 v[38:39], v[38:39], off
	v_fmac_f32_e32 v20, v27, v14
	v_fmac_f32_e32 v4, v28, v36
	s_delay_alu instid0(VALU_DEP_2) | instskip(NEXT) | instid1(VALU_DEP_2)
	v_fmac_f32_e32 v20, v26, v15
	v_fma_f32 v4, -v29, v37, v4
	s_waitcnt vmcnt(0)
	s_delay_alu instid0(VALU_DEP_2) | instskip(NEXT) | instid1(VALU_DEP_2)
	v_dual_fmac_f32 v19, v33, v38 :: v_dual_fmac_f32 v20, v31, v36
	v_fmac_f32_e32 v4, v32, v38
	s_delay_alu instid0(VALU_DEP_2) | instskip(NEXT) | instid1(VALU_DEP_1)
	v_fmac_f32_e32 v20, v30, v37
	v_fmac_f32_e32 v20, v35, v38
	;; [unrolled: 1-line block ×3, first 2 shown]
	s_delay_alu instid0(VALU_DEP_4) | instskip(NEXT) | instid1(VALU_DEP_2)
	v_fma_f32 v14, -v33, v39, v4
	v_fma_f32 v8, -v27, v15, v22
	s_delay_alu instid0(VALU_DEP_1) | instskip(NEXT) | instid1(VALU_DEP_1)
	v_dual_mov_b32 v15, v20 :: v_dual_fmac_f32 v8, v30, v36
	v_fmac_f32_e32 v15, v34, v39
	s_delay_alu instid0(VALU_DEP_2) | instskip(SKIP_1) | instid1(VALU_DEP_2)
	v_fma_f32 v16, -v31, v37, v8
	v_mov_b32_e32 v8, v19
	v_fmac_f32_e32 v16, v34, v38
	s_delay_alu instid0(VALU_DEP_2) | instskip(NEXT) | instid1(VALU_DEP_2)
	v_fmac_f32_e32 v8, v32, v39
	v_fma_f32 v16, -v35, v39, v16
	s_cbranch_scc1 .LBB197_14
; %bb.16:                               ;   in Loop: Header=BB197_15 Depth=2
	v_add_nc_u32_e32 v4, 6, v23
	s_add_i32 s13, s13, 8
	s_delay_alu instid0(VALU_DEP_1) | instskip(SKIP_2) | instid1(VALU_DEP_2)
	v_lshlrev_b64 v[19:20], 3, v[4:5]
	v_add_nc_u32_e32 v4, 3, v7
	v_add_nc_u32_e32 v7, 4, v7
	v_lshlrev_b64 v[21:22], 3, v[4:5]
	s_delay_alu instid0(VALU_DEP_4) | instskip(SKIP_1) | instid1(VALU_DEP_3)
	v_add_co_u32 v19, vcc_lo, s8, v19
	v_add_co_ci_u32_e32 v20, vcc_lo, s9, v20, vcc_lo
	v_add_co_u32 v26, vcc_lo, s10, v21
	s_delay_alu instid0(VALU_DEP_4)
	v_add_co_ci_u32_e32 v27, vcc_lo, s11, v22, vcc_lo
	global_load_b128 v[22:25], v[19:20], off
	global_load_b64 v[26:27], v[26:27], off
	s_waitcnt vmcnt(0)
	v_fma_f32 v4, v22, v26, v14
	v_fma_f32 v19, v23, v26, v8
	;; [unrolled: 1-line block ×4, first 2 shown]
	s_delay_alu instid0(VALU_DEP_4) | instskip(NEXT) | instid1(VALU_DEP_4)
	v_fma_f32 v21, -v23, v27, v4
	v_fmac_f32_e32 v19, v22, v27
	s_delay_alu instid0(VALU_DEP_4) | instskip(NEXT) | instid1(VALU_DEP_4)
	v_fma_f32 v22, -v25, v27, v28
	v_fmac_f32_e32 v20, v24, v27
	s_cbranch_execnz .LBB197_15
	s_branch .LBB197_12
.LBB197_17:
	v_dual_mov_b32 v1, s4 :: v_dual_mov_b32 v2, s5
	flat_load_b32 v9, v[1:2]
	v_cndmask_b32_e64 v1, 0, 1, s6
	v_mov_b32_e32 v10, s5
	s_and_not1_b32 vcc_lo, exec_lo, s6
	s_cbranch_vccnz .LBB197_2
.LBB197_18:
	v_dual_mov_b32 v2, s4 :: v_dual_mov_b32 v3, s5
	flat_load_b32 v10, v[2:3] offset:4
	v_cmp_ne_u32_e32 vcc_lo, 1, v1
	v_mov_b32_e32 v11, s2
	s_cbranch_vccnz .LBB197_3
.LBB197_19:
	v_dual_mov_b32 v2, s2 :: v_dual_mov_b32 v3, s3
	flat_load_b32 v11, v[2:3]
	v_cmp_ne_u32_e32 vcc_lo, 1, v1
	v_mov_b32_e32 v12, s3
	s_cbranch_vccz .LBB197_4
	s_branch .LBB197_5
.LBB197_20:
                                        ; implicit-def: $vgpr8
                                        ; implicit-def: $vgpr14
                                        ; implicit-def: $vgpr16
                                        ; implicit-def: $vgpr15
	s_branch .LBB197_23
.LBB197_21:
	s_or_b32 exec_lo, exec_lo, s5
.LBB197_22:
	s_delay_alu instid0(SALU_CYCLE_1) | instskip(NEXT) | instid1(SALU_CYCLE_1)
	s_or_b32 exec_lo, exec_lo, s4
	s_and_not1_b32 vcc_lo, exec_lo, s3
	s_cbranch_vccnz .LBB197_32
.LBB197_23:
	v_dual_mov_b32 v8, 0 :: v_dual_mov_b32 v15, 0
	v_mov_b32_e32 v14, 0
	v_mov_b32_e32 v16, 0
	s_and_saveexec_b32 s3, s2
	s_cbranch_execz .LBB197_31
; %bb.24:
	v_mul_lo_u32 v3, v3, 22
	v_mul_lo_u32 v5, v2, 22
	s_mul_i32 s2, s12, 22
	v_dual_mov_b32 v4, 0 :: v_dual_mov_b32 v15, 0
	v_mov_b32_e32 v8, 0
	v_mov_b32_e32 v14, 0
	;; [unrolled: 1-line block ×3, first 2 shown]
	v_mad_u32_u24 v3, v0, 22, v3
	s_delay_alu instid0(VALU_DEP_1)
	v_subrev_nc_u32_e32 v6, s2, v3
	s_mov_b32 s2, 0
	s_branch .LBB197_26
.LBB197_25:                             ;   in Loop: Header=BB197_26 Depth=1
	v_add_nc_u32_e32 v2, 4, v2
	v_add_nc_u32_e32 v5, 0x58, v5
	;; [unrolled: 1-line block ×3, first 2 shown]
	s_delay_alu instid0(VALU_DEP_3) | instskip(SKIP_1) | instid1(SALU_CYCLE_1)
	v_cmp_ge_i32_e32 vcc_lo, v2, v13
	s_or_b32 s2, vcc_lo, s2
	s_and_not1_b32 exec_lo, exec_lo, s2
	s_cbranch_execz .LBB197_30
.LBB197_26:                             ; =>This Loop Header: Depth=1
                                        ;     Child Loop BB197_28 Depth 2
	v_ashrrev_i32_e32 v3, 31, v2
	v_dual_mov_b32 v19, v14 :: v_dual_mov_b32 v20, v16
	s_mov_b32 s4, 0
	s_delay_alu instid0(VALU_DEP_2) | instskip(NEXT) | instid1(VALU_DEP_1)
	v_lshlrev_b64 v[17:18], 2, v[2:3]
	v_add_co_u32 v17, vcc_lo, s6, v17
	s_delay_alu instid0(VALU_DEP_2) | instskip(SKIP_4) | instid1(VALU_DEP_1)
	v_add_co_ci_u32_e32 v18, vcc_lo, s7, v18, vcc_lo
	global_load_b32 v3, v[17:18], off
	v_dual_mov_b32 v17, v8 :: v_dual_mov_b32 v18, v15
	s_waitcnt vmcnt(0)
	v_subrev_nc_u32_e32 v3, s12, v3
	v_mul_lo_u32 v7, v3, 11
	s_branch .LBB197_28
.LBB197_27:                             ;   in Loop: Header=BB197_26 Depth=1
                                        ; implicit-def: $vgpr18
                                        ; implicit-def: $vgpr20
                                        ; implicit-def: $vgpr19
                                        ; implicit-def: $vgpr17
                                        ; implicit-def: $sgpr4
	s_branch .LBB197_25
.LBB197_28:                             ;   Parent Loop BB197_26 Depth=1
                                        ; =>  This Inner Loop Header: Depth=2
	v_add_nc_u32_e32 v3, s4, v6
	v_add_nc_u32_e32 v21, s4, v5
	v_mov_b32_e32 v15, v4
	s_cmp_eq_u32 s4, 8
	v_mov_b32_e32 v31, v4
	v_lshlrev_b64 v[22:23], 3, v[3:4]
	v_add_nc_u32_e32 v14, 11, v21
	v_add_nc_u32_e32 v3, s4, v7
	v_mov_b32_e32 v27, v4
	v_mov_b32_e32 v35, v4
	s_delay_alu instid0(VALU_DEP_4) | instskip(NEXT) | instid1(VALU_DEP_4)
	v_lshlrev_b64 v[14:15], 3, v[14:15]
	v_lshlrev_b64 v[24:25], 3, v[3:4]
	v_add_co_u32 v22, vcc_lo, s8, v22
	v_add_co_ci_u32_e32 v23, vcc_lo, s9, v23, vcc_lo
	s_delay_alu instid0(VALU_DEP_3) | instskip(NEXT) | instid1(VALU_DEP_4)
	v_add_co_u32 v28, vcc_lo, s10, v24
	v_add_co_ci_u32_e32 v29, vcc_lo, s11, v25, vcc_lo
	v_add_co_u32 v14, vcc_lo, s8, v14
	v_add_co_ci_u32_e32 v15, vcc_lo, s9, v15, vcc_lo
	global_load_b128 v[22:25], v[22:23], off
	global_load_b64 v[32:33], v[28:29], off
	global_load_b64 v[14:15], v[14:15], off
	s_waitcnt vmcnt(1)
	v_fmac_f32_e32 v17, v23, v32
	s_waitcnt vmcnt(0)
	v_fmac_f32_e32 v18, v15, v32
	v_fmac_f32_e32 v20, v14, v32
	v_add_nc_u32_e32 v30, 12, v21
	s_delay_alu instid0(VALU_DEP_3) | instskip(SKIP_1) | instid1(VALU_DEP_3)
	v_fmac_f32_e32 v18, v14, v33
	v_add_nc_u32_e32 v26, 1, v3
	v_lshlrev_b64 v[28:29], 3, v[30:31]
	v_add_nc_u32_e32 v30, 2, v21
	v_add_nc_u32_e32 v34, 2, v3
	v_fma_f32 v14, -v15, v33, v20
	v_lshlrev_b64 v[26:27], 3, v[26:27]
	s_delay_alu instid0(VALU_DEP_4) | instskip(NEXT) | instid1(VALU_DEP_4)
	v_lshlrev_b64 v[30:31], 3, v[30:31]
	v_lshlrev_b64 v[34:35], 3, v[34:35]
	s_delay_alu instid0(VALU_DEP_3) | instskip(NEXT) | instid1(VALU_DEP_4)
	v_add_co_u32 v26, vcc_lo, s10, v26
	v_add_co_ci_u32_e32 v27, vcc_lo, s11, v27, vcc_lo
	v_add_co_u32 v28, vcc_lo, s8, v28
	v_add_co_ci_u32_e32 v29, vcc_lo, s9, v29, vcc_lo
	global_load_b64 v[36:37], v[26:27], off
	global_load_b128 v[26:29], v[28:29], off
	v_add_co_u32 v30, vcc_lo, s8, v30
	v_add_co_ci_u32_e32 v31, vcc_lo, s9, v31, vcc_lo
	v_add_co_u32 v34, vcc_lo, s10, v34
	v_add_co_ci_u32_e32 v35, vcc_lo, s11, v35, vcc_lo
	global_load_b64 v[30:31], v[30:31], off
	global_load_b64 v[34:35], v[34:35], off
	s_waitcnt vmcnt(2)
	v_dual_fmac_f32 v17, v22, v33 :: v_dual_fmac_f32 v18, v27, v36
	s_delay_alu instid0(VALU_DEP_1) | instskip(SKIP_1) | instid1(VALU_DEP_2)
	v_dual_fmac_f32 v17, v25, v36 :: v_dual_fmac_f32 v18, v26, v37
	v_fmac_f32_e32 v19, v22, v32
	v_dual_fmac_f32 v14, v26, v36 :: v_dual_fmac_f32 v17, v24, v37
	s_waitcnt vmcnt(0)
	s_delay_alu instid0(VALU_DEP_3) | instskip(NEXT) | instid1(VALU_DEP_3)
	v_fmac_f32_e32 v18, v29, v34
	v_fma_f32 v8, -v23, v33, v19
	s_delay_alu instid0(VALU_DEP_3) | instskip(SKIP_1) | instid1(VALU_DEP_3)
	v_fma_f32 v19, -v27, v37, v14
	v_fmac_f32_e32 v17, v31, v34
	v_dual_mov_b32 v15, v18 :: v_dual_fmac_f32 v8, v24, v36
	s_delay_alu instid0(VALU_DEP_3) | instskip(NEXT) | instid1(VALU_DEP_2)
	v_fmac_f32_e32 v19, v28, v34
	v_fmac_f32_e32 v15, v28, v35
	s_delay_alu instid0(VALU_DEP_3) | instskip(SKIP_1) | instid1(VALU_DEP_2)
	v_fma_f32 v16, -v25, v37, v8
	v_mov_b32_e32 v8, v17
	v_fmac_f32_e32 v16, v30, v34
	s_delay_alu instid0(VALU_DEP_2) | instskip(NEXT) | instid1(VALU_DEP_2)
	v_fmac_f32_e32 v8, v30, v35
	v_fma_f32 v14, -v31, v35, v16
	v_fma_f32 v16, -v29, v35, v19
	s_cbranch_scc1 .LBB197_27
; %bb.29:                               ;   in Loop: Header=BB197_28 Depth=2
	v_dual_mov_b32 v18, v4 :: v_dual_add_nc_u32 v3, 3, v3
	v_add_nc_u32_e32 v17, 3, v21
	s_add_i32 s4, s4, 4
	s_delay_alu instid0(VALU_DEP_2) | instskip(SKIP_1) | instid1(VALU_DEP_3)
	v_lshlrev_b64 v[19:20], 3, v[3:4]
	v_add_nc_u32_e32 v3, 14, v21
	v_lshlrev_b64 v[17:18], 3, v[17:18]
	s_delay_alu instid0(VALU_DEP_2) | instskip(NEXT) | instid1(VALU_DEP_2)
	v_lshlrev_b64 v[21:22], 3, v[3:4]
	v_add_co_u32 v17, vcc_lo, s8, v17
	s_delay_alu instid0(VALU_DEP_3)
	v_add_co_ci_u32_e32 v18, vcc_lo, s9, v18, vcc_lo
	v_add_co_u32 v19, vcc_lo, s10, v19
	v_add_co_ci_u32_e32 v20, vcc_lo, s11, v20, vcc_lo
	v_add_co_u32 v21, vcc_lo, s8, v21
	v_add_co_ci_u32_e32 v22, vcc_lo, s9, v22, vcc_lo
	global_load_b64 v[23:24], v[17:18], off
	global_load_b64 v[25:26], v[19:20], off
	;; [unrolled: 1-line block ×3, first 2 shown]
	s_waitcnt vmcnt(1)
	v_fma_f32 v3, v23, v25, v14
	v_fma_f32 v17, v24, v25, v8
	s_waitcnt vmcnt(0)
	v_fma_f32 v20, v21, v25, v16
	v_fma_f32 v18, v22, v25, v15
	v_fma_f32 v19, -v24, v26, v3
	v_fmac_f32_e32 v17, v23, v26
	s_delay_alu instid0(VALU_DEP_4) | instskip(NEXT) | instid1(VALU_DEP_4)
	v_fma_f32 v20, -v22, v26, v20
	v_fmac_f32_e32 v18, v21, v26
	s_cbranch_execnz .LBB197_28
	s_branch .LBB197_25
.LBB197_30:
	s_or_b32 exec_lo, exec_lo, s2
.LBB197_31:
	s_delay_alu instid0(SALU_CYCLE_1)
	s_or_b32 exec_lo, exec_lo, s3
.LBB197_32:
	v_mbcnt_lo_u32_b32 v2, -1, 0
	s_delay_alu instid0(VALU_DEP_1) | instskip(SKIP_1) | instid1(VALU_DEP_2)
	v_xor_b32_e32 v3, 2, v2
	v_xor_b32_e32 v7, 1, v2
	v_cmp_gt_i32_e32 vcc_lo, 32, v3
	v_cndmask_b32_e32 v3, v2, v3, vcc_lo
	s_delay_alu instid0(VALU_DEP_3) | instskip(NEXT) | instid1(VALU_DEP_2)
	v_cmp_gt_i32_e32 vcc_lo, 32, v7
	v_lshlrev_b32_e32 v3, 2, v3
	ds_bpermute_b32 v4, v3, v14
	s_waitcnt lgkmcnt(0)
	v_add_f32_e32 v4, v14, v4
	ds_bpermute_b32 v5, v3, v8
	ds_bpermute_b32 v6, v3, v16
	;; [unrolled: 1-line block ×3, first 2 shown]
	v_cndmask_b32_e32 v2, v2, v7, vcc_lo
	v_cmp_eq_u32_e32 vcc_lo, 3, v0
	s_waitcnt lgkmcnt(2)
	v_add_f32_e32 v5, v8, v5
	s_delay_alu instid0(VALU_DEP_3)
	v_lshlrev_b32_e32 v7, 2, v2
	s_waitcnt lgkmcnt(0)
	v_dual_add_f32 v2, v16, v6 :: v_dual_add_f32 v3, v15, v3
	ds_bpermute_b32 v8, v7, v4
	ds_bpermute_b32 v13, v7, v5
	ds_bpermute_b32 v6, v7, v2
	ds_bpermute_b32 v7, v7, v3
	s_and_b32 exec_lo, exec_lo, vcc_lo
	s_cbranch_execz .LBB197_37
; %bb.33:
	s_load_b64 s[2:3], s[0:1], 0x38
	v_cmp_eq_f32_e32 vcc_lo, 0, v11
	v_cmp_eq_f32_e64 s0, 0, v12
	s_waitcnt lgkmcnt(0)
	v_dual_add_f32 v0, v4, v8 :: v_dual_add_f32 v3, v3, v7
	v_add_f32_e32 v4, v5, v13
	v_add_f32_e32 v2, v2, v6
	s_and_b32 s0, vcc_lo, s0
	s_delay_alu instid0(SALU_CYCLE_1) | instskip(NEXT) | instid1(SALU_CYCLE_1)
	s_and_saveexec_b32 s1, s0
	s_xor_b32 s0, exec_lo, s1
	s_cbranch_execz .LBB197_35
; %bb.34:
	v_mul_f32_e64 v5, v4, -v10
	v_mul_f32_e32 v6, v4, v9
	v_mul_f32_e64 v7, v3, -v10
	v_mul_f32_e32 v8, v3, v9
                                        ; implicit-def: $vgpr4
                                        ; implicit-def: $vgpr3
	s_delay_alu instid0(VALU_DEP_4) | instskip(NEXT) | instid1(VALU_DEP_4)
	v_fmac_f32_e32 v5, v9, v0
	v_dual_fmac_f32 v6, v10, v0 :: v_dual_lshlrev_b32 v11, 1, v1
	s_delay_alu instid0(VALU_DEP_4) | instskip(NEXT) | instid1(VALU_DEP_4)
	v_fmac_f32_e32 v7, v9, v2
	v_fmac_f32_e32 v8, v10, v2
                                        ; implicit-def: $vgpr9
                                        ; implicit-def: $vgpr10
                                        ; implicit-def: $vgpr2
	s_delay_alu instid0(VALU_DEP_3) | instskip(NEXT) | instid1(VALU_DEP_1)
	v_ashrrev_i32_e32 v12, 31, v11
	v_lshlrev_b64 v[11:12], 3, v[11:12]
	s_delay_alu instid0(VALU_DEP_1) | instskip(NEXT) | instid1(VALU_DEP_2)
	v_add_co_u32 v0, vcc_lo, s2, v11
	v_add_co_ci_u32_e32 v1, vcc_lo, s3, v12, vcc_lo
                                        ; implicit-def: $vgpr11
                                        ; implicit-def: $vgpr12
	global_store_b128 v[0:1], v[5:8], off
                                        ; implicit-def: $vgpr1
                                        ; implicit-def: $vgpr0
.LBB197_35:
	s_and_not1_saveexec_b32 s0, s0
	s_cbranch_execz .LBB197_37
; %bb.36:
	v_lshlrev_b32_e32 v5, 1, v1
	v_mul_f32_e64 v15, v4, -v10
	v_mul_f32_e32 v1, v4, v9
	v_mul_f32_e64 v4, v3, -v10
	v_mul_f32_e32 v3, v3, v9
	s_delay_alu instid0(VALU_DEP_4) | instskip(NEXT) | instid1(VALU_DEP_3)
	v_fmac_f32_e32 v15, v9, v0
	v_fmac_f32_e32 v4, v9, v2
	v_ashrrev_i32_e32 v6, 31, v5
	s_delay_alu instid0(VALU_DEP_4) | instskip(NEXT) | instid1(VALU_DEP_2)
	v_fmac_f32_e32 v3, v10, v2
	v_lshlrev_b64 v[5:6], 3, v[5:6]
	s_delay_alu instid0(VALU_DEP_1) | instskip(NEXT) | instid1(VALU_DEP_2)
	v_add_co_u32 v13, vcc_lo, s2, v5
	v_add_co_ci_u32_e32 v14, vcc_lo, s3, v6, vcc_lo
	global_load_b128 v[5:8], v[13:14], off
	s_waitcnt vmcnt(0)
	v_dual_fmac_f32 v4, v11, v7 :: v_dual_fmac_f32 v1, v10, v0
	v_fmac_f32_e32 v15, v11, v5
	v_fmac_f32_e32 v3, v12, v7
	s_delay_alu instid0(VALU_DEP_3) | instskip(NEXT) | instid1(VALU_DEP_4)
	v_fma_f32 v2, -v12, v8, v4
	v_fmac_f32_e32 v1, v12, v5
	s_delay_alu instid0(VALU_DEP_4) | instskip(NEXT) | instid1(VALU_DEP_4)
	v_fma_f32 v0, -v12, v6, v15
	v_fmac_f32_e32 v3, v11, v8
	s_delay_alu instid0(VALU_DEP_3)
	v_fmac_f32_e32 v1, v11, v6
	global_store_b128 v[13:14], v[0:3], off
.LBB197_37:
	s_nop 0
	s_sendmsg sendmsg(MSG_DEALLOC_VGPRS)
	s_endpgm
	.section	.rodata,"a",@progbits
	.p2align	6, 0x0
	.amdhsa_kernel _ZN9rocsparseL19gebsrmvn_2xn_kernelILj128ELj11ELj4E21rocsparse_complex_numIfEEEvi20rocsparse_direction_NS_24const_host_device_scalarIT2_EEPKiS8_PKS5_SA_S6_PS5_21rocsparse_index_base_b
		.amdhsa_group_segment_fixed_size 0
		.amdhsa_private_segment_fixed_size 0
		.amdhsa_kernarg_size 72
		.amdhsa_user_sgpr_count 15
		.amdhsa_user_sgpr_dispatch_ptr 0
		.amdhsa_user_sgpr_queue_ptr 0
		.amdhsa_user_sgpr_kernarg_segment_ptr 1
		.amdhsa_user_sgpr_dispatch_id 0
		.amdhsa_user_sgpr_private_segment_size 0
		.amdhsa_wavefront_size32 1
		.amdhsa_uses_dynamic_stack 0
		.amdhsa_enable_private_segment 0
		.amdhsa_system_sgpr_workgroup_id_x 1
		.amdhsa_system_sgpr_workgroup_id_y 0
		.amdhsa_system_sgpr_workgroup_id_z 0
		.amdhsa_system_sgpr_workgroup_info 0
		.amdhsa_system_vgpr_workitem_id 0
		.amdhsa_next_free_vgpr 40
		.amdhsa_next_free_sgpr 16
		.amdhsa_reserve_vcc 1
		.amdhsa_float_round_mode_32 0
		.amdhsa_float_round_mode_16_64 0
		.amdhsa_float_denorm_mode_32 3
		.amdhsa_float_denorm_mode_16_64 3
		.amdhsa_dx10_clamp 1
		.amdhsa_ieee_mode 1
		.amdhsa_fp16_overflow 0
		.amdhsa_workgroup_processor_mode 1
		.amdhsa_memory_ordered 1
		.amdhsa_forward_progress 0
		.amdhsa_shared_vgpr_count 0
		.amdhsa_exception_fp_ieee_invalid_op 0
		.amdhsa_exception_fp_denorm_src 0
		.amdhsa_exception_fp_ieee_div_zero 0
		.amdhsa_exception_fp_ieee_overflow 0
		.amdhsa_exception_fp_ieee_underflow 0
		.amdhsa_exception_fp_ieee_inexact 0
		.amdhsa_exception_int_div_zero 0
	.end_amdhsa_kernel
	.section	.text._ZN9rocsparseL19gebsrmvn_2xn_kernelILj128ELj11ELj4E21rocsparse_complex_numIfEEEvi20rocsparse_direction_NS_24const_host_device_scalarIT2_EEPKiS8_PKS5_SA_S6_PS5_21rocsparse_index_base_b,"axG",@progbits,_ZN9rocsparseL19gebsrmvn_2xn_kernelILj128ELj11ELj4E21rocsparse_complex_numIfEEEvi20rocsparse_direction_NS_24const_host_device_scalarIT2_EEPKiS8_PKS5_SA_S6_PS5_21rocsparse_index_base_b,comdat
.Lfunc_end197:
	.size	_ZN9rocsparseL19gebsrmvn_2xn_kernelILj128ELj11ELj4E21rocsparse_complex_numIfEEEvi20rocsparse_direction_NS_24const_host_device_scalarIT2_EEPKiS8_PKS5_SA_S6_PS5_21rocsparse_index_base_b, .Lfunc_end197-_ZN9rocsparseL19gebsrmvn_2xn_kernelILj128ELj11ELj4E21rocsparse_complex_numIfEEEvi20rocsparse_direction_NS_24const_host_device_scalarIT2_EEPKiS8_PKS5_SA_S6_PS5_21rocsparse_index_base_b
                                        ; -- End function
	.section	.AMDGPU.csdata,"",@progbits
; Kernel info:
; codeLenInByte = 2568
; NumSgprs: 18
; NumVgprs: 40
; ScratchSize: 0
; MemoryBound: 0
; FloatMode: 240
; IeeeMode: 1
; LDSByteSize: 0 bytes/workgroup (compile time only)
; SGPRBlocks: 2
; VGPRBlocks: 4
; NumSGPRsForWavesPerEU: 18
; NumVGPRsForWavesPerEU: 40
; Occupancy: 16
; WaveLimiterHint : 1
; COMPUTE_PGM_RSRC2:SCRATCH_EN: 0
; COMPUTE_PGM_RSRC2:USER_SGPR: 15
; COMPUTE_PGM_RSRC2:TRAP_HANDLER: 0
; COMPUTE_PGM_RSRC2:TGID_X_EN: 1
; COMPUTE_PGM_RSRC2:TGID_Y_EN: 0
; COMPUTE_PGM_RSRC2:TGID_Z_EN: 0
; COMPUTE_PGM_RSRC2:TIDIG_COMP_CNT: 0
	.section	.text._ZN9rocsparseL19gebsrmvn_2xn_kernelILj128ELj11ELj8E21rocsparse_complex_numIfEEEvi20rocsparse_direction_NS_24const_host_device_scalarIT2_EEPKiS8_PKS5_SA_S6_PS5_21rocsparse_index_base_b,"axG",@progbits,_ZN9rocsparseL19gebsrmvn_2xn_kernelILj128ELj11ELj8E21rocsparse_complex_numIfEEEvi20rocsparse_direction_NS_24const_host_device_scalarIT2_EEPKiS8_PKS5_SA_S6_PS5_21rocsparse_index_base_b,comdat
	.globl	_ZN9rocsparseL19gebsrmvn_2xn_kernelILj128ELj11ELj8E21rocsparse_complex_numIfEEEvi20rocsparse_direction_NS_24const_host_device_scalarIT2_EEPKiS8_PKS5_SA_S6_PS5_21rocsparse_index_base_b ; -- Begin function _ZN9rocsparseL19gebsrmvn_2xn_kernelILj128ELj11ELj8E21rocsparse_complex_numIfEEEvi20rocsparse_direction_NS_24const_host_device_scalarIT2_EEPKiS8_PKS5_SA_S6_PS5_21rocsparse_index_base_b
	.p2align	8
	.type	_ZN9rocsparseL19gebsrmvn_2xn_kernelILj128ELj11ELj8E21rocsparse_complex_numIfEEEvi20rocsparse_direction_NS_24const_host_device_scalarIT2_EEPKiS8_PKS5_SA_S6_PS5_21rocsparse_index_base_b,@function
_ZN9rocsparseL19gebsrmvn_2xn_kernelILj128ELj11ELj8E21rocsparse_complex_numIfEEEvi20rocsparse_direction_NS_24const_host_device_scalarIT2_EEPKiS8_PKS5_SA_S6_PS5_21rocsparse_index_base_b: ; @_ZN9rocsparseL19gebsrmvn_2xn_kernelILj128ELj11ELj8E21rocsparse_complex_numIfEEEvi20rocsparse_direction_NS_24const_host_device_scalarIT2_EEPKiS8_PKS5_SA_S6_PS5_21rocsparse_index_base_b
; %bb.0:
	s_clause 0x2
	s_load_b64 s[12:13], s[0:1], 0x40
	s_load_b64 s[4:5], s[0:1], 0x8
	s_load_b64 s[2:3], s[0:1], 0x30
	s_waitcnt lgkmcnt(0)
	s_bitcmp1_b32 s13, 0
	v_mov_b32_e32 v9, s4
	s_cselect_b32 s6, -1, 0
	s_delay_alu instid0(SALU_CYCLE_1)
	s_and_b32 vcc_lo, exec_lo, s6
	s_xor_b32 s6, s6, -1
	s_cbranch_vccz .LBB198_17
; %bb.1:
	v_cndmask_b32_e64 v1, 0, 1, s6
	v_mov_b32_e32 v10, s5
	s_and_not1_b32 vcc_lo, exec_lo, s6
	s_cbranch_vccz .LBB198_18
.LBB198_2:
	s_delay_alu instid0(VALU_DEP_2)
	v_cmp_ne_u32_e32 vcc_lo, 1, v1
	v_mov_b32_e32 v11, s2
	s_cbranch_vccz .LBB198_19
.LBB198_3:
	v_cmp_ne_u32_e32 vcc_lo, 1, v1
	v_mov_b32_e32 v12, s3
	s_cbranch_vccnz .LBB198_5
.LBB198_4:
	v_dual_mov_b32 v1, s2 :: v_dual_mov_b32 v2, s3
	flat_load_b32 v12, v[1:2] offset:4
.LBB198_5:
	s_waitcnt vmcnt(0) lgkmcnt(0)
	v_cmp_eq_f32_e32 vcc_lo, 0, v9
	v_cmp_eq_f32_e64 s2, 0, v10
	s_delay_alu instid0(VALU_DEP_1)
	s_and_b32 s4, vcc_lo, s2
	s_mov_b32 s2, -1
	s_and_saveexec_b32 s3, s4
; %bb.6:
	v_cmp_neq_f32_e32 vcc_lo, 1.0, v11
	v_cmp_neq_f32_e64 s2, 0, v12
	s_delay_alu instid0(VALU_DEP_1) | instskip(NEXT) | instid1(SALU_CYCLE_1)
	s_or_b32 s2, vcc_lo, s2
	s_or_not1_b32 s2, s2, exec_lo
; %bb.7:
	s_or_b32 exec_lo, exec_lo, s3
	s_and_saveexec_b32 s3, s2
	s_cbranch_execz .LBB198_37
; %bb.8:
	s_load_b64 s[2:3], s[0:1], 0x0
	v_lshrrev_b32_e32 v1, 3, v0
	s_delay_alu instid0(VALU_DEP_1) | instskip(SKIP_1) | instid1(VALU_DEP_1)
	v_lshl_or_b32 v1, s15, 4, v1
	s_waitcnt lgkmcnt(0)
	v_cmp_gt_i32_e32 vcc_lo, s2, v1
	s_and_b32 exec_lo, exec_lo, vcc_lo
	s_cbranch_execz .LBB198_37
; %bb.9:
	s_load_b256 s[4:11], s[0:1], 0x10
	v_ashrrev_i32_e32 v2, 31, v1
	v_and_b32_e32 v0, 7, v0
	s_cmp_lg_u32 s3, 0
	s_delay_alu instid0(VALU_DEP_2) | instskip(SKIP_1) | instid1(VALU_DEP_1)
	v_lshlrev_b64 v[2:3], 2, v[1:2]
	s_waitcnt lgkmcnt(0)
	v_add_co_u32 v2, vcc_lo, s4, v2
	s_delay_alu instid0(VALU_DEP_2) | instskip(SKIP_4) | instid1(VALU_DEP_2)
	v_add_co_ci_u32_e32 v3, vcc_lo, s5, v3, vcc_lo
	global_load_b64 v[3:4], v[2:3], off
	s_waitcnt vmcnt(0)
	v_subrev_nc_u32_e32 v2, s12, v3
	v_subrev_nc_u32_e32 v13, s12, v4
	v_add_nc_u32_e32 v2, v2, v0
	s_delay_alu instid0(VALU_DEP_1)
	v_cmp_lt_i32_e64 s2, v2, v13
	s_cbranch_scc0 .LBB198_20
; %bb.10:
	v_dual_mov_b32 v8, 0 :: v_dual_mov_b32 v15, 0
	v_mov_b32_e32 v14, 0
	v_mov_b32_e32 v16, 0
	s_mov_b32 s3, 0
	s_and_saveexec_b32 s4, s2
	s_cbranch_execz .LBB198_22
; %bb.11:
	v_mul_lo_u32 v4, v3, 22
	v_mul_lo_u32 v17, v2, 22
	s_mul_i32 s5, s12, 22
	v_dual_mov_b32 v5, 0 :: v_dual_mov_b32 v6, v2
	v_dual_mov_b32 v8, 0 :: v_dual_mov_b32 v15, 0
	v_mov_b32_e32 v14, 0
	v_mad_u32_u24 v4, v0, 22, v4
	v_mov_b32_e32 v16, 0
	s_delay_alu instid0(VALU_DEP_2)
	v_subrev_nc_u32_e32 v18, s5, v4
	s_mov_b32 s5, 0
	s_branch .LBB198_13
.LBB198_12:                             ;   in Loop: Header=BB198_13 Depth=1
	v_add_nc_u32_e32 v6, 8, v6
	v_add_nc_u32_e32 v17, 0xb0, v17
	v_add_nc_u32_e32 v18, 0xb0, v18
	s_delay_alu instid0(VALU_DEP_3) | instskip(SKIP_1) | instid1(SALU_CYCLE_1)
	v_cmp_ge_i32_e32 vcc_lo, v6, v13
	s_or_b32 s5, vcc_lo, s5
	s_and_not1_b32 exec_lo, exec_lo, s5
	s_cbranch_execz .LBB198_21
.LBB198_13:                             ; =>This Loop Header: Depth=1
                                        ;     Child Loop BB198_15 Depth 2
	v_ashrrev_i32_e32 v7, 31, v6
	v_dual_mov_b32 v21, v14 :: v_dual_mov_b32 v22, v16
	s_mov_b32 s13, 0
	s_delay_alu instid0(VALU_DEP_2) | instskip(NEXT) | instid1(VALU_DEP_1)
	v_lshlrev_b64 v[19:20], 2, v[6:7]
	v_add_co_u32 v19, vcc_lo, s6, v19
	s_delay_alu instid0(VALU_DEP_2) | instskip(SKIP_4) | instid1(VALU_DEP_1)
	v_add_co_ci_u32_e32 v20, vcc_lo, s7, v20, vcc_lo
	global_load_b32 v4, v[19:20], off
	v_dual_mov_b32 v19, v8 :: v_dual_mov_b32 v20, v15
	s_waitcnt vmcnt(0)
	v_subrev_nc_u32_e32 v4, s12, v4
	v_mul_lo_u32 v7, v4, 11
	s_branch .LBB198_15
.LBB198_14:                             ;   in Loop: Header=BB198_13 Depth=1
                                        ; implicit-def: $vgpr20
                                        ; implicit-def: $vgpr22
                                        ; implicit-def: $vgpr21
                                        ; implicit-def: $vgpr19
                                        ; implicit-def: $sgpr13
                                        ; implicit-def: $vgpr7
	s_branch .LBB198_12
.LBB198_15:                             ;   Parent Loop BB198_13 Depth=1
                                        ; =>  This Inner Loop Header: Depth=2
	v_add_nc_u32_e32 v4, s13, v18
	v_dual_mov_b32 v8, v5 :: v_dual_add_nc_u32 v23, s13, v17
	s_cmp_eq_u32 s13, 16
	s_delay_alu instid0(VALU_DEP_2) | instskip(NEXT) | instid1(VALU_DEP_2)
	v_lshlrev_b64 v[14:15], 3, v[4:5]
	v_lshlrev_b64 v[24:25], 3, v[7:8]
	s_delay_alu instid0(VALU_DEP_2) | instskip(NEXT) | instid1(VALU_DEP_3)
	v_add_co_u32 v14, vcc_lo, s8, v14
	v_add_co_ci_u32_e32 v15, vcc_lo, s9, v15, vcc_lo
	s_delay_alu instid0(VALU_DEP_3) | instskip(NEXT) | instid1(VALU_DEP_4)
	v_add_co_u32 v28, vcc_lo, s10, v24
	v_add_co_ci_u32_e32 v29, vcc_lo, s11, v25, vcc_lo
	global_load_b128 v[24:27], v[14:15], off
	global_load_b64 v[14:15], v[28:29], off
	s_waitcnt vmcnt(0)
	v_dual_fmac_f32 v19, v25, v14 :: v_dual_add_nc_u32 v4, 2, v23
	s_delay_alu instid0(VALU_DEP_1) | instskip(SKIP_1) | instid1(VALU_DEP_3)
	v_lshlrev_b64 v[30:31], 3, v[4:5]
	v_dual_fmac_f32 v21, v24, v14 :: v_dual_add_nc_u32 v4, 1, v7
	v_fmac_f32_e32 v19, v24, v15
	s_delay_alu instid0(VALU_DEP_2) | instskip(NEXT) | instid1(VALU_DEP_4)
	v_lshlrev_b64 v[28:29], 3, v[4:5]
	v_add_co_u32 v30, vcc_lo, s8, v30
	v_add_co_ci_u32_e32 v31, vcc_lo, s9, v31, vcc_lo
	s_delay_alu instid0(VALU_DEP_3) | instskip(NEXT) | instid1(VALU_DEP_4)
	v_add_co_u32 v32, vcc_lo, s10, v28
	v_add_co_ci_u32_e32 v33, vcc_lo, s11, v29, vcc_lo
	global_load_b128 v[28:31], v[30:31], off
	global_load_b64 v[36:37], v[32:33], off
	s_waitcnt vmcnt(0)
	v_dual_fmac_f32 v19, v29, v36 :: v_dual_add_nc_u32 v4, 4, v23
	s_delay_alu instid0(VALU_DEP_1) | instskip(NEXT) | instid1(VALU_DEP_2)
	v_lshlrev_b64 v[34:35], 3, v[4:5]
	v_dual_fmac_f32 v19, v28, v37 :: v_dual_add_nc_u32 v4, 2, v7
	s_delay_alu instid0(VALU_DEP_1) | instskip(NEXT) | instid1(VALU_DEP_3)
	v_lshlrev_b64 v[32:33], 3, v[4:5]
	v_add_co_u32 v34, vcc_lo, s8, v34
	s_delay_alu instid0(VALU_DEP_4) | instskip(SKIP_1) | instid1(VALU_DEP_4)
	v_add_co_ci_u32_e32 v35, vcc_lo, s9, v35, vcc_lo
	v_fma_f32 v4, -v25, v15, v21
	v_add_co_u32 v38, vcc_lo, s10, v32
	v_add_co_ci_u32_e32 v39, vcc_lo, s11, v33, vcc_lo
	global_load_b128 v[32:35], v[34:35], off
	global_load_b64 v[38:39], v[38:39], off
	v_fmac_f32_e32 v20, v27, v14
	v_fmac_f32_e32 v4, v28, v36
	s_delay_alu instid0(VALU_DEP_2) | instskip(NEXT) | instid1(VALU_DEP_2)
	v_fmac_f32_e32 v20, v26, v15
	v_fma_f32 v4, -v29, v37, v4
	s_waitcnt vmcnt(0)
	s_delay_alu instid0(VALU_DEP_2) | instskip(NEXT) | instid1(VALU_DEP_2)
	v_dual_fmac_f32 v19, v33, v38 :: v_dual_fmac_f32 v20, v31, v36
	v_fmac_f32_e32 v4, v32, v38
	s_delay_alu instid0(VALU_DEP_2) | instskip(NEXT) | instid1(VALU_DEP_1)
	v_fmac_f32_e32 v20, v30, v37
	v_fmac_f32_e32 v20, v35, v38
	;; [unrolled: 1-line block ×3, first 2 shown]
	s_delay_alu instid0(VALU_DEP_4) | instskip(NEXT) | instid1(VALU_DEP_2)
	v_fma_f32 v14, -v33, v39, v4
	v_fma_f32 v8, -v27, v15, v22
	s_delay_alu instid0(VALU_DEP_1) | instskip(NEXT) | instid1(VALU_DEP_1)
	v_dual_mov_b32 v15, v20 :: v_dual_fmac_f32 v8, v30, v36
	v_fmac_f32_e32 v15, v34, v39
	s_delay_alu instid0(VALU_DEP_2) | instskip(SKIP_1) | instid1(VALU_DEP_2)
	v_fma_f32 v16, -v31, v37, v8
	v_mov_b32_e32 v8, v19
	v_fmac_f32_e32 v16, v34, v38
	s_delay_alu instid0(VALU_DEP_2) | instskip(NEXT) | instid1(VALU_DEP_2)
	v_fmac_f32_e32 v8, v32, v39
	v_fma_f32 v16, -v35, v39, v16
	s_cbranch_scc1 .LBB198_14
; %bb.16:                               ;   in Loop: Header=BB198_15 Depth=2
	v_add_nc_u32_e32 v4, 6, v23
	s_add_i32 s13, s13, 8
	s_delay_alu instid0(VALU_DEP_1) | instskip(SKIP_2) | instid1(VALU_DEP_2)
	v_lshlrev_b64 v[19:20], 3, v[4:5]
	v_add_nc_u32_e32 v4, 3, v7
	v_add_nc_u32_e32 v7, 4, v7
	v_lshlrev_b64 v[21:22], 3, v[4:5]
	s_delay_alu instid0(VALU_DEP_4) | instskip(SKIP_1) | instid1(VALU_DEP_3)
	v_add_co_u32 v19, vcc_lo, s8, v19
	v_add_co_ci_u32_e32 v20, vcc_lo, s9, v20, vcc_lo
	v_add_co_u32 v26, vcc_lo, s10, v21
	s_delay_alu instid0(VALU_DEP_4)
	v_add_co_ci_u32_e32 v27, vcc_lo, s11, v22, vcc_lo
	global_load_b128 v[22:25], v[19:20], off
	global_load_b64 v[26:27], v[26:27], off
	s_waitcnt vmcnt(0)
	v_fma_f32 v4, v22, v26, v14
	v_fma_f32 v19, v23, v26, v8
	;; [unrolled: 1-line block ×4, first 2 shown]
	s_delay_alu instid0(VALU_DEP_4) | instskip(NEXT) | instid1(VALU_DEP_4)
	v_fma_f32 v21, -v23, v27, v4
	v_fmac_f32_e32 v19, v22, v27
	s_delay_alu instid0(VALU_DEP_4) | instskip(NEXT) | instid1(VALU_DEP_4)
	v_fma_f32 v22, -v25, v27, v28
	v_fmac_f32_e32 v20, v24, v27
	s_cbranch_execnz .LBB198_15
	s_branch .LBB198_12
.LBB198_17:
	v_dual_mov_b32 v1, s4 :: v_dual_mov_b32 v2, s5
	flat_load_b32 v9, v[1:2]
	v_cndmask_b32_e64 v1, 0, 1, s6
	v_mov_b32_e32 v10, s5
	s_and_not1_b32 vcc_lo, exec_lo, s6
	s_cbranch_vccnz .LBB198_2
.LBB198_18:
	v_dual_mov_b32 v2, s4 :: v_dual_mov_b32 v3, s5
	flat_load_b32 v10, v[2:3] offset:4
	v_cmp_ne_u32_e32 vcc_lo, 1, v1
	v_mov_b32_e32 v11, s2
	s_cbranch_vccnz .LBB198_3
.LBB198_19:
	v_dual_mov_b32 v2, s2 :: v_dual_mov_b32 v3, s3
	flat_load_b32 v11, v[2:3]
	v_cmp_ne_u32_e32 vcc_lo, 1, v1
	v_mov_b32_e32 v12, s3
	s_cbranch_vccz .LBB198_4
	s_branch .LBB198_5
.LBB198_20:
                                        ; implicit-def: $vgpr8
                                        ; implicit-def: $vgpr14
                                        ; implicit-def: $vgpr16
                                        ; implicit-def: $vgpr15
	s_branch .LBB198_23
.LBB198_21:
	s_or_b32 exec_lo, exec_lo, s5
.LBB198_22:
	s_delay_alu instid0(SALU_CYCLE_1) | instskip(NEXT) | instid1(SALU_CYCLE_1)
	s_or_b32 exec_lo, exec_lo, s4
	s_and_not1_b32 vcc_lo, exec_lo, s3
	s_cbranch_vccnz .LBB198_32
.LBB198_23:
	v_dual_mov_b32 v8, 0 :: v_dual_mov_b32 v15, 0
	v_mov_b32_e32 v14, 0
	v_mov_b32_e32 v16, 0
	s_and_saveexec_b32 s3, s2
	s_cbranch_execz .LBB198_31
; %bb.24:
	v_mul_lo_u32 v3, v3, 22
	v_mul_lo_u32 v5, v2, 22
	s_mul_i32 s2, s12, 22
	v_dual_mov_b32 v4, 0 :: v_dual_mov_b32 v15, 0
	v_mov_b32_e32 v8, 0
	v_mov_b32_e32 v14, 0
	;; [unrolled: 1-line block ×3, first 2 shown]
	v_mad_u32_u24 v3, v0, 22, v3
	s_delay_alu instid0(VALU_DEP_1)
	v_subrev_nc_u32_e32 v6, s2, v3
	s_mov_b32 s2, 0
	s_branch .LBB198_26
.LBB198_25:                             ;   in Loop: Header=BB198_26 Depth=1
	v_add_nc_u32_e32 v2, 8, v2
	v_add_nc_u32_e32 v5, 0xb0, v5
	;; [unrolled: 1-line block ×3, first 2 shown]
	s_delay_alu instid0(VALU_DEP_3) | instskip(SKIP_1) | instid1(SALU_CYCLE_1)
	v_cmp_ge_i32_e32 vcc_lo, v2, v13
	s_or_b32 s2, vcc_lo, s2
	s_and_not1_b32 exec_lo, exec_lo, s2
	s_cbranch_execz .LBB198_30
.LBB198_26:                             ; =>This Loop Header: Depth=1
                                        ;     Child Loop BB198_28 Depth 2
	v_ashrrev_i32_e32 v3, 31, v2
	v_dual_mov_b32 v19, v14 :: v_dual_mov_b32 v20, v16
	s_mov_b32 s4, 0
	s_delay_alu instid0(VALU_DEP_2) | instskip(NEXT) | instid1(VALU_DEP_1)
	v_lshlrev_b64 v[17:18], 2, v[2:3]
	v_add_co_u32 v17, vcc_lo, s6, v17
	s_delay_alu instid0(VALU_DEP_2) | instskip(SKIP_4) | instid1(VALU_DEP_1)
	v_add_co_ci_u32_e32 v18, vcc_lo, s7, v18, vcc_lo
	global_load_b32 v3, v[17:18], off
	v_dual_mov_b32 v17, v8 :: v_dual_mov_b32 v18, v15
	s_waitcnt vmcnt(0)
	v_subrev_nc_u32_e32 v3, s12, v3
	v_mul_lo_u32 v7, v3, 11
	s_branch .LBB198_28
.LBB198_27:                             ;   in Loop: Header=BB198_26 Depth=1
                                        ; implicit-def: $vgpr18
                                        ; implicit-def: $vgpr20
                                        ; implicit-def: $vgpr19
                                        ; implicit-def: $vgpr17
                                        ; implicit-def: $sgpr4
	s_branch .LBB198_25
.LBB198_28:                             ;   Parent Loop BB198_26 Depth=1
                                        ; =>  This Inner Loop Header: Depth=2
	v_add_nc_u32_e32 v3, s4, v6
	v_add_nc_u32_e32 v21, s4, v5
	v_mov_b32_e32 v15, v4
	s_cmp_eq_u32 s4, 8
	v_mov_b32_e32 v31, v4
	v_lshlrev_b64 v[22:23], 3, v[3:4]
	v_add_nc_u32_e32 v14, 11, v21
	v_add_nc_u32_e32 v3, s4, v7
	v_mov_b32_e32 v27, v4
	v_mov_b32_e32 v35, v4
	s_delay_alu instid0(VALU_DEP_4) | instskip(NEXT) | instid1(VALU_DEP_4)
	v_lshlrev_b64 v[14:15], 3, v[14:15]
	v_lshlrev_b64 v[24:25], 3, v[3:4]
	v_add_co_u32 v22, vcc_lo, s8, v22
	v_add_co_ci_u32_e32 v23, vcc_lo, s9, v23, vcc_lo
	s_delay_alu instid0(VALU_DEP_3) | instskip(NEXT) | instid1(VALU_DEP_4)
	v_add_co_u32 v28, vcc_lo, s10, v24
	v_add_co_ci_u32_e32 v29, vcc_lo, s11, v25, vcc_lo
	v_add_co_u32 v14, vcc_lo, s8, v14
	v_add_co_ci_u32_e32 v15, vcc_lo, s9, v15, vcc_lo
	global_load_b128 v[22:25], v[22:23], off
	global_load_b64 v[32:33], v[28:29], off
	global_load_b64 v[14:15], v[14:15], off
	s_waitcnt vmcnt(1)
	v_fmac_f32_e32 v17, v23, v32
	s_waitcnt vmcnt(0)
	v_fmac_f32_e32 v18, v15, v32
	v_fmac_f32_e32 v20, v14, v32
	v_add_nc_u32_e32 v30, 12, v21
	s_delay_alu instid0(VALU_DEP_3) | instskip(SKIP_1) | instid1(VALU_DEP_3)
	v_fmac_f32_e32 v18, v14, v33
	v_add_nc_u32_e32 v26, 1, v3
	v_lshlrev_b64 v[28:29], 3, v[30:31]
	v_add_nc_u32_e32 v30, 2, v21
	v_add_nc_u32_e32 v34, 2, v3
	v_fma_f32 v14, -v15, v33, v20
	v_lshlrev_b64 v[26:27], 3, v[26:27]
	s_delay_alu instid0(VALU_DEP_4) | instskip(NEXT) | instid1(VALU_DEP_4)
	v_lshlrev_b64 v[30:31], 3, v[30:31]
	v_lshlrev_b64 v[34:35], 3, v[34:35]
	s_delay_alu instid0(VALU_DEP_3) | instskip(NEXT) | instid1(VALU_DEP_4)
	v_add_co_u32 v26, vcc_lo, s10, v26
	v_add_co_ci_u32_e32 v27, vcc_lo, s11, v27, vcc_lo
	v_add_co_u32 v28, vcc_lo, s8, v28
	v_add_co_ci_u32_e32 v29, vcc_lo, s9, v29, vcc_lo
	global_load_b64 v[36:37], v[26:27], off
	global_load_b128 v[26:29], v[28:29], off
	v_add_co_u32 v30, vcc_lo, s8, v30
	v_add_co_ci_u32_e32 v31, vcc_lo, s9, v31, vcc_lo
	v_add_co_u32 v34, vcc_lo, s10, v34
	v_add_co_ci_u32_e32 v35, vcc_lo, s11, v35, vcc_lo
	global_load_b64 v[30:31], v[30:31], off
	global_load_b64 v[34:35], v[34:35], off
	s_waitcnt vmcnt(2)
	v_dual_fmac_f32 v17, v22, v33 :: v_dual_fmac_f32 v18, v27, v36
	s_delay_alu instid0(VALU_DEP_1) | instskip(SKIP_1) | instid1(VALU_DEP_2)
	v_dual_fmac_f32 v17, v25, v36 :: v_dual_fmac_f32 v18, v26, v37
	v_fmac_f32_e32 v19, v22, v32
	v_dual_fmac_f32 v14, v26, v36 :: v_dual_fmac_f32 v17, v24, v37
	s_waitcnt vmcnt(0)
	s_delay_alu instid0(VALU_DEP_3) | instskip(NEXT) | instid1(VALU_DEP_3)
	v_fmac_f32_e32 v18, v29, v34
	v_fma_f32 v8, -v23, v33, v19
	s_delay_alu instid0(VALU_DEP_3) | instskip(SKIP_1) | instid1(VALU_DEP_3)
	v_fma_f32 v19, -v27, v37, v14
	v_fmac_f32_e32 v17, v31, v34
	v_dual_mov_b32 v15, v18 :: v_dual_fmac_f32 v8, v24, v36
	s_delay_alu instid0(VALU_DEP_3) | instskip(NEXT) | instid1(VALU_DEP_2)
	v_fmac_f32_e32 v19, v28, v34
	v_fmac_f32_e32 v15, v28, v35
	s_delay_alu instid0(VALU_DEP_3) | instskip(SKIP_1) | instid1(VALU_DEP_2)
	v_fma_f32 v16, -v25, v37, v8
	v_mov_b32_e32 v8, v17
	v_fmac_f32_e32 v16, v30, v34
	s_delay_alu instid0(VALU_DEP_2) | instskip(NEXT) | instid1(VALU_DEP_2)
	v_fmac_f32_e32 v8, v30, v35
	v_fma_f32 v14, -v31, v35, v16
	v_fma_f32 v16, -v29, v35, v19
	s_cbranch_scc1 .LBB198_27
; %bb.29:                               ;   in Loop: Header=BB198_28 Depth=2
	v_dual_mov_b32 v18, v4 :: v_dual_add_nc_u32 v3, 3, v3
	v_add_nc_u32_e32 v17, 3, v21
	s_add_i32 s4, s4, 4
	s_delay_alu instid0(VALU_DEP_2) | instskip(SKIP_1) | instid1(VALU_DEP_3)
	v_lshlrev_b64 v[19:20], 3, v[3:4]
	v_add_nc_u32_e32 v3, 14, v21
	v_lshlrev_b64 v[17:18], 3, v[17:18]
	s_delay_alu instid0(VALU_DEP_2) | instskip(NEXT) | instid1(VALU_DEP_2)
	v_lshlrev_b64 v[21:22], 3, v[3:4]
	v_add_co_u32 v17, vcc_lo, s8, v17
	s_delay_alu instid0(VALU_DEP_3)
	v_add_co_ci_u32_e32 v18, vcc_lo, s9, v18, vcc_lo
	v_add_co_u32 v19, vcc_lo, s10, v19
	v_add_co_ci_u32_e32 v20, vcc_lo, s11, v20, vcc_lo
	v_add_co_u32 v21, vcc_lo, s8, v21
	v_add_co_ci_u32_e32 v22, vcc_lo, s9, v22, vcc_lo
	global_load_b64 v[23:24], v[17:18], off
	global_load_b64 v[25:26], v[19:20], off
	;; [unrolled: 1-line block ×3, first 2 shown]
	s_waitcnt vmcnt(1)
	v_fma_f32 v3, v23, v25, v14
	v_fma_f32 v17, v24, v25, v8
	s_waitcnt vmcnt(0)
	v_fma_f32 v20, v21, v25, v16
	v_fma_f32 v18, v22, v25, v15
	v_fma_f32 v19, -v24, v26, v3
	v_fmac_f32_e32 v17, v23, v26
	s_delay_alu instid0(VALU_DEP_4) | instskip(NEXT) | instid1(VALU_DEP_4)
	v_fma_f32 v20, -v22, v26, v20
	v_fmac_f32_e32 v18, v21, v26
	s_cbranch_execnz .LBB198_28
	s_branch .LBB198_25
.LBB198_30:
	s_or_b32 exec_lo, exec_lo, s2
.LBB198_31:
	s_delay_alu instid0(SALU_CYCLE_1)
	s_or_b32 exec_lo, exec_lo, s3
.LBB198_32:
	v_mbcnt_lo_u32_b32 v2, -1, 0
	s_delay_alu instid0(VALU_DEP_1) | instskip(SKIP_1) | instid1(VALU_DEP_2)
	v_xor_b32_e32 v3, 4, v2
	v_xor_b32_e32 v7, 2, v2
	v_cmp_gt_i32_e32 vcc_lo, 32, v3
	v_cndmask_b32_e32 v3, v2, v3, vcc_lo
	s_delay_alu instid0(VALU_DEP_3) | instskip(NEXT) | instid1(VALU_DEP_2)
	v_cmp_gt_i32_e32 vcc_lo, 32, v7
	v_lshlrev_b32_e32 v3, 2, v3
	ds_bpermute_b32 v4, v3, v14
	s_waitcnt lgkmcnt(0)
	v_add_f32_e32 v4, v14, v4
	ds_bpermute_b32 v6, v3, v16
	ds_bpermute_b32 v5, v3, v8
	;; [unrolled: 1-line block ×3, first 2 shown]
	s_waitcnt lgkmcnt(2)
	v_dual_cndmask_b32 v7, v2, v7 :: v_dual_add_f32 v6, v16, v6
	s_delay_alu instid0(VALU_DEP_1)
	v_lshlrev_b32_e32 v7, 2, v7
	s_waitcnt lgkmcnt(0)
	v_add_f32_e32 v3, v15, v3
	v_xor_b32_e32 v15, 1, v2
	ds_bpermute_b32 v14, v7, v6
	v_cmp_gt_i32_e32 vcc_lo, 32, v15
	v_dual_add_f32 v5, v8, v5 :: v_dual_cndmask_b32 v2, v2, v15
	v_cmp_eq_u32_e32 vcc_lo, 7, v0
	s_delay_alu instid0(VALU_DEP_2)
	v_lshlrev_b32_e32 v15, 2, v2
	s_waitcnt lgkmcnt(0)
	v_add_f32_e32 v2, v6, v14
	ds_bpermute_b32 v8, v7, v4
	ds_bpermute_b32 v13, v7, v5
	;; [unrolled: 1-line block ×4, first 2 shown]
	s_waitcnt lgkmcnt(2)
	v_dual_add_f32 v4, v4, v8 :: v_dual_add_f32 v5, v5, v13
	s_waitcnt lgkmcnt(1)
	v_add_f32_e32 v3, v3, v7
	ds_bpermute_b32 v8, v15, v4
	ds_bpermute_b32 v13, v15, v5
	;; [unrolled: 1-line block ×3, first 2 shown]
	s_and_b32 exec_lo, exec_lo, vcc_lo
	s_cbranch_execz .LBB198_37
; %bb.33:
	s_load_b64 s[2:3], s[0:1], 0x38
	v_cmp_eq_f32_e32 vcc_lo, 0, v11
	v_cmp_eq_f32_e64 s0, 0, v12
	s_waitcnt lgkmcnt(0)
	v_dual_add_f32 v0, v4, v8 :: v_dual_add_f32 v3, v3, v7
	v_add_f32_e32 v4, v5, v13
	v_add_f32_e32 v2, v2, v6
	s_and_b32 s0, vcc_lo, s0
	s_delay_alu instid0(SALU_CYCLE_1) | instskip(NEXT) | instid1(SALU_CYCLE_1)
	s_and_saveexec_b32 s1, s0
	s_xor_b32 s0, exec_lo, s1
	s_cbranch_execz .LBB198_35
; %bb.34:
	v_mul_f32_e64 v5, v4, -v10
	v_mul_f32_e32 v6, v4, v9
	v_mul_f32_e64 v7, v3, -v10
	v_mul_f32_e32 v8, v3, v9
                                        ; implicit-def: $vgpr4
                                        ; implicit-def: $vgpr3
	s_delay_alu instid0(VALU_DEP_4) | instskip(NEXT) | instid1(VALU_DEP_4)
	v_fmac_f32_e32 v5, v9, v0
	v_dual_fmac_f32 v6, v10, v0 :: v_dual_lshlrev_b32 v11, 1, v1
	s_delay_alu instid0(VALU_DEP_4) | instskip(NEXT) | instid1(VALU_DEP_4)
	v_fmac_f32_e32 v7, v9, v2
	v_fmac_f32_e32 v8, v10, v2
                                        ; implicit-def: $vgpr9
                                        ; implicit-def: $vgpr10
                                        ; implicit-def: $vgpr2
	s_delay_alu instid0(VALU_DEP_3) | instskip(NEXT) | instid1(VALU_DEP_1)
	v_ashrrev_i32_e32 v12, 31, v11
	v_lshlrev_b64 v[11:12], 3, v[11:12]
	s_delay_alu instid0(VALU_DEP_1) | instskip(NEXT) | instid1(VALU_DEP_2)
	v_add_co_u32 v0, vcc_lo, s2, v11
	v_add_co_ci_u32_e32 v1, vcc_lo, s3, v12, vcc_lo
                                        ; implicit-def: $vgpr11
                                        ; implicit-def: $vgpr12
	global_store_b128 v[0:1], v[5:8], off
                                        ; implicit-def: $vgpr1
                                        ; implicit-def: $vgpr0
.LBB198_35:
	s_and_not1_saveexec_b32 s0, s0
	s_cbranch_execz .LBB198_37
; %bb.36:
	v_lshlrev_b32_e32 v5, 1, v1
	v_mul_f32_e64 v15, v4, -v10
	v_mul_f32_e32 v1, v4, v9
	v_mul_f32_e64 v4, v3, -v10
	v_mul_f32_e32 v3, v3, v9
	s_delay_alu instid0(VALU_DEP_4) | instskip(NEXT) | instid1(VALU_DEP_3)
	v_fmac_f32_e32 v15, v9, v0
	v_fmac_f32_e32 v4, v9, v2
	v_ashrrev_i32_e32 v6, 31, v5
	s_delay_alu instid0(VALU_DEP_4) | instskip(NEXT) | instid1(VALU_DEP_2)
	v_fmac_f32_e32 v3, v10, v2
	v_lshlrev_b64 v[5:6], 3, v[5:6]
	s_delay_alu instid0(VALU_DEP_1) | instskip(NEXT) | instid1(VALU_DEP_2)
	v_add_co_u32 v13, vcc_lo, s2, v5
	v_add_co_ci_u32_e32 v14, vcc_lo, s3, v6, vcc_lo
	global_load_b128 v[5:8], v[13:14], off
	s_waitcnt vmcnt(0)
	v_dual_fmac_f32 v4, v11, v7 :: v_dual_fmac_f32 v1, v10, v0
	v_fmac_f32_e32 v15, v11, v5
	v_fmac_f32_e32 v3, v12, v7
	s_delay_alu instid0(VALU_DEP_3) | instskip(NEXT) | instid1(VALU_DEP_4)
	v_fma_f32 v2, -v12, v8, v4
	v_fmac_f32_e32 v1, v12, v5
	s_delay_alu instid0(VALU_DEP_4) | instskip(NEXT) | instid1(VALU_DEP_4)
	v_fma_f32 v0, -v12, v6, v15
	v_fmac_f32_e32 v3, v11, v8
	s_delay_alu instid0(VALU_DEP_3)
	v_fmac_f32_e32 v1, v11, v6
	global_store_b128 v[13:14], v[0:3], off
.LBB198_37:
	s_nop 0
	s_sendmsg sendmsg(MSG_DEALLOC_VGPRS)
	s_endpgm
	.section	.rodata,"a",@progbits
	.p2align	6, 0x0
	.amdhsa_kernel _ZN9rocsparseL19gebsrmvn_2xn_kernelILj128ELj11ELj8E21rocsparse_complex_numIfEEEvi20rocsparse_direction_NS_24const_host_device_scalarIT2_EEPKiS8_PKS5_SA_S6_PS5_21rocsparse_index_base_b
		.amdhsa_group_segment_fixed_size 0
		.amdhsa_private_segment_fixed_size 0
		.amdhsa_kernarg_size 72
		.amdhsa_user_sgpr_count 15
		.amdhsa_user_sgpr_dispatch_ptr 0
		.amdhsa_user_sgpr_queue_ptr 0
		.amdhsa_user_sgpr_kernarg_segment_ptr 1
		.amdhsa_user_sgpr_dispatch_id 0
		.amdhsa_user_sgpr_private_segment_size 0
		.amdhsa_wavefront_size32 1
		.amdhsa_uses_dynamic_stack 0
		.amdhsa_enable_private_segment 0
		.amdhsa_system_sgpr_workgroup_id_x 1
		.amdhsa_system_sgpr_workgroup_id_y 0
		.amdhsa_system_sgpr_workgroup_id_z 0
		.amdhsa_system_sgpr_workgroup_info 0
		.amdhsa_system_vgpr_workitem_id 0
		.amdhsa_next_free_vgpr 40
		.amdhsa_next_free_sgpr 16
		.amdhsa_reserve_vcc 1
		.amdhsa_float_round_mode_32 0
		.amdhsa_float_round_mode_16_64 0
		.amdhsa_float_denorm_mode_32 3
		.amdhsa_float_denorm_mode_16_64 3
		.amdhsa_dx10_clamp 1
		.amdhsa_ieee_mode 1
		.amdhsa_fp16_overflow 0
		.amdhsa_workgroup_processor_mode 1
		.amdhsa_memory_ordered 1
		.amdhsa_forward_progress 0
		.amdhsa_shared_vgpr_count 0
		.amdhsa_exception_fp_ieee_invalid_op 0
		.amdhsa_exception_fp_denorm_src 0
		.amdhsa_exception_fp_ieee_div_zero 0
		.amdhsa_exception_fp_ieee_overflow 0
		.amdhsa_exception_fp_ieee_underflow 0
		.amdhsa_exception_fp_ieee_inexact 0
		.amdhsa_exception_int_div_zero 0
	.end_amdhsa_kernel
	.section	.text._ZN9rocsparseL19gebsrmvn_2xn_kernelILj128ELj11ELj8E21rocsparse_complex_numIfEEEvi20rocsparse_direction_NS_24const_host_device_scalarIT2_EEPKiS8_PKS5_SA_S6_PS5_21rocsparse_index_base_b,"axG",@progbits,_ZN9rocsparseL19gebsrmvn_2xn_kernelILj128ELj11ELj8E21rocsparse_complex_numIfEEEvi20rocsparse_direction_NS_24const_host_device_scalarIT2_EEPKiS8_PKS5_SA_S6_PS5_21rocsparse_index_base_b,comdat
.Lfunc_end198:
	.size	_ZN9rocsparseL19gebsrmvn_2xn_kernelILj128ELj11ELj8E21rocsparse_complex_numIfEEEvi20rocsparse_direction_NS_24const_host_device_scalarIT2_EEPKiS8_PKS5_SA_S6_PS5_21rocsparse_index_base_b, .Lfunc_end198-_ZN9rocsparseL19gebsrmvn_2xn_kernelILj128ELj11ELj8E21rocsparse_complex_numIfEEEvi20rocsparse_direction_NS_24const_host_device_scalarIT2_EEPKiS8_PKS5_SA_S6_PS5_21rocsparse_index_base_b
                                        ; -- End function
	.section	.AMDGPU.csdata,"",@progbits
; Kernel info:
; codeLenInByte = 2648
; NumSgprs: 18
; NumVgprs: 40
; ScratchSize: 0
; MemoryBound: 0
; FloatMode: 240
; IeeeMode: 1
; LDSByteSize: 0 bytes/workgroup (compile time only)
; SGPRBlocks: 2
; VGPRBlocks: 4
; NumSGPRsForWavesPerEU: 18
; NumVGPRsForWavesPerEU: 40
; Occupancy: 16
; WaveLimiterHint : 1
; COMPUTE_PGM_RSRC2:SCRATCH_EN: 0
; COMPUTE_PGM_RSRC2:USER_SGPR: 15
; COMPUTE_PGM_RSRC2:TRAP_HANDLER: 0
; COMPUTE_PGM_RSRC2:TGID_X_EN: 1
; COMPUTE_PGM_RSRC2:TGID_Y_EN: 0
; COMPUTE_PGM_RSRC2:TGID_Z_EN: 0
; COMPUTE_PGM_RSRC2:TIDIG_COMP_CNT: 0
	.section	.text._ZN9rocsparseL19gebsrmvn_2xn_kernelILj128ELj11ELj16E21rocsparse_complex_numIfEEEvi20rocsparse_direction_NS_24const_host_device_scalarIT2_EEPKiS8_PKS5_SA_S6_PS5_21rocsparse_index_base_b,"axG",@progbits,_ZN9rocsparseL19gebsrmvn_2xn_kernelILj128ELj11ELj16E21rocsparse_complex_numIfEEEvi20rocsparse_direction_NS_24const_host_device_scalarIT2_EEPKiS8_PKS5_SA_S6_PS5_21rocsparse_index_base_b,comdat
	.globl	_ZN9rocsparseL19gebsrmvn_2xn_kernelILj128ELj11ELj16E21rocsparse_complex_numIfEEEvi20rocsparse_direction_NS_24const_host_device_scalarIT2_EEPKiS8_PKS5_SA_S6_PS5_21rocsparse_index_base_b ; -- Begin function _ZN9rocsparseL19gebsrmvn_2xn_kernelILj128ELj11ELj16E21rocsparse_complex_numIfEEEvi20rocsparse_direction_NS_24const_host_device_scalarIT2_EEPKiS8_PKS5_SA_S6_PS5_21rocsparse_index_base_b
	.p2align	8
	.type	_ZN9rocsparseL19gebsrmvn_2xn_kernelILj128ELj11ELj16E21rocsparse_complex_numIfEEEvi20rocsparse_direction_NS_24const_host_device_scalarIT2_EEPKiS8_PKS5_SA_S6_PS5_21rocsparse_index_base_b,@function
_ZN9rocsparseL19gebsrmvn_2xn_kernelILj128ELj11ELj16E21rocsparse_complex_numIfEEEvi20rocsparse_direction_NS_24const_host_device_scalarIT2_EEPKiS8_PKS5_SA_S6_PS5_21rocsparse_index_base_b: ; @_ZN9rocsparseL19gebsrmvn_2xn_kernelILj128ELj11ELj16E21rocsparse_complex_numIfEEEvi20rocsparse_direction_NS_24const_host_device_scalarIT2_EEPKiS8_PKS5_SA_S6_PS5_21rocsparse_index_base_b
; %bb.0:
	s_clause 0x2
	s_load_b64 s[12:13], s[0:1], 0x40
	s_load_b64 s[4:5], s[0:1], 0x8
	;; [unrolled: 1-line block ×3, first 2 shown]
	s_waitcnt lgkmcnt(0)
	s_bitcmp1_b32 s13, 0
	v_mov_b32_e32 v9, s4
	s_cselect_b32 s6, -1, 0
	s_delay_alu instid0(SALU_CYCLE_1)
	s_and_b32 vcc_lo, exec_lo, s6
	s_xor_b32 s6, s6, -1
	s_cbranch_vccz .LBB199_17
; %bb.1:
	v_cndmask_b32_e64 v1, 0, 1, s6
	v_mov_b32_e32 v10, s5
	s_and_not1_b32 vcc_lo, exec_lo, s6
	s_cbranch_vccz .LBB199_18
.LBB199_2:
	s_delay_alu instid0(VALU_DEP_2)
	v_cmp_ne_u32_e32 vcc_lo, 1, v1
	v_mov_b32_e32 v11, s2
	s_cbranch_vccz .LBB199_19
.LBB199_3:
	v_cmp_ne_u32_e32 vcc_lo, 1, v1
	v_mov_b32_e32 v12, s3
	s_cbranch_vccnz .LBB199_5
.LBB199_4:
	v_dual_mov_b32 v1, s2 :: v_dual_mov_b32 v2, s3
	flat_load_b32 v12, v[1:2] offset:4
.LBB199_5:
	s_waitcnt vmcnt(0) lgkmcnt(0)
	v_cmp_eq_f32_e32 vcc_lo, 0, v9
	v_cmp_eq_f32_e64 s2, 0, v10
	s_delay_alu instid0(VALU_DEP_1)
	s_and_b32 s4, vcc_lo, s2
	s_mov_b32 s2, -1
	s_and_saveexec_b32 s3, s4
; %bb.6:
	v_cmp_neq_f32_e32 vcc_lo, 1.0, v11
	v_cmp_neq_f32_e64 s2, 0, v12
	s_delay_alu instid0(VALU_DEP_1) | instskip(NEXT) | instid1(SALU_CYCLE_1)
	s_or_b32 s2, vcc_lo, s2
	s_or_not1_b32 s2, s2, exec_lo
; %bb.7:
	s_or_b32 exec_lo, exec_lo, s3
	s_and_saveexec_b32 s3, s2
	s_cbranch_execz .LBB199_37
; %bb.8:
	s_load_b64 s[2:3], s[0:1], 0x0
	v_lshrrev_b32_e32 v1, 4, v0
	s_delay_alu instid0(VALU_DEP_1) | instskip(SKIP_1) | instid1(VALU_DEP_1)
	v_lshl_or_b32 v1, s15, 3, v1
	s_waitcnt lgkmcnt(0)
	v_cmp_gt_i32_e32 vcc_lo, s2, v1
	s_and_b32 exec_lo, exec_lo, vcc_lo
	s_cbranch_execz .LBB199_37
; %bb.9:
	s_load_b256 s[4:11], s[0:1], 0x10
	v_ashrrev_i32_e32 v2, 31, v1
	v_and_b32_e32 v0, 15, v0
	s_cmp_lg_u32 s3, 0
	s_delay_alu instid0(VALU_DEP_2) | instskip(SKIP_1) | instid1(VALU_DEP_1)
	v_lshlrev_b64 v[2:3], 2, v[1:2]
	s_waitcnt lgkmcnt(0)
	v_add_co_u32 v2, vcc_lo, s4, v2
	s_delay_alu instid0(VALU_DEP_2) | instskip(SKIP_4) | instid1(VALU_DEP_2)
	v_add_co_ci_u32_e32 v3, vcc_lo, s5, v3, vcc_lo
	global_load_b64 v[3:4], v[2:3], off
	s_waitcnt vmcnt(0)
	v_subrev_nc_u32_e32 v2, s12, v3
	v_subrev_nc_u32_e32 v13, s12, v4
	v_add_nc_u32_e32 v2, v2, v0
	s_delay_alu instid0(VALU_DEP_1)
	v_cmp_lt_i32_e64 s2, v2, v13
	s_cbranch_scc0 .LBB199_20
; %bb.10:
	v_dual_mov_b32 v8, 0 :: v_dual_mov_b32 v15, 0
	v_mov_b32_e32 v14, 0
	v_mov_b32_e32 v16, 0
	s_mov_b32 s3, 0
	s_and_saveexec_b32 s4, s2
	s_cbranch_execz .LBB199_22
; %bb.11:
	v_mul_lo_u32 v4, v3, 22
	v_mul_lo_u32 v17, v2, 22
	s_mul_i32 s5, s12, 22
	v_dual_mov_b32 v5, 0 :: v_dual_mov_b32 v6, v2
	v_dual_mov_b32 v8, 0 :: v_dual_mov_b32 v15, 0
	v_mov_b32_e32 v14, 0
	v_mad_u32_u24 v4, v0, 22, v4
	v_mov_b32_e32 v16, 0
	s_delay_alu instid0(VALU_DEP_2)
	v_subrev_nc_u32_e32 v18, s5, v4
	s_mov_b32 s5, 0
	s_branch .LBB199_13
.LBB199_12:                             ;   in Loop: Header=BB199_13 Depth=1
	v_add_nc_u32_e32 v6, 16, v6
	v_add_nc_u32_e32 v17, 0x160, v17
	;; [unrolled: 1-line block ×3, first 2 shown]
	s_delay_alu instid0(VALU_DEP_3) | instskip(SKIP_1) | instid1(SALU_CYCLE_1)
	v_cmp_ge_i32_e32 vcc_lo, v6, v13
	s_or_b32 s5, vcc_lo, s5
	s_and_not1_b32 exec_lo, exec_lo, s5
	s_cbranch_execz .LBB199_21
.LBB199_13:                             ; =>This Loop Header: Depth=1
                                        ;     Child Loop BB199_15 Depth 2
	v_ashrrev_i32_e32 v7, 31, v6
	v_dual_mov_b32 v21, v14 :: v_dual_mov_b32 v22, v16
	s_mov_b32 s13, 0
	s_delay_alu instid0(VALU_DEP_2) | instskip(NEXT) | instid1(VALU_DEP_1)
	v_lshlrev_b64 v[19:20], 2, v[6:7]
	v_add_co_u32 v19, vcc_lo, s6, v19
	s_delay_alu instid0(VALU_DEP_2) | instskip(SKIP_4) | instid1(VALU_DEP_1)
	v_add_co_ci_u32_e32 v20, vcc_lo, s7, v20, vcc_lo
	global_load_b32 v4, v[19:20], off
	v_dual_mov_b32 v19, v8 :: v_dual_mov_b32 v20, v15
	s_waitcnt vmcnt(0)
	v_subrev_nc_u32_e32 v4, s12, v4
	v_mul_lo_u32 v7, v4, 11
	s_branch .LBB199_15
.LBB199_14:                             ;   in Loop: Header=BB199_13 Depth=1
                                        ; implicit-def: $vgpr20
                                        ; implicit-def: $vgpr22
                                        ; implicit-def: $vgpr21
                                        ; implicit-def: $vgpr19
                                        ; implicit-def: $sgpr13
                                        ; implicit-def: $vgpr7
	s_branch .LBB199_12
.LBB199_15:                             ;   Parent Loop BB199_13 Depth=1
                                        ; =>  This Inner Loop Header: Depth=2
	v_add_nc_u32_e32 v4, s13, v18
	v_dual_mov_b32 v8, v5 :: v_dual_add_nc_u32 v23, s13, v17
	s_cmp_eq_u32 s13, 16
	s_delay_alu instid0(VALU_DEP_2) | instskip(NEXT) | instid1(VALU_DEP_2)
	v_lshlrev_b64 v[14:15], 3, v[4:5]
	v_lshlrev_b64 v[24:25], 3, v[7:8]
	s_delay_alu instid0(VALU_DEP_2) | instskip(NEXT) | instid1(VALU_DEP_3)
	v_add_co_u32 v14, vcc_lo, s8, v14
	v_add_co_ci_u32_e32 v15, vcc_lo, s9, v15, vcc_lo
	s_delay_alu instid0(VALU_DEP_3) | instskip(NEXT) | instid1(VALU_DEP_4)
	v_add_co_u32 v28, vcc_lo, s10, v24
	v_add_co_ci_u32_e32 v29, vcc_lo, s11, v25, vcc_lo
	global_load_b128 v[24:27], v[14:15], off
	global_load_b64 v[14:15], v[28:29], off
	s_waitcnt vmcnt(0)
	v_dual_fmac_f32 v19, v25, v14 :: v_dual_add_nc_u32 v4, 2, v23
	s_delay_alu instid0(VALU_DEP_1) | instskip(SKIP_1) | instid1(VALU_DEP_3)
	v_lshlrev_b64 v[30:31], 3, v[4:5]
	v_dual_fmac_f32 v21, v24, v14 :: v_dual_add_nc_u32 v4, 1, v7
	v_fmac_f32_e32 v19, v24, v15
	s_delay_alu instid0(VALU_DEP_2) | instskip(NEXT) | instid1(VALU_DEP_4)
	v_lshlrev_b64 v[28:29], 3, v[4:5]
	v_add_co_u32 v30, vcc_lo, s8, v30
	v_add_co_ci_u32_e32 v31, vcc_lo, s9, v31, vcc_lo
	s_delay_alu instid0(VALU_DEP_3) | instskip(NEXT) | instid1(VALU_DEP_4)
	v_add_co_u32 v32, vcc_lo, s10, v28
	v_add_co_ci_u32_e32 v33, vcc_lo, s11, v29, vcc_lo
	global_load_b128 v[28:31], v[30:31], off
	global_load_b64 v[36:37], v[32:33], off
	s_waitcnt vmcnt(0)
	v_dual_fmac_f32 v19, v29, v36 :: v_dual_add_nc_u32 v4, 4, v23
	s_delay_alu instid0(VALU_DEP_1) | instskip(NEXT) | instid1(VALU_DEP_2)
	v_lshlrev_b64 v[34:35], 3, v[4:5]
	v_dual_fmac_f32 v19, v28, v37 :: v_dual_add_nc_u32 v4, 2, v7
	s_delay_alu instid0(VALU_DEP_1) | instskip(NEXT) | instid1(VALU_DEP_3)
	v_lshlrev_b64 v[32:33], 3, v[4:5]
	v_add_co_u32 v34, vcc_lo, s8, v34
	s_delay_alu instid0(VALU_DEP_4) | instskip(SKIP_1) | instid1(VALU_DEP_4)
	v_add_co_ci_u32_e32 v35, vcc_lo, s9, v35, vcc_lo
	v_fma_f32 v4, -v25, v15, v21
	v_add_co_u32 v38, vcc_lo, s10, v32
	v_add_co_ci_u32_e32 v39, vcc_lo, s11, v33, vcc_lo
	global_load_b128 v[32:35], v[34:35], off
	global_load_b64 v[38:39], v[38:39], off
	v_fmac_f32_e32 v20, v27, v14
	v_fmac_f32_e32 v4, v28, v36
	s_delay_alu instid0(VALU_DEP_2) | instskip(NEXT) | instid1(VALU_DEP_2)
	v_fmac_f32_e32 v20, v26, v15
	v_fma_f32 v4, -v29, v37, v4
	s_waitcnt vmcnt(0)
	s_delay_alu instid0(VALU_DEP_2) | instskip(NEXT) | instid1(VALU_DEP_2)
	v_dual_fmac_f32 v19, v33, v38 :: v_dual_fmac_f32 v20, v31, v36
	v_fmac_f32_e32 v4, v32, v38
	s_delay_alu instid0(VALU_DEP_2) | instskip(NEXT) | instid1(VALU_DEP_1)
	v_fmac_f32_e32 v20, v30, v37
	v_fmac_f32_e32 v20, v35, v38
	;; [unrolled: 1-line block ×3, first 2 shown]
	s_delay_alu instid0(VALU_DEP_4) | instskip(NEXT) | instid1(VALU_DEP_2)
	v_fma_f32 v14, -v33, v39, v4
	v_fma_f32 v8, -v27, v15, v22
	s_delay_alu instid0(VALU_DEP_1) | instskip(NEXT) | instid1(VALU_DEP_1)
	v_dual_mov_b32 v15, v20 :: v_dual_fmac_f32 v8, v30, v36
	v_fmac_f32_e32 v15, v34, v39
	s_delay_alu instid0(VALU_DEP_2) | instskip(SKIP_1) | instid1(VALU_DEP_2)
	v_fma_f32 v16, -v31, v37, v8
	v_mov_b32_e32 v8, v19
	v_fmac_f32_e32 v16, v34, v38
	s_delay_alu instid0(VALU_DEP_2) | instskip(NEXT) | instid1(VALU_DEP_2)
	v_fmac_f32_e32 v8, v32, v39
	v_fma_f32 v16, -v35, v39, v16
	s_cbranch_scc1 .LBB199_14
; %bb.16:                               ;   in Loop: Header=BB199_15 Depth=2
	v_add_nc_u32_e32 v4, 6, v23
	s_add_i32 s13, s13, 8
	s_delay_alu instid0(VALU_DEP_1) | instskip(SKIP_2) | instid1(VALU_DEP_2)
	v_lshlrev_b64 v[19:20], 3, v[4:5]
	v_add_nc_u32_e32 v4, 3, v7
	v_add_nc_u32_e32 v7, 4, v7
	v_lshlrev_b64 v[21:22], 3, v[4:5]
	s_delay_alu instid0(VALU_DEP_4) | instskip(SKIP_1) | instid1(VALU_DEP_3)
	v_add_co_u32 v19, vcc_lo, s8, v19
	v_add_co_ci_u32_e32 v20, vcc_lo, s9, v20, vcc_lo
	v_add_co_u32 v26, vcc_lo, s10, v21
	s_delay_alu instid0(VALU_DEP_4)
	v_add_co_ci_u32_e32 v27, vcc_lo, s11, v22, vcc_lo
	global_load_b128 v[22:25], v[19:20], off
	global_load_b64 v[26:27], v[26:27], off
	s_waitcnt vmcnt(0)
	v_fma_f32 v4, v22, v26, v14
	v_fma_f32 v19, v23, v26, v8
	;; [unrolled: 1-line block ×4, first 2 shown]
	s_delay_alu instid0(VALU_DEP_4) | instskip(NEXT) | instid1(VALU_DEP_4)
	v_fma_f32 v21, -v23, v27, v4
	v_fmac_f32_e32 v19, v22, v27
	s_delay_alu instid0(VALU_DEP_4) | instskip(NEXT) | instid1(VALU_DEP_4)
	v_fma_f32 v22, -v25, v27, v28
	v_fmac_f32_e32 v20, v24, v27
	s_cbranch_execnz .LBB199_15
	s_branch .LBB199_12
.LBB199_17:
	v_dual_mov_b32 v1, s4 :: v_dual_mov_b32 v2, s5
	flat_load_b32 v9, v[1:2]
	v_cndmask_b32_e64 v1, 0, 1, s6
	v_mov_b32_e32 v10, s5
	s_and_not1_b32 vcc_lo, exec_lo, s6
	s_cbranch_vccnz .LBB199_2
.LBB199_18:
	v_dual_mov_b32 v2, s4 :: v_dual_mov_b32 v3, s5
	flat_load_b32 v10, v[2:3] offset:4
	v_cmp_ne_u32_e32 vcc_lo, 1, v1
	v_mov_b32_e32 v11, s2
	s_cbranch_vccnz .LBB199_3
.LBB199_19:
	v_dual_mov_b32 v2, s2 :: v_dual_mov_b32 v3, s3
	flat_load_b32 v11, v[2:3]
	v_cmp_ne_u32_e32 vcc_lo, 1, v1
	v_mov_b32_e32 v12, s3
	s_cbranch_vccz .LBB199_4
	s_branch .LBB199_5
.LBB199_20:
                                        ; implicit-def: $vgpr8
                                        ; implicit-def: $vgpr14
                                        ; implicit-def: $vgpr16
                                        ; implicit-def: $vgpr15
	s_branch .LBB199_23
.LBB199_21:
	s_or_b32 exec_lo, exec_lo, s5
.LBB199_22:
	s_delay_alu instid0(SALU_CYCLE_1) | instskip(NEXT) | instid1(SALU_CYCLE_1)
	s_or_b32 exec_lo, exec_lo, s4
	s_and_not1_b32 vcc_lo, exec_lo, s3
	s_cbranch_vccnz .LBB199_32
.LBB199_23:
	v_dual_mov_b32 v8, 0 :: v_dual_mov_b32 v15, 0
	v_mov_b32_e32 v14, 0
	v_mov_b32_e32 v16, 0
	s_and_saveexec_b32 s3, s2
	s_cbranch_execz .LBB199_31
; %bb.24:
	v_mul_lo_u32 v3, v3, 22
	v_mul_lo_u32 v5, v2, 22
	s_mul_i32 s2, s12, 22
	v_dual_mov_b32 v4, 0 :: v_dual_mov_b32 v15, 0
	v_mov_b32_e32 v8, 0
	v_mov_b32_e32 v14, 0
	;; [unrolled: 1-line block ×3, first 2 shown]
	v_mad_u32_u24 v3, v0, 22, v3
	s_delay_alu instid0(VALU_DEP_1)
	v_subrev_nc_u32_e32 v6, s2, v3
	s_mov_b32 s2, 0
	s_branch .LBB199_26
.LBB199_25:                             ;   in Loop: Header=BB199_26 Depth=1
	v_add_nc_u32_e32 v2, 16, v2
	v_add_nc_u32_e32 v5, 0x160, v5
	;; [unrolled: 1-line block ×3, first 2 shown]
	s_delay_alu instid0(VALU_DEP_3) | instskip(SKIP_1) | instid1(SALU_CYCLE_1)
	v_cmp_ge_i32_e32 vcc_lo, v2, v13
	s_or_b32 s2, vcc_lo, s2
	s_and_not1_b32 exec_lo, exec_lo, s2
	s_cbranch_execz .LBB199_30
.LBB199_26:                             ; =>This Loop Header: Depth=1
                                        ;     Child Loop BB199_28 Depth 2
	v_ashrrev_i32_e32 v3, 31, v2
	v_dual_mov_b32 v19, v14 :: v_dual_mov_b32 v20, v16
	s_mov_b32 s4, 0
	s_delay_alu instid0(VALU_DEP_2) | instskip(NEXT) | instid1(VALU_DEP_1)
	v_lshlrev_b64 v[17:18], 2, v[2:3]
	v_add_co_u32 v17, vcc_lo, s6, v17
	s_delay_alu instid0(VALU_DEP_2) | instskip(SKIP_4) | instid1(VALU_DEP_1)
	v_add_co_ci_u32_e32 v18, vcc_lo, s7, v18, vcc_lo
	global_load_b32 v3, v[17:18], off
	v_dual_mov_b32 v17, v8 :: v_dual_mov_b32 v18, v15
	s_waitcnt vmcnt(0)
	v_subrev_nc_u32_e32 v3, s12, v3
	v_mul_lo_u32 v7, v3, 11
	s_branch .LBB199_28
.LBB199_27:                             ;   in Loop: Header=BB199_26 Depth=1
                                        ; implicit-def: $vgpr18
                                        ; implicit-def: $vgpr20
                                        ; implicit-def: $vgpr19
                                        ; implicit-def: $vgpr17
                                        ; implicit-def: $sgpr4
	s_branch .LBB199_25
.LBB199_28:                             ;   Parent Loop BB199_26 Depth=1
                                        ; =>  This Inner Loop Header: Depth=2
	v_add_nc_u32_e32 v3, s4, v6
	v_add_nc_u32_e32 v21, s4, v5
	v_mov_b32_e32 v15, v4
	s_cmp_eq_u32 s4, 8
	v_mov_b32_e32 v31, v4
	v_lshlrev_b64 v[22:23], 3, v[3:4]
	v_add_nc_u32_e32 v14, 11, v21
	v_add_nc_u32_e32 v3, s4, v7
	v_mov_b32_e32 v27, v4
	v_mov_b32_e32 v35, v4
	s_delay_alu instid0(VALU_DEP_4) | instskip(NEXT) | instid1(VALU_DEP_4)
	v_lshlrev_b64 v[14:15], 3, v[14:15]
	v_lshlrev_b64 v[24:25], 3, v[3:4]
	v_add_co_u32 v22, vcc_lo, s8, v22
	v_add_co_ci_u32_e32 v23, vcc_lo, s9, v23, vcc_lo
	s_delay_alu instid0(VALU_DEP_3) | instskip(NEXT) | instid1(VALU_DEP_4)
	v_add_co_u32 v28, vcc_lo, s10, v24
	v_add_co_ci_u32_e32 v29, vcc_lo, s11, v25, vcc_lo
	v_add_co_u32 v14, vcc_lo, s8, v14
	v_add_co_ci_u32_e32 v15, vcc_lo, s9, v15, vcc_lo
	global_load_b128 v[22:25], v[22:23], off
	global_load_b64 v[32:33], v[28:29], off
	global_load_b64 v[14:15], v[14:15], off
	s_waitcnt vmcnt(1)
	v_fmac_f32_e32 v17, v23, v32
	s_waitcnt vmcnt(0)
	v_fmac_f32_e32 v18, v15, v32
	v_fmac_f32_e32 v20, v14, v32
	v_add_nc_u32_e32 v30, 12, v21
	s_delay_alu instid0(VALU_DEP_3) | instskip(SKIP_1) | instid1(VALU_DEP_3)
	v_fmac_f32_e32 v18, v14, v33
	v_add_nc_u32_e32 v26, 1, v3
	v_lshlrev_b64 v[28:29], 3, v[30:31]
	v_add_nc_u32_e32 v30, 2, v21
	v_add_nc_u32_e32 v34, 2, v3
	v_fma_f32 v14, -v15, v33, v20
	v_lshlrev_b64 v[26:27], 3, v[26:27]
	s_delay_alu instid0(VALU_DEP_4) | instskip(NEXT) | instid1(VALU_DEP_4)
	v_lshlrev_b64 v[30:31], 3, v[30:31]
	v_lshlrev_b64 v[34:35], 3, v[34:35]
	s_delay_alu instid0(VALU_DEP_3) | instskip(NEXT) | instid1(VALU_DEP_4)
	v_add_co_u32 v26, vcc_lo, s10, v26
	v_add_co_ci_u32_e32 v27, vcc_lo, s11, v27, vcc_lo
	v_add_co_u32 v28, vcc_lo, s8, v28
	v_add_co_ci_u32_e32 v29, vcc_lo, s9, v29, vcc_lo
	global_load_b64 v[36:37], v[26:27], off
	global_load_b128 v[26:29], v[28:29], off
	v_add_co_u32 v30, vcc_lo, s8, v30
	v_add_co_ci_u32_e32 v31, vcc_lo, s9, v31, vcc_lo
	v_add_co_u32 v34, vcc_lo, s10, v34
	v_add_co_ci_u32_e32 v35, vcc_lo, s11, v35, vcc_lo
	global_load_b64 v[30:31], v[30:31], off
	global_load_b64 v[34:35], v[34:35], off
	s_waitcnt vmcnt(2)
	v_dual_fmac_f32 v17, v22, v33 :: v_dual_fmac_f32 v18, v27, v36
	s_delay_alu instid0(VALU_DEP_1) | instskip(SKIP_1) | instid1(VALU_DEP_2)
	v_dual_fmac_f32 v17, v25, v36 :: v_dual_fmac_f32 v18, v26, v37
	v_fmac_f32_e32 v19, v22, v32
	v_dual_fmac_f32 v14, v26, v36 :: v_dual_fmac_f32 v17, v24, v37
	s_waitcnt vmcnt(0)
	s_delay_alu instid0(VALU_DEP_3) | instskip(NEXT) | instid1(VALU_DEP_3)
	v_fmac_f32_e32 v18, v29, v34
	v_fma_f32 v8, -v23, v33, v19
	s_delay_alu instid0(VALU_DEP_3) | instskip(SKIP_1) | instid1(VALU_DEP_3)
	v_fma_f32 v19, -v27, v37, v14
	v_fmac_f32_e32 v17, v31, v34
	v_dual_mov_b32 v15, v18 :: v_dual_fmac_f32 v8, v24, v36
	s_delay_alu instid0(VALU_DEP_3) | instskip(NEXT) | instid1(VALU_DEP_2)
	v_fmac_f32_e32 v19, v28, v34
	v_fmac_f32_e32 v15, v28, v35
	s_delay_alu instid0(VALU_DEP_3) | instskip(SKIP_1) | instid1(VALU_DEP_2)
	v_fma_f32 v16, -v25, v37, v8
	v_mov_b32_e32 v8, v17
	v_fmac_f32_e32 v16, v30, v34
	s_delay_alu instid0(VALU_DEP_2) | instskip(NEXT) | instid1(VALU_DEP_2)
	v_fmac_f32_e32 v8, v30, v35
	v_fma_f32 v14, -v31, v35, v16
	v_fma_f32 v16, -v29, v35, v19
	s_cbranch_scc1 .LBB199_27
; %bb.29:                               ;   in Loop: Header=BB199_28 Depth=2
	v_dual_mov_b32 v18, v4 :: v_dual_add_nc_u32 v3, 3, v3
	v_add_nc_u32_e32 v17, 3, v21
	s_add_i32 s4, s4, 4
	s_delay_alu instid0(VALU_DEP_2) | instskip(SKIP_1) | instid1(VALU_DEP_3)
	v_lshlrev_b64 v[19:20], 3, v[3:4]
	v_add_nc_u32_e32 v3, 14, v21
	v_lshlrev_b64 v[17:18], 3, v[17:18]
	s_delay_alu instid0(VALU_DEP_2) | instskip(NEXT) | instid1(VALU_DEP_2)
	v_lshlrev_b64 v[21:22], 3, v[3:4]
	v_add_co_u32 v17, vcc_lo, s8, v17
	s_delay_alu instid0(VALU_DEP_3)
	v_add_co_ci_u32_e32 v18, vcc_lo, s9, v18, vcc_lo
	v_add_co_u32 v19, vcc_lo, s10, v19
	v_add_co_ci_u32_e32 v20, vcc_lo, s11, v20, vcc_lo
	v_add_co_u32 v21, vcc_lo, s8, v21
	v_add_co_ci_u32_e32 v22, vcc_lo, s9, v22, vcc_lo
	global_load_b64 v[23:24], v[17:18], off
	global_load_b64 v[25:26], v[19:20], off
	;; [unrolled: 1-line block ×3, first 2 shown]
	s_waitcnt vmcnt(1)
	v_fma_f32 v3, v23, v25, v14
	v_fma_f32 v17, v24, v25, v8
	s_waitcnt vmcnt(0)
	v_fma_f32 v20, v21, v25, v16
	v_fma_f32 v18, v22, v25, v15
	v_fma_f32 v19, -v24, v26, v3
	v_fmac_f32_e32 v17, v23, v26
	s_delay_alu instid0(VALU_DEP_4) | instskip(NEXT) | instid1(VALU_DEP_4)
	v_fma_f32 v20, -v22, v26, v20
	v_fmac_f32_e32 v18, v21, v26
	s_cbranch_execnz .LBB199_28
	s_branch .LBB199_25
.LBB199_30:
	s_or_b32 exec_lo, exec_lo, s2
.LBB199_31:
	s_delay_alu instid0(SALU_CYCLE_1)
	s_or_b32 exec_lo, exec_lo, s3
.LBB199_32:
	v_mbcnt_lo_u32_b32 v2, -1, 0
	s_delay_alu instid0(VALU_DEP_1) | instskip(SKIP_1) | instid1(VALU_DEP_2)
	v_xor_b32_e32 v3, 8, v2
	v_xor_b32_e32 v7, 4, v2
	v_cmp_gt_i32_e32 vcc_lo, 32, v3
	v_cndmask_b32_e32 v3, v2, v3, vcc_lo
	s_delay_alu instid0(VALU_DEP_3) | instskip(NEXT) | instid1(VALU_DEP_2)
	v_cmp_gt_i32_e32 vcc_lo, 32, v7
	v_lshlrev_b32_e32 v3, 2, v3
	ds_bpermute_b32 v4, v3, v14
	s_waitcnt lgkmcnt(0)
	v_add_f32_e32 v4, v14, v4
	ds_bpermute_b32 v6, v3, v16
	v_cndmask_b32_e32 v7, v2, v7, vcc_lo
	ds_bpermute_b32 v5, v3, v8
	ds_bpermute_b32 v3, v3, v15
	s_waitcnt lgkmcnt(2)
	v_dual_add_f32 v6, v16, v6 :: v_dual_lshlrev_b32 v7, 2, v7
	s_waitcnt lgkmcnt(1)
	v_add_f32_e32 v5, v8, v5
	ds_bpermute_b32 v14, v7, v6
	s_waitcnt lgkmcnt(0)
	v_dual_add_f32 v6, v6, v14 :: v_dual_add_f32 v3, v15, v3
	ds_bpermute_b32 v8, v7, v4
	ds_bpermute_b32 v13, v7, v5
	v_xor_b32_e32 v15, 2, v2
	ds_bpermute_b32 v7, v7, v3
	v_cmp_gt_i32_e32 vcc_lo, 32, v15
	v_cndmask_b32_e32 v15, v2, v15, vcc_lo
	s_waitcnt lgkmcnt(2)
	s_delay_alu instid0(VALU_DEP_1)
	v_dual_add_f32 v4, v4, v8 :: v_dual_lshlrev_b32 v15, 2, v15
	s_waitcnt lgkmcnt(0)
	v_add_f32_e32 v3, v3, v7
	ds_bpermute_b32 v7, v15, v4
	v_add_f32_e32 v5, v5, v13
	ds_bpermute_b32 v13, v15, v6
	ds_bpermute_b32 v14, v15, v3
	s_waitcnt lgkmcnt(2)
	v_add_f32_e32 v4, v4, v7
	ds_bpermute_b32 v8, v15, v5
	v_xor_b32_e32 v15, 1, v2
	s_waitcnt lgkmcnt(1)
	v_add_f32_e32 v3, v3, v14
	s_delay_alu instid0(VALU_DEP_2) | instskip(SKIP_2) | instid1(VALU_DEP_2)
	v_cmp_gt_i32_e32 vcc_lo, 32, v15
	v_cndmask_b32_e32 v2, v2, v15, vcc_lo
	v_cmp_eq_u32_e32 vcc_lo, 15, v0
	v_dual_add_f32 v2, v6, v13 :: v_dual_lshlrev_b32 v15, 2, v2
	s_waitcnt lgkmcnt(0)
	v_add_f32_e32 v5, v5, v8
	ds_bpermute_b32 v8, v15, v4
	ds_bpermute_b32 v6, v15, v2
	;; [unrolled: 1-line block ×4, first 2 shown]
	s_and_b32 exec_lo, exec_lo, vcc_lo
	s_cbranch_execz .LBB199_37
; %bb.33:
	s_load_b64 s[2:3], s[0:1], 0x38
	v_cmp_eq_f32_e32 vcc_lo, 0, v11
	v_cmp_eq_f32_e64 s0, 0, v12
	s_waitcnt lgkmcnt(0)
	v_dual_add_f32 v0, v4, v8 :: v_dual_add_f32 v3, v3, v7
	v_add_f32_e32 v4, v5, v13
	v_add_f32_e32 v2, v2, v6
	s_and_b32 s0, vcc_lo, s0
	s_delay_alu instid0(SALU_CYCLE_1) | instskip(NEXT) | instid1(SALU_CYCLE_1)
	s_and_saveexec_b32 s1, s0
	s_xor_b32 s0, exec_lo, s1
	s_cbranch_execz .LBB199_35
; %bb.34:
	v_mul_f32_e64 v5, v4, -v10
	v_mul_f32_e32 v6, v4, v9
	v_mul_f32_e64 v7, v3, -v10
	v_mul_f32_e32 v8, v3, v9
                                        ; implicit-def: $vgpr4
                                        ; implicit-def: $vgpr3
	s_delay_alu instid0(VALU_DEP_4) | instskip(NEXT) | instid1(VALU_DEP_4)
	v_fmac_f32_e32 v5, v9, v0
	v_dual_fmac_f32 v6, v10, v0 :: v_dual_lshlrev_b32 v11, 1, v1
	s_delay_alu instid0(VALU_DEP_4) | instskip(NEXT) | instid1(VALU_DEP_4)
	v_fmac_f32_e32 v7, v9, v2
	v_fmac_f32_e32 v8, v10, v2
                                        ; implicit-def: $vgpr9
                                        ; implicit-def: $vgpr10
                                        ; implicit-def: $vgpr2
	s_delay_alu instid0(VALU_DEP_3) | instskip(NEXT) | instid1(VALU_DEP_1)
	v_ashrrev_i32_e32 v12, 31, v11
	v_lshlrev_b64 v[11:12], 3, v[11:12]
	s_delay_alu instid0(VALU_DEP_1) | instskip(NEXT) | instid1(VALU_DEP_2)
	v_add_co_u32 v0, vcc_lo, s2, v11
	v_add_co_ci_u32_e32 v1, vcc_lo, s3, v12, vcc_lo
                                        ; implicit-def: $vgpr11
                                        ; implicit-def: $vgpr12
	global_store_b128 v[0:1], v[5:8], off
                                        ; implicit-def: $vgpr1
                                        ; implicit-def: $vgpr0
.LBB199_35:
	s_and_not1_saveexec_b32 s0, s0
	s_cbranch_execz .LBB199_37
; %bb.36:
	v_lshlrev_b32_e32 v5, 1, v1
	v_mul_f32_e64 v15, v4, -v10
	v_mul_f32_e32 v1, v4, v9
	v_mul_f32_e64 v4, v3, -v10
	v_mul_f32_e32 v3, v3, v9
	s_delay_alu instid0(VALU_DEP_4) | instskip(NEXT) | instid1(VALU_DEP_3)
	v_fmac_f32_e32 v15, v9, v0
	v_fmac_f32_e32 v4, v9, v2
	v_ashrrev_i32_e32 v6, 31, v5
	s_delay_alu instid0(VALU_DEP_4) | instskip(NEXT) | instid1(VALU_DEP_2)
	v_fmac_f32_e32 v3, v10, v2
	v_lshlrev_b64 v[5:6], 3, v[5:6]
	s_delay_alu instid0(VALU_DEP_1) | instskip(NEXT) | instid1(VALU_DEP_2)
	v_add_co_u32 v13, vcc_lo, s2, v5
	v_add_co_ci_u32_e32 v14, vcc_lo, s3, v6, vcc_lo
	global_load_b128 v[5:8], v[13:14], off
	s_waitcnt vmcnt(0)
	v_dual_fmac_f32 v4, v11, v7 :: v_dual_fmac_f32 v1, v10, v0
	v_fmac_f32_e32 v15, v11, v5
	v_fmac_f32_e32 v3, v12, v7
	s_delay_alu instid0(VALU_DEP_3) | instskip(NEXT) | instid1(VALU_DEP_4)
	v_fma_f32 v2, -v12, v8, v4
	v_fmac_f32_e32 v1, v12, v5
	s_delay_alu instid0(VALU_DEP_4) | instskip(NEXT) | instid1(VALU_DEP_4)
	v_fma_f32 v0, -v12, v6, v15
	v_fmac_f32_e32 v3, v11, v8
	s_delay_alu instid0(VALU_DEP_3)
	v_fmac_f32_e32 v1, v11, v6
	global_store_b128 v[13:14], v[0:3], off
.LBB199_37:
	s_nop 0
	s_sendmsg sendmsg(MSG_DEALLOC_VGPRS)
	s_endpgm
	.section	.rodata,"a",@progbits
	.p2align	6, 0x0
	.amdhsa_kernel _ZN9rocsparseL19gebsrmvn_2xn_kernelILj128ELj11ELj16E21rocsparse_complex_numIfEEEvi20rocsparse_direction_NS_24const_host_device_scalarIT2_EEPKiS8_PKS5_SA_S6_PS5_21rocsparse_index_base_b
		.amdhsa_group_segment_fixed_size 0
		.amdhsa_private_segment_fixed_size 0
		.amdhsa_kernarg_size 72
		.amdhsa_user_sgpr_count 15
		.amdhsa_user_sgpr_dispatch_ptr 0
		.amdhsa_user_sgpr_queue_ptr 0
		.amdhsa_user_sgpr_kernarg_segment_ptr 1
		.amdhsa_user_sgpr_dispatch_id 0
		.amdhsa_user_sgpr_private_segment_size 0
		.amdhsa_wavefront_size32 1
		.amdhsa_uses_dynamic_stack 0
		.amdhsa_enable_private_segment 0
		.amdhsa_system_sgpr_workgroup_id_x 1
		.amdhsa_system_sgpr_workgroup_id_y 0
		.amdhsa_system_sgpr_workgroup_id_z 0
		.amdhsa_system_sgpr_workgroup_info 0
		.amdhsa_system_vgpr_workitem_id 0
		.amdhsa_next_free_vgpr 40
		.amdhsa_next_free_sgpr 16
		.amdhsa_reserve_vcc 1
		.amdhsa_float_round_mode_32 0
		.amdhsa_float_round_mode_16_64 0
		.amdhsa_float_denorm_mode_32 3
		.amdhsa_float_denorm_mode_16_64 3
		.amdhsa_dx10_clamp 1
		.amdhsa_ieee_mode 1
		.amdhsa_fp16_overflow 0
		.amdhsa_workgroup_processor_mode 1
		.amdhsa_memory_ordered 1
		.amdhsa_forward_progress 0
		.amdhsa_shared_vgpr_count 0
		.amdhsa_exception_fp_ieee_invalid_op 0
		.amdhsa_exception_fp_denorm_src 0
		.amdhsa_exception_fp_ieee_div_zero 0
		.amdhsa_exception_fp_ieee_overflow 0
		.amdhsa_exception_fp_ieee_underflow 0
		.amdhsa_exception_fp_ieee_inexact 0
		.amdhsa_exception_int_div_zero 0
	.end_amdhsa_kernel
	.section	.text._ZN9rocsparseL19gebsrmvn_2xn_kernelILj128ELj11ELj16E21rocsparse_complex_numIfEEEvi20rocsparse_direction_NS_24const_host_device_scalarIT2_EEPKiS8_PKS5_SA_S6_PS5_21rocsparse_index_base_b,"axG",@progbits,_ZN9rocsparseL19gebsrmvn_2xn_kernelILj128ELj11ELj16E21rocsparse_complex_numIfEEEvi20rocsparse_direction_NS_24const_host_device_scalarIT2_EEPKiS8_PKS5_SA_S6_PS5_21rocsparse_index_base_b,comdat
.Lfunc_end199:
	.size	_ZN9rocsparseL19gebsrmvn_2xn_kernelILj128ELj11ELj16E21rocsparse_complex_numIfEEEvi20rocsparse_direction_NS_24const_host_device_scalarIT2_EEPKiS8_PKS5_SA_S6_PS5_21rocsparse_index_base_b, .Lfunc_end199-_ZN9rocsparseL19gebsrmvn_2xn_kernelILj128ELj11ELj16E21rocsparse_complex_numIfEEEvi20rocsparse_direction_NS_24const_host_device_scalarIT2_EEPKiS8_PKS5_SA_S6_PS5_21rocsparse_index_base_b
                                        ; -- End function
	.section	.AMDGPU.csdata,"",@progbits
; Kernel info:
; codeLenInByte = 2724
; NumSgprs: 18
; NumVgprs: 40
; ScratchSize: 0
; MemoryBound: 0
; FloatMode: 240
; IeeeMode: 1
; LDSByteSize: 0 bytes/workgroup (compile time only)
; SGPRBlocks: 2
; VGPRBlocks: 4
; NumSGPRsForWavesPerEU: 18
; NumVGPRsForWavesPerEU: 40
; Occupancy: 16
; WaveLimiterHint : 1
; COMPUTE_PGM_RSRC2:SCRATCH_EN: 0
; COMPUTE_PGM_RSRC2:USER_SGPR: 15
; COMPUTE_PGM_RSRC2:TRAP_HANDLER: 0
; COMPUTE_PGM_RSRC2:TGID_X_EN: 1
; COMPUTE_PGM_RSRC2:TGID_Y_EN: 0
; COMPUTE_PGM_RSRC2:TGID_Z_EN: 0
; COMPUTE_PGM_RSRC2:TIDIG_COMP_CNT: 0
	.section	.text._ZN9rocsparseL19gebsrmvn_2xn_kernelILj128ELj11ELj32E21rocsparse_complex_numIfEEEvi20rocsparse_direction_NS_24const_host_device_scalarIT2_EEPKiS8_PKS5_SA_S6_PS5_21rocsparse_index_base_b,"axG",@progbits,_ZN9rocsparseL19gebsrmvn_2xn_kernelILj128ELj11ELj32E21rocsparse_complex_numIfEEEvi20rocsparse_direction_NS_24const_host_device_scalarIT2_EEPKiS8_PKS5_SA_S6_PS5_21rocsparse_index_base_b,comdat
	.globl	_ZN9rocsparseL19gebsrmvn_2xn_kernelILj128ELj11ELj32E21rocsparse_complex_numIfEEEvi20rocsparse_direction_NS_24const_host_device_scalarIT2_EEPKiS8_PKS5_SA_S6_PS5_21rocsparse_index_base_b ; -- Begin function _ZN9rocsparseL19gebsrmvn_2xn_kernelILj128ELj11ELj32E21rocsparse_complex_numIfEEEvi20rocsparse_direction_NS_24const_host_device_scalarIT2_EEPKiS8_PKS5_SA_S6_PS5_21rocsparse_index_base_b
	.p2align	8
	.type	_ZN9rocsparseL19gebsrmvn_2xn_kernelILj128ELj11ELj32E21rocsparse_complex_numIfEEEvi20rocsparse_direction_NS_24const_host_device_scalarIT2_EEPKiS8_PKS5_SA_S6_PS5_21rocsparse_index_base_b,@function
_ZN9rocsparseL19gebsrmvn_2xn_kernelILj128ELj11ELj32E21rocsparse_complex_numIfEEEvi20rocsparse_direction_NS_24const_host_device_scalarIT2_EEPKiS8_PKS5_SA_S6_PS5_21rocsparse_index_base_b: ; @_ZN9rocsparseL19gebsrmvn_2xn_kernelILj128ELj11ELj32E21rocsparse_complex_numIfEEEvi20rocsparse_direction_NS_24const_host_device_scalarIT2_EEPKiS8_PKS5_SA_S6_PS5_21rocsparse_index_base_b
; %bb.0:
	s_clause 0x2
	s_load_b64 s[12:13], s[0:1], 0x40
	s_load_b64 s[4:5], s[0:1], 0x8
	;; [unrolled: 1-line block ×3, first 2 shown]
	s_waitcnt lgkmcnt(0)
	s_bitcmp1_b32 s13, 0
	v_mov_b32_e32 v9, s4
	s_cselect_b32 s6, -1, 0
	s_delay_alu instid0(SALU_CYCLE_1)
	s_and_b32 vcc_lo, exec_lo, s6
	s_xor_b32 s6, s6, -1
	s_cbranch_vccz .LBB200_17
; %bb.1:
	v_cndmask_b32_e64 v1, 0, 1, s6
	v_mov_b32_e32 v10, s5
	s_and_not1_b32 vcc_lo, exec_lo, s6
	s_cbranch_vccz .LBB200_18
.LBB200_2:
	s_delay_alu instid0(VALU_DEP_2)
	v_cmp_ne_u32_e32 vcc_lo, 1, v1
	v_mov_b32_e32 v11, s2
	s_cbranch_vccz .LBB200_19
.LBB200_3:
	v_cmp_ne_u32_e32 vcc_lo, 1, v1
	v_mov_b32_e32 v12, s3
	s_cbranch_vccnz .LBB200_5
.LBB200_4:
	v_dual_mov_b32 v1, s2 :: v_dual_mov_b32 v2, s3
	flat_load_b32 v12, v[1:2] offset:4
.LBB200_5:
	s_waitcnt vmcnt(0) lgkmcnt(0)
	v_cmp_eq_f32_e32 vcc_lo, 0, v9
	v_cmp_eq_f32_e64 s2, 0, v10
	s_delay_alu instid0(VALU_DEP_1)
	s_and_b32 s4, vcc_lo, s2
	s_mov_b32 s2, -1
	s_and_saveexec_b32 s3, s4
; %bb.6:
	v_cmp_neq_f32_e32 vcc_lo, 1.0, v11
	v_cmp_neq_f32_e64 s2, 0, v12
	s_delay_alu instid0(VALU_DEP_1) | instskip(NEXT) | instid1(SALU_CYCLE_1)
	s_or_b32 s2, vcc_lo, s2
	s_or_not1_b32 s2, s2, exec_lo
; %bb.7:
	s_or_b32 exec_lo, exec_lo, s3
	s_and_saveexec_b32 s3, s2
	s_cbranch_execz .LBB200_37
; %bb.8:
	s_load_b64 s[2:3], s[0:1], 0x0
	v_lshrrev_b32_e32 v1, 5, v0
	s_delay_alu instid0(VALU_DEP_1) | instskip(SKIP_1) | instid1(VALU_DEP_1)
	v_lshl_or_b32 v1, s15, 2, v1
	s_waitcnt lgkmcnt(0)
	v_cmp_gt_i32_e32 vcc_lo, s2, v1
	s_and_b32 exec_lo, exec_lo, vcc_lo
	s_cbranch_execz .LBB200_37
; %bb.9:
	s_load_b256 s[4:11], s[0:1], 0x10
	v_ashrrev_i32_e32 v2, 31, v1
	v_and_b32_e32 v0, 31, v0
	s_cmp_lg_u32 s3, 0
	s_delay_alu instid0(VALU_DEP_2) | instskip(SKIP_1) | instid1(VALU_DEP_1)
	v_lshlrev_b64 v[2:3], 2, v[1:2]
	s_waitcnt lgkmcnt(0)
	v_add_co_u32 v2, vcc_lo, s4, v2
	s_delay_alu instid0(VALU_DEP_2) | instskip(SKIP_4) | instid1(VALU_DEP_2)
	v_add_co_ci_u32_e32 v3, vcc_lo, s5, v3, vcc_lo
	global_load_b64 v[3:4], v[2:3], off
	s_waitcnt vmcnt(0)
	v_subrev_nc_u32_e32 v2, s12, v3
	v_subrev_nc_u32_e32 v13, s12, v4
	v_add_nc_u32_e32 v2, v2, v0
	s_delay_alu instid0(VALU_DEP_1)
	v_cmp_lt_i32_e64 s2, v2, v13
	s_cbranch_scc0 .LBB200_20
; %bb.10:
	v_dual_mov_b32 v8, 0 :: v_dual_mov_b32 v15, 0
	v_mov_b32_e32 v14, 0
	v_mov_b32_e32 v16, 0
	s_mov_b32 s3, 0
	s_and_saveexec_b32 s4, s2
	s_cbranch_execz .LBB200_22
; %bb.11:
	v_mul_lo_u32 v4, v3, 22
	v_mul_lo_u32 v17, v2, 22
	s_mul_i32 s5, s12, 22
	v_dual_mov_b32 v5, 0 :: v_dual_mov_b32 v6, v2
	v_dual_mov_b32 v8, 0 :: v_dual_mov_b32 v15, 0
	v_mov_b32_e32 v14, 0
	v_mad_u32_u24 v4, v0, 22, v4
	v_mov_b32_e32 v16, 0
	s_delay_alu instid0(VALU_DEP_2)
	v_subrev_nc_u32_e32 v18, s5, v4
	s_mov_b32 s5, 0
	s_branch .LBB200_13
.LBB200_12:                             ;   in Loop: Header=BB200_13 Depth=1
	v_add_nc_u32_e32 v6, 32, v6
	v_add_nc_u32_e32 v17, 0x2c0, v17
	;; [unrolled: 1-line block ×3, first 2 shown]
	s_delay_alu instid0(VALU_DEP_3) | instskip(SKIP_1) | instid1(SALU_CYCLE_1)
	v_cmp_ge_i32_e32 vcc_lo, v6, v13
	s_or_b32 s5, vcc_lo, s5
	s_and_not1_b32 exec_lo, exec_lo, s5
	s_cbranch_execz .LBB200_21
.LBB200_13:                             ; =>This Loop Header: Depth=1
                                        ;     Child Loop BB200_15 Depth 2
	v_ashrrev_i32_e32 v7, 31, v6
	v_dual_mov_b32 v21, v14 :: v_dual_mov_b32 v22, v16
	s_mov_b32 s13, 0
	s_delay_alu instid0(VALU_DEP_2) | instskip(NEXT) | instid1(VALU_DEP_1)
	v_lshlrev_b64 v[19:20], 2, v[6:7]
	v_add_co_u32 v19, vcc_lo, s6, v19
	s_delay_alu instid0(VALU_DEP_2) | instskip(SKIP_4) | instid1(VALU_DEP_1)
	v_add_co_ci_u32_e32 v20, vcc_lo, s7, v20, vcc_lo
	global_load_b32 v4, v[19:20], off
	v_dual_mov_b32 v19, v8 :: v_dual_mov_b32 v20, v15
	s_waitcnt vmcnt(0)
	v_subrev_nc_u32_e32 v4, s12, v4
	v_mul_lo_u32 v7, v4, 11
	s_branch .LBB200_15
.LBB200_14:                             ;   in Loop: Header=BB200_13 Depth=1
                                        ; implicit-def: $vgpr20
                                        ; implicit-def: $vgpr22
                                        ; implicit-def: $vgpr21
                                        ; implicit-def: $vgpr19
                                        ; implicit-def: $sgpr13
                                        ; implicit-def: $vgpr7
	s_branch .LBB200_12
.LBB200_15:                             ;   Parent Loop BB200_13 Depth=1
                                        ; =>  This Inner Loop Header: Depth=2
	v_add_nc_u32_e32 v4, s13, v18
	v_dual_mov_b32 v8, v5 :: v_dual_add_nc_u32 v23, s13, v17
	s_cmp_eq_u32 s13, 16
	s_delay_alu instid0(VALU_DEP_2) | instskip(NEXT) | instid1(VALU_DEP_2)
	v_lshlrev_b64 v[14:15], 3, v[4:5]
	v_lshlrev_b64 v[24:25], 3, v[7:8]
	s_delay_alu instid0(VALU_DEP_2) | instskip(NEXT) | instid1(VALU_DEP_3)
	v_add_co_u32 v14, vcc_lo, s8, v14
	v_add_co_ci_u32_e32 v15, vcc_lo, s9, v15, vcc_lo
	s_delay_alu instid0(VALU_DEP_3) | instskip(NEXT) | instid1(VALU_DEP_4)
	v_add_co_u32 v28, vcc_lo, s10, v24
	v_add_co_ci_u32_e32 v29, vcc_lo, s11, v25, vcc_lo
	global_load_b128 v[24:27], v[14:15], off
	global_load_b64 v[14:15], v[28:29], off
	s_waitcnt vmcnt(0)
	v_dual_fmac_f32 v19, v25, v14 :: v_dual_add_nc_u32 v4, 2, v23
	s_delay_alu instid0(VALU_DEP_1) | instskip(SKIP_1) | instid1(VALU_DEP_3)
	v_lshlrev_b64 v[30:31], 3, v[4:5]
	v_dual_fmac_f32 v21, v24, v14 :: v_dual_add_nc_u32 v4, 1, v7
	v_fmac_f32_e32 v19, v24, v15
	s_delay_alu instid0(VALU_DEP_2) | instskip(NEXT) | instid1(VALU_DEP_4)
	v_lshlrev_b64 v[28:29], 3, v[4:5]
	v_add_co_u32 v30, vcc_lo, s8, v30
	v_add_co_ci_u32_e32 v31, vcc_lo, s9, v31, vcc_lo
	s_delay_alu instid0(VALU_DEP_3) | instskip(NEXT) | instid1(VALU_DEP_4)
	v_add_co_u32 v32, vcc_lo, s10, v28
	v_add_co_ci_u32_e32 v33, vcc_lo, s11, v29, vcc_lo
	global_load_b128 v[28:31], v[30:31], off
	global_load_b64 v[36:37], v[32:33], off
	s_waitcnt vmcnt(0)
	v_dual_fmac_f32 v19, v29, v36 :: v_dual_add_nc_u32 v4, 4, v23
	s_delay_alu instid0(VALU_DEP_1) | instskip(NEXT) | instid1(VALU_DEP_2)
	v_lshlrev_b64 v[34:35], 3, v[4:5]
	v_dual_fmac_f32 v19, v28, v37 :: v_dual_add_nc_u32 v4, 2, v7
	s_delay_alu instid0(VALU_DEP_1) | instskip(NEXT) | instid1(VALU_DEP_3)
	v_lshlrev_b64 v[32:33], 3, v[4:5]
	v_add_co_u32 v34, vcc_lo, s8, v34
	s_delay_alu instid0(VALU_DEP_4) | instskip(SKIP_1) | instid1(VALU_DEP_4)
	v_add_co_ci_u32_e32 v35, vcc_lo, s9, v35, vcc_lo
	v_fma_f32 v4, -v25, v15, v21
	v_add_co_u32 v38, vcc_lo, s10, v32
	v_add_co_ci_u32_e32 v39, vcc_lo, s11, v33, vcc_lo
	global_load_b128 v[32:35], v[34:35], off
	global_load_b64 v[38:39], v[38:39], off
	v_fmac_f32_e32 v20, v27, v14
	v_fmac_f32_e32 v4, v28, v36
	s_delay_alu instid0(VALU_DEP_2) | instskip(NEXT) | instid1(VALU_DEP_2)
	v_fmac_f32_e32 v20, v26, v15
	v_fma_f32 v4, -v29, v37, v4
	s_waitcnt vmcnt(0)
	s_delay_alu instid0(VALU_DEP_2) | instskip(NEXT) | instid1(VALU_DEP_2)
	v_dual_fmac_f32 v19, v33, v38 :: v_dual_fmac_f32 v20, v31, v36
	v_fmac_f32_e32 v4, v32, v38
	s_delay_alu instid0(VALU_DEP_2) | instskip(NEXT) | instid1(VALU_DEP_1)
	v_fmac_f32_e32 v20, v30, v37
	v_fmac_f32_e32 v20, v35, v38
	;; [unrolled: 1-line block ×3, first 2 shown]
	s_delay_alu instid0(VALU_DEP_4) | instskip(NEXT) | instid1(VALU_DEP_2)
	v_fma_f32 v14, -v33, v39, v4
	v_fma_f32 v8, -v27, v15, v22
	s_delay_alu instid0(VALU_DEP_1) | instskip(NEXT) | instid1(VALU_DEP_1)
	v_dual_mov_b32 v15, v20 :: v_dual_fmac_f32 v8, v30, v36
	v_fmac_f32_e32 v15, v34, v39
	s_delay_alu instid0(VALU_DEP_2) | instskip(SKIP_1) | instid1(VALU_DEP_2)
	v_fma_f32 v16, -v31, v37, v8
	v_mov_b32_e32 v8, v19
	v_fmac_f32_e32 v16, v34, v38
	s_delay_alu instid0(VALU_DEP_2) | instskip(NEXT) | instid1(VALU_DEP_2)
	v_fmac_f32_e32 v8, v32, v39
	v_fma_f32 v16, -v35, v39, v16
	s_cbranch_scc1 .LBB200_14
; %bb.16:                               ;   in Loop: Header=BB200_15 Depth=2
	v_add_nc_u32_e32 v4, 6, v23
	s_add_i32 s13, s13, 8
	s_delay_alu instid0(VALU_DEP_1) | instskip(SKIP_2) | instid1(VALU_DEP_2)
	v_lshlrev_b64 v[19:20], 3, v[4:5]
	v_add_nc_u32_e32 v4, 3, v7
	v_add_nc_u32_e32 v7, 4, v7
	v_lshlrev_b64 v[21:22], 3, v[4:5]
	s_delay_alu instid0(VALU_DEP_4) | instskip(SKIP_1) | instid1(VALU_DEP_3)
	v_add_co_u32 v19, vcc_lo, s8, v19
	v_add_co_ci_u32_e32 v20, vcc_lo, s9, v20, vcc_lo
	v_add_co_u32 v26, vcc_lo, s10, v21
	s_delay_alu instid0(VALU_DEP_4)
	v_add_co_ci_u32_e32 v27, vcc_lo, s11, v22, vcc_lo
	global_load_b128 v[22:25], v[19:20], off
	global_load_b64 v[26:27], v[26:27], off
	s_waitcnt vmcnt(0)
	v_fma_f32 v4, v22, v26, v14
	v_fma_f32 v19, v23, v26, v8
	;; [unrolled: 1-line block ×4, first 2 shown]
	s_delay_alu instid0(VALU_DEP_4) | instskip(NEXT) | instid1(VALU_DEP_4)
	v_fma_f32 v21, -v23, v27, v4
	v_fmac_f32_e32 v19, v22, v27
	s_delay_alu instid0(VALU_DEP_4) | instskip(NEXT) | instid1(VALU_DEP_4)
	v_fma_f32 v22, -v25, v27, v28
	v_fmac_f32_e32 v20, v24, v27
	s_cbranch_execnz .LBB200_15
	s_branch .LBB200_12
.LBB200_17:
	v_dual_mov_b32 v1, s4 :: v_dual_mov_b32 v2, s5
	flat_load_b32 v9, v[1:2]
	v_cndmask_b32_e64 v1, 0, 1, s6
	v_mov_b32_e32 v10, s5
	s_and_not1_b32 vcc_lo, exec_lo, s6
	s_cbranch_vccnz .LBB200_2
.LBB200_18:
	v_dual_mov_b32 v2, s4 :: v_dual_mov_b32 v3, s5
	flat_load_b32 v10, v[2:3] offset:4
	v_cmp_ne_u32_e32 vcc_lo, 1, v1
	v_mov_b32_e32 v11, s2
	s_cbranch_vccnz .LBB200_3
.LBB200_19:
	v_dual_mov_b32 v2, s2 :: v_dual_mov_b32 v3, s3
	flat_load_b32 v11, v[2:3]
	v_cmp_ne_u32_e32 vcc_lo, 1, v1
	v_mov_b32_e32 v12, s3
	s_cbranch_vccz .LBB200_4
	s_branch .LBB200_5
.LBB200_20:
                                        ; implicit-def: $vgpr8
                                        ; implicit-def: $vgpr14
                                        ; implicit-def: $vgpr16
                                        ; implicit-def: $vgpr15
	s_branch .LBB200_23
.LBB200_21:
	s_or_b32 exec_lo, exec_lo, s5
.LBB200_22:
	s_delay_alu instid0(SALU_CYCLE_1) | instskip(NEXT) | instid1(SALU_CYCLE_1)
	s_or_b32 exec_lo, exec_lo, s4
	s_and_not1_b32 vcc_lo, exec_lo, s3
	s_cbranch_vccnz .LBB200_32
.LBB200_23:
	v_dual_mov_b32 v8, 0 :: v_dual_mov_b32 v15, 0
	v_mov_b32_e32 v14, 0
	v_mov_b32_e32 v16, 0
	s_and_saveexec_b32 s3, s2
	s_cbranch_execz .LBB200_31
; %bb.24:
	v_mul_lo_u32 v3, v3, 22
	v_mul_lo_u32 v5, v2, 22
	s_mul_i32 s2, s12, 22
	v_dual_mov_b32 v4, 0 :: v_dual_mov_b32 v15, 0
	v_mov_b32_e32 v8, 0
	v_mov_b32_e32 v14, 0
	;; [unrolled: 1-line block ×3, first 2 shown]
	v_mad_u32_u24 v3, v0, 22, v3
	s_delay_alu instid0(VALU_DEP_1)
	v_subrev_nc_u32_e32 v6, s2, v3
	s_mov_b32 s2, 0
	s_branch .LBB200_26
.LBB200_25:                             ;   in Loop: Header=BB200_26 Depth=1
	v_add_nc_u32_e32 v2, 32, v2
	v_add_nc_u32_e32 v5, 0x2c0, v5
	;; [unrolled: 1-line block ×3, first 2 shown]
	s_delay_alu instid0(VALU_DEP_3) | instskip(SKIP_1) | instid1(SALU_CYCLE_1)
	v_cmp_ge_i32_e32 vcc_lo, v2, v13
	s_or_b32 s2, vcc_lo, s2
	s_and_not1_b32 exec_lo, exec_lo, s2
	s_cbranch_execz .LBB200_30
.LBB200_26:                             ; =>This Loop Header: Depth=1
                                        ;     Child Loop BB200_28 Depth 2
	v_ashrrev_i32_e32 v3, 31, v2
	v_dual_mov_b32 v19, v14 :: v_dual_mov_b32 v20, v16
	s_mov_b32 s4, 0
	s_delay_alu instid0(VALU_DEP_2) | instskip(NEXT) | instid1(VALU_DEP_1)
	v_lshlrev_b64 v[17:18], 2, v[2:3]
	v_add_co_u32 v17, vcc_lo, s6, v17
	s_delay_alu instid0(VALU_DEP_2) | instskip(SKIP_4) | instid1(VALU_DEP_1)
	v_add_co_ci_u32_e32 v18, vcc_lo, s7, v18, vcc_lo
	global_load_b32 v3, v[17:18], off
	v_dual_mov_b32 v17, v8 :: v_dual_mov_b32 v18, v15
	s_waitcnt vmcnt(0)
	v_subrev_nc_u32_e32 v3, s12, v3
	v_mul_lo_u32 v7, v3, 11
	s_branch .LBB200_28
.LBB200_27:                             ;   in Loop: Header=BB200_26 Depth=1
                                        ; implicit-def: $vgpr18
                                        ; implicit-def: $vgpr20
                                        ; implicit-def: $vgpr19
                                        ; implicit-def: $vgpr17
                                        ; implicit-def: $sgpr4
	s_branch .LBB200_25
.LBB200_28:                             ;   Parent Loop BB200_26 Depth=1
                                        ; =>  This Inner Loop Header: Depth=2
	v_add_nc_u32_e32 v3, s4, v6
	v_add_nc_u32_e32 v21, s4, v5
	v_mov_b32_e32 v15, v4
	s_cmp_eq_u32 s4, 8
	v_mov_b32_e32 v31, v4
	v_lshlrev_b64 v[22:23], 3, v[3:4]
	v_add_nc_u32_e32 v14, 11, v21
	v_add_nc_u32_e32 v3, s4, v7
	v_mov_b32_e32 v27, v4
	v_mov_b32_e32 v35, v4
	s_delay_alu instid0(VALU_DEP_4) | instskip(NEXT) | instid1(VALU_DEP_4)
	v_lshlrev_b64 v[14:15], 3, v[14:15]
	v_lshlrev_b64 v[24:25], 3, v[3:4]
	v_add_co_u32 v22, vcc_lo, s8, v22
	v_add_co_ci_u32_e32 v23, vcc_lo, s9, v23, vcc_lo
	s_delay_alu instid0(VALU_DEP_3) | instskip(NEXT) | instid1(VALU_DEP_4)
	v_add_co_u32 v28, vcc_lo, s10, v24
	v_add_co_ci_u32_e32 v29, vcc_lo, s11, v25, vcc_lo
	v_add_co_u32 v14, vcc_lo, s8, v14
	v_add_co_ci_u32_e32 v15, vcc_lo, s9, v15, vcc_lo
	global_load_b128 v[22:25], v[22:23], off
	global_load_b64 v[32:33], v[28:29], off
	global_load_b64 v[14:15], v[14:15], off
	s_waitcnt vmcnt(1)
	v_fmac_f32_e32 v17, v23, v32
	s_waitcnt vmcnt(0)
	v_fmac_f32_e32 v18, v15, v32
	v_fmac_f32_e32 v20, v14, v32
	v_add_nc_u32_e32 v30, 12, v21
	s_delay_alu instid0(VALU_DEP_3) | instskip(SKIP_1) | instid1(VALU_DEP_3)
	v_fmac_f32_e32 v18, v14, v33
	v_add_nc_u32_e32 v26, 1, v3
	v_lshlrev_b64 v[28:29], 3, v[30:31]
	v_add_nc_u32_e32 v30, 2, v21
	v_add_nc_u32_e32 v34, 2, v3
	v_fma_f32 v14, -v15, v33, v20
	v_lshlrev_b64 v[26:27], 3, v[26:27]
	s_delay_alu instid0(VALU_DEP_4) | instskip(NEXT) | instid1(VALU_DEP_4)
	v_lshlrev_b64 v[30:31], 3, v[30:31]
	v_lshlrev_b64 v[34:35], 3, v[34:35]
	s_delay_alu instid0(VALU_DEP_3) | instskip(NEXT) | instid1(VALU_DEP_4)
	v_add_co_u32 v26, vcc_lo, s10, v26
	v_add_co_ci_u32_e32 v27, vcc_lo, s11, v27, vcc_lo
	v_add_co_u32 v28, vcc_lo, s8, v28
	v_add_co_ci_u32_e32 v29, vcc_lo, s9, v29, vcc_lo
	global_load_b64 v[36:37], v[26:27], off
	global_load_b128 v[26:29], v[28:29], off
	v_add_co_u32 v30, vcc_lo, s8, v30
	v_add_co_ci_u32_e32 v31, vcc_lo, s9, v31, vcc_lo
	v_add_co_u32 v34, vcc_lo, s10, v34
	v_add_co_ci_u32_e32 v35, vcc_lo, s11, v35, vcc_lo
	global_load_b64 v[30:31], v[30:31], off
	global_load_b64 v[34:35], v[34:35], off
	s_waitcnt vmcnt(2)
	v_dual_fmac_f32 v17, v22, v33 :: v_dual_fmac_f32 v18, v27, v36
	s_delay_alu instid0(VALU_DEP_1) | instskip(SKIP_1) | instid1(VALU_DEP_2)
	v_dual_fmac_f32 v17, v25, v36 :: v_dual_fmac_f32 v18, v26, v37
	v_fmac_f32_e32 v19, v22, v32
	v_dual_fmac_f32 v14, v26, v36 :: v_dual_fmac_f32 v17, v24, v37
	s_waitcnt vmcnt(0)
	s_delay_alu instid0(VALU_DEP_3) | instskip(NEXT) | instid1(VALU_DEP_3)
	v_fmac_f32_e32 v18, v29, v34
	v_fma_f32 v8, -v23, v33, v19
	s_delay_alu instid0(VALU_DEP_3) | instskip(SKIP_1) | instid1(VALU_DEP_3)
	v_fma_f32 v19, -v27, v37, v14
	v_fmac_f32_e32 v17, v31, v34
	v_dual_mov_b32 v15, v18 :: v_dual_fmac_f32 v8, v24, v36
	s_delay_alu instid0(VALU_DEP_3) | instskip(NEXT) | instid1(VALU_DEP_2)
	v_fmac_f32_e32 v19, v28, v34
	v_fmac_f32_e32 v15, v28, v35
	s_delay_alu instid0(VALU_DEP_3) | instskip(SKIP_1) | instid1(VALU_DEP_2)
	v_fma_f32 v16, -v25, v37, v8
	v_mov_b32_e32 v8, v17
	v_fmac_f32_e32 v16, v30, v34
	s_delay_alu instid0(VALU_DEP_2) | instskip(NEXT) | instid1(VALU_DEP_2)
	v_fmac_f32_e32 v8, v30, v35
	v_fma_f32 v14, -v31, v35, v16
	v_fma_f32 v16, -v29, v35, v19
	s_cbranch_scc1 .LBB200_27
; %bb.29:                               ;   in Loop: Header=BB200_28 Depth=2
	v_dual_mov_b32 v18, v4 :: v_dual_add_nc_u32 v3, 3, v3
	v_add_nc_u32_e32 v17, 3, v21
	s_add_i32 s4, s4, 4
	s_delay_alu instid0(VALU_DEP_2) | instskip(SKIP_1) | instid1(VALU_DEP_3)
	v_lshlrev_b64 v[19:20], 3, v[3:4]
	v_add_nc_u32_e32 v3, 14, v21
	v_lshlrev_b64 v[17:18], 3, v[17:18]
	s_delay_alu instid0(VALU_DEP_2) | instskip(NEXT) | instid1(VALU_DEP_2)
	v_lshlrev_b64 v[21:22], 3, v[3:4]
	v_add_co_u32 v17, vcc_lo, s8, v17
	s_delay_alu instid0(VALU_DEP_3)
	v_add_co_ci_u32_e32 v18, vcc_lo, s9, v18, vcc_lo
	v_add_co_u32 v19, vcc_lo, s10, v19
	v_add_co_ci_u32_e32 v20, vcc_lo, s11, v20, vcc_lo
	v_add_co_u32 v21, vcc_lo, s8, v21
	v_add_co_ci_u32_e32 v22, vcc_lo, s9, v22, vcc_lo
	global_load_b64 v[23:24], v[17:18], off
	global_load_b64 v[25:26], v[19:20], off
	;; [unrolled: 1-line block ×3, first 2 shown]
	s_waitcnt vmcnt(1)
	v_fma_f32 v3, v23, v25, v14
	v_fma_f32 v17, v24, v25, v8
	s_waitcnt vmcnt(0)
	v_fma_f32 v20, v21, v25, v16
	v_fma_f32 v18, v22, v25, v15
	v_fma_f32 v19, -v24, v26, v3
	v_fmac_f32_e32 v17, v23, v26
	s_delay_alu instid0(VALU_DEP_4) | instskip(NEXT) | instid1(VALU_DEP_4)
	v_fma_f32 v20, -v22, v26, v20
	v_fmac_f32_e32 v18, v21, v26
	s_cbranch_execnz .LBB200_28
	s_branch .LBB200_25
.LBB200_30:
	s_or_b32 exec_lo, exec_lo, s2
.LBB200_31:
	s_delay_alu instid0(SALU_CYCLE_1)
	s_or_b32 exec_lo, exec_lo, s3
.LBB200_32:
	v_mbcnt_lo_u32_b32 v2, -1, 0
	s_delay_alu instid0(VALU_DEP_1) | instskip(SKIP_1) | instid1(VALU_DEP_2)
	v_xor_b32_e32 v3, 16, v2
	v_xor_b32_e32 v7, 8, v2
	v_cmp_gt_i32_e32 vcc_lo, 32, v3
	v_cndmask_b32_e32 v3, v2, v3, vcc_lo
	s_delay_alu instid0(VALU_DEP_3) | instskip(NEXT) | instid1(VALU_DEP_2)
	v_cmp_gt_i32_e32 vcc_lo, 32, v7
	v_lshlrev_b32_e32 v3, 2, v3
	ds_bpermute_b32 v4, v3, v14
	s_waitcnt lgkmcnt(0)
	v_add_f32_e32 v4, v14, v4
	ds_bpermute_b32 v6, v3, v16
	v_cndmask_b32_e32 v7, v2, v7, vcc_lo
	ds_bpermute_b32 v5, v3, v8
	ds_bpermute_b32 v3, v3, v15
	s_waitcnt lgkmcnt(2)
	v_dual_add_f32 v6, v16, v6 :: v_dual_lshlrev_b32 v7, 2, v7
	s_waitcnt lgkmcnt(1)
	v_add_f32_e32 v5, v8, v5
	ds_bpermute_b32 v14, v7, v6
	s_waitcnt lgkmcnt(0)
	v_dual_add_f32 v6, v6, v14 :: v_dual_add_f32 v3, v15, v3
	ds_bpermute_b32 v8, v7, v4
	ds_bpermute_b32 v13, v7, v5
	v_xor_b32_e32 v15, 4, v2
	s_delay_alu instid0(VALU_DEP_1) | instskip(SKIP_2) | instid1(VALU_DEP_1)
	v_cmp_gt_i32_e32 vcc_lo, 32, v15
	v_cndmask_b32_e32 v15, v2, v15, vcc_lo
	s_waitcnt lgkmcnt(1)
	v_dual_add_f32 v4, v4, v8 :: v_dual_lshlrev_b32 v15, 2, v15
	s_waitcnt lgkmcnt(0)
	v_add_f32_e32 v5, v5, v13
	ds_bpermute_b32 v13, v15, v6
	s_waitcnt lgkmcnt(0)
	v_add_f32_e32 v6, v6, v13
	ds_bpermute_b32 v7, v7, v3
	;; [unrolled: 3-line block ×3, first 2 shown]
	ds_bpermute_b32 v14, v15, v3
	s_waitcnt lgkmcnt(1)
	v_add_f32_e32 v4, v4, v7
	ds_bpermute_b32 v8, v15, v5
	v_xor_b32_e32 v15, 2, v2
	s_waitcnt lgkmcnt(1)
	v_add_f32_e32 v3, v3, v14
	s_delay_alu instid0(VALU_DEP_2) | instskip(SKIP_1) | instid1(VALU_DEP_1)
	v_cmp_gt_i32_e32 vcc_lo, 32, v15
	v_cndmask_b32_e32 v15, v2, v15, vcc_lo
	v_lshlrev_b32_e32 v15, 2, v15
	ds_bpermute_b32 v7, v15, v4
	s_waitcnt lgkmcnt(1)
	v_add_f32_e32 v5, v5, v8
	ds_bpermute_b32 v13, v15, v6
	ds_bpermute_b32 v14, v15, v3
	s_waitcnt lgkmcnt(2)
	v_add_f32_e32 v4, v4, v7
	ds_bpermute_b32 v8, v15, v5
	v_xor_b32_e32 v15, 1, v2
	s_waitcnt lgkmcnt(1)
	v_add_f32_e32 v3, v3, v14
	s_delay_alu instid0(VALU_DEP_2) | instskip(SKIP_2) | instid1(VALU_DEP_2)
	v_cmp_gt_i32_e32 vcc_lo, 32, v15
	v_cndmask_b32_e32 v2, v2, v15, vcc_lo
	v_cmp_eq_u32_e32 vcc_lo, 31, v0
	v_dual_add_f32 v2, v6, v13 :: v_dual_lshlrev_b32 v15, 2, v2
	s_waitcnt lgkmcnt(0)
	v_add_f32_e32 v5, v5, v8
	ds_bpermute_b32 v8, v15, v4
	ds_bpermute_b32 v6, v15, v2
	;; [unrolled: 1-line block ×4, first 2 shown]
	s_and_b32 exec_lo, exec_lo, vcc_lo
	s_cbranch_execz .LBB200_37
; %bb.33:
	s_load_b64 s[2:3], s[0:1], 0x38
	v_cmp_eq_f32_e32 vcc_lo, 0, v11
	v_cmp_eq_f32_e64 s0, 0, v12
	s_waitcnt lgkmcnt(0)
	v_dual_add_f32 v0, v4, v8 :: v_dual_add_f32 v3, v3, v7
	v_add_f32_e32 v4, v5, v13
	v_add_f32_e32 v2, v2, v6
	s_and_b32 s0, vcc_lo, s0
	s_delay_alu instid0(SALU_CYCLE_1) | instskip(NEXT) | instid1(SALU_CYCLE_1)
	s_and_saveexec_b32 s1, s0
	s_xor_b32 s0, exec_lo, s1
	s_cbranch_execz .LBB200_35
; %bb.34:
	v_mul_f32_e64 v5, v4, -v10
	v_mul_f32_e32 v6, v4, v9
	v_mul_f32_e64 v7, v3, -v10
	v_mul_f32_e32 v8, v3, v9
                                        ; implicit-def: $vgpr4
                                        ; implicit-def: $vgpr3
	s_delay_alu instid0(VALU_DEP_4) | instskip(NEXT) | instid1(VALU_DEP_4)
	v_fmac_f32_e32 v5, v9, v0
	v_dual_fmac_f32 v6, v10, v0 :: v_dual_lshlrev_b32 v11, 1, v1
	s_delay_alu instid0(VALU_DEP_4) | instskip(NEXT) | instid1(VALU_DEP_4)
	v_fmac_f32_e32 v7, v9, v2
	v_fmac_f32_e32 v8, v10, v2
                                        ; implicit-def: $vgpr9
                                        ; implicit-def: $vgpr10
                                        ; implicit-def: $vgpr2
	s_delay_alu instid0(VALU_DEP_3) | instskip(NEXT) | instid1(VALU_DEP_1)
	v_ashrrev_i32_e32 v12, 31, v11
	v_lshlrev_b64 v[11:12], 3, v[11:12]
	s_delay_alu instid0(VALU_DEP_1) | instskip(NEXT) | instid1(VALU_DEP_2)
	v_add_co_u32 v0, vcc_lo, s2, v11
	v_add_co_ci_u32_e32 v1, vcc_lo, s3, v12, vcc_lo
                                        ; implicit-def: $vgpr11
                                        ; implicit-def: $vgpr12
	global_store_b128 v[0:1], v[5:8], off
                                        ; implicit-def: $vgpr1
                                        ; implicit-def: $vgpr0
.LBB200_35:
	s_and_not1_saveexec_b32 s0, s0
	s_cbranch_execz .LBB200_37
; %bb.36:
	v_lshlrev_b32_e32 v5, 1, v1
	v_mul_f32_e64 v15, v4, -v10
	v_mul_f32_e32 v1, v4, v9
	v_mul_f32_e64 v4, v3, -v10
	v_mul_f32_e32 v3, v3, v9
	s_delay_alu instid0(VALU_DEP_4) | instskip(NEXT) | instid1(VALU_DEP_3)
	v_fmac_f32_e32 v15, v9, v0
	v_fmac_f32_e32 v4, v9, v2
	v_ashrrev_i32_e32 v6, 31, v5
	s_delay_alu instid0(VALU_DEP_4) | instskip(NEXT) | instid1(VALU_DEP_2)
	v_fmac_f32_e32 v3, v10, v2
	v_lshlrev_b64 v[5:6], 3, v[5:6]
	s_delay_alu instid0(VALU_DEP_1) | instskip(NEXT) | instid1(VALU_DEP_2)
	v_add_co_u32 v13, vcc_lo, s2, v5
	v_add_co_ci_u32_e32 v14, vcc_lo, s3, v6, vcc_lo
	global_load_b128 v[5:8], v[13:14], off
	s_waitcnt vmcnt(0)
	v_dual_fmac_f32 v4, v11, v7 :: v_dual_fmac_f32 v1, v10, v0
	v_fmac_f32_e32 v15, v11, v5
	v_fmac_f32_e32 v3, v12, v7
	s_delay_alu instid0(VALU_DEP_3) | instskip(NEXT) | instid1(VALU_DEP_4)
	v_fma_f32 v2, -v12, v8, v4
	v_fmac_f32_e32 v1, v12, v5
	s_delay_alu instid0(VALU_DEP_4) | instskip(NEXT) | instid1(VALU_DEP_4)
	v_fma_f32 v0, -v12, v6, v15
	v_fmac_f32_e32 v3, v11, v8
	s_delay_alu instid0(VALU_DEP_3)
	v_fmac_f32_e32 v1, v11, v6
	global_store_b128 v[13:14], v[0:3], off
.LBB200_37:
	s_nop 0
	s_sendmsg sendmsg(MSG_DEALLOC_VGPRS)
	s_endpgm
	.section	.rodata,"a",@progbits
	.p2align	6, 0x0
	.amdhsa_kernel _ZN9rocsparseL19gebsrmvn_2xn_kernelILj128ELj11ELj32E21rocsparse_complex_numIfEEEvi20rocsparse_direction_NS_24const_host_device_scalarIT2_EEPKiS8_PKS5_SA_S6_PS5_21rocsparse_index_base_b
		.amdhsa_group_segment_fixed_size 0
		.amdhsa_private_segment_fixed_size 0
		.amdhsa_kernarg_size 72
		.amdhsa_user_sgpr_count 15
		.amdhsa_user_sgpr_dispatch_ptr 0
		.amdhsa_user_sgpr_queue_ptr 0
		.amdhsa_user_sgpr_kernarg_segment_ptr 1
		.amdhsa_user_sgpr_dispatch_id 0
		.amdhsa_user_sgpr_private_segment_size 0
		.amdhsa_wavefront_size32 1
		.amdhsa_uses_dynamic_stack 0
		.amdhsa_enable_private_segment 0
		.amdhsa_system_sgpr_workgroup_id_x 1
		.amdhsa_system_sgpr_workgroup_id_y 0
		.amdhsa_system_sgpr_workgroup_id_z 0
		.amdhsa_system_sgpr_workgroup_info 0
		.amdhsa_system_vgpr_workitem_id 0
		.amdhsa_next_free_vgpr 40
		.amdhsa_next_free_sgpr 16
		.amdhsa_reserve_vcc 1
		.amdhsa_float_round_mode_32 0
		.amdhsa_float_round_mode_16_64 0
		.amdhsa_float_denorm_mode_32 3
		.amdhsa_float_denorm_mode_16_64 3
		.amdhsa_dx10_clamp 1
		.amdhsa_ieee_mode 1
		.amdhsa_fp16_overflow 0
		.amdhsa_workgroup_processor_mode 1
		.amdhsa_memory_ordered 1
		.amdhsa_forward_progress 0
		.amdhsa_shared_vgpr_count 0
		.amdhsa_exception_fp_ieee_invalid_op 0
		.amdhsa_exception_fp_denorm_src 0
		.amdhsa_exception_fp_ieee_div_zero 0
		.amdhsa_exception_fp_ieee_overflow 0
		.amdhsa_exception_fp_ieee_underflow 0
		.amdhsa_exception_fp_ieee_inexact 0
		.amdhsa_exception_int_div_zero 0
	.end_amdhsa_kernel
	.section	.text._ZN9rocsparseL19gebsrmvn_2xn_kernelILj128ELj11ELj32E21rocsparse_complex_numIfEEEvi20rocsparse_direction_NS_24const_host_device_scalarIT2_EEPKiS8_PKS5_SA_S6_PS5_21rocsparse_index_base_b,"axG",@progbits,_ZN9rocsparseL19gebsrmvn_2xn_kernelILj128ELj11ELj32E21rocsparse_complex_numIfEEEvi20rocsparse_direction_NS_24const_host_device_scalarIT2_EEPKiS8_PKS5_SA_S6_PS5_21rocsparse_index_base_b,comdat
.Lfunc_end200:
	.size	_ZN9rocsparseL19gebsrmvn_2xn_kernelILj128ELj11ELj32E21rocsparse_complex_numIfEEEvi20rocsparse_direction_NS_24const_host_device_scalarIT2_EEPKiS8_PKS5_SA_S6_PS5_21rocsparse_index_base_b, .Lfunc_end200-_ZN9rocsparseL19gebsrmvn_2xn_kernelILj128ELj11ELj32E21rocsparse_complex_numIfEEEvi20rocsparse_direction_NS_24const_host_device_scalarIT2_EEPKiS8_PKS5_SA_S6_PS5_21rocsparse_index_base_b
                                        ; -- End function
	.section	.AMDGPU.csdata,"",@progbits
; Kernel info:
; codeLenInByte = 2812
; NumSgprs: 18
; NumVgprs: 40
; ScratchSize: 0
; MemoryBound: 0
; FloatMode: 240
; IeeeMode: 1
; LDSByteSize: 0 bytes/workgroup (compile time only)
; SGPRBlocks: 2
; VGPRBlocks: 4
; NumSGPRsForWavesPerEU: 18
; NumVGPRsForWavesPerEU: 40
; Occupancy: 16
; WaveLimiterHint : 1
; COMPUTE_PGM_RSRC2:SCRATCH_EN: 0
; COMPUTE_PGM_RSRC2:USER_SGPR: 15
; COMPUTE_PGM_RSRC2:TRAP_HANDLER: 0
; COMPUTE_PGM_RSRC2:TGID_X_EN: 1
; COMPUTE_PGM_RSRC2:TGID_Y_EN: 0
; COMPUTE_PGM_RSRC2:TGID_Z_EN: 0
; COMPUTE_PGM_RSRC2:TIDIG_COMP_CNT: 0
	.section	.text._ZN9rocsparseL19gebsrmvn_2xn_kernelILj128ELj11ELj64E21rocsparse_complex_numIfEEEvi20rocsparse_direction_NS_24const_host_device_scalarIT2_EEPKiS8_PKS5_SA_S6_PS5_21rocsparse_index_base_b,"axG",@progbits,_ZN9rocsparseL19gebsrmvn_2xn_kernelILj128ELj11ELj64E21rocsparse_complex_numIfEEEvi20rocsparse_direction_NS_24const_host_device_scalarIT2_EEPKiS8_PKS5_SA_S6_PS5_21rocsparse_index_base_b,comdat
	.globl	_ZN9rocsparseL19gebsrmvn_2xn_kernelILj128ELj11ELj64E21rocsparse_complex_numIfEEEvi20rocsparse_direction_NS_24const_host_device_scalarIT2_EEPKiS8_PKS5_SA_S6_PS5_21rocsparse_index_base_b ; -- Begin function _ZN9rocsparseL19gebsrmvn_2xn_kernelILj128ELj11ELj64E21rocsparse_complex_numIfEEEvi20rocsparse_direction_NS_24const_host_device_scalarIT2_EEPKiS8_PKS5_SA_S6_PS5_21rocsparse_index_base_b
	.p2align	8
	.type	_ZN9rocsparseL19gebsrmvn_2xn_kernelILj128ELj11ELj64E21rocsparse_complex_numIfEEEvi20rocsparse_direction_NS_24const_host_device_scalarIT2_EEPKiS8_PKS5_SA_S6_PS5_21rocsparse_index_base_b,@function
_ZN9rocsparseL19gebsrmvn_2xn_kernelILj128ELj11ELj64E21rocsparse_complex_numIfEEEvi20rocsparse_direction_NS_24const_host_device_scalarIT2_EEPKiS8_PKS5_SA_S6_PS5_21rocsparse_index_base_b: ; @_ZN9rocsparseL19gebsrmvn_2xn_kernelILj128ELj11ELj64E21rocsparse_complex_numIfEEEvi20rocsparse_direction_NS_24const_host_device_scalarIT2_EEPKiS8_PKS5_SA_S6_PS5_21rocsparse_index_base_b
; %bb.0:
	s_clause 0x2
	s_load_b64 s[12:13], s[0:1], 0x40
	s_load_b64 s[4:5], s[0:1], 0x8
	;; [unrolled: 1-line block ×3, first 2 shown]
	s_waitcnt lgkmcnt(0)
	s_bitcmp1_b32 s13, 0
	v_mov_b32_e32 v9, s4
	s_cselect_b32 s6, -1, 0
	s_delay_alu instid0(SALU_CYCLE_1)
	s_and_b32 vcc_lo, exec_lo, s6
	s_xor_b32 s6, s6, -1
	s_cbranch_vccz .LBB201_17
; %bb.1:
	v_cndmask_b32_e64 v1, 0, 1, s6
	v_mov_b32_e32 v10, s5
	s_and_not1_b32 vcc_lo, exec_lo, s6
	s_cbranch_vccz .LBB201_18
.LBB201_2:
	s_delay_alu instid0(VALU_DEP_2)
	v_cmp_ne_u32_e32 vcc_lo, 1, v1
	v_mov_b32_e32 v11, s2
	s_cbranch_vccz .LBB201_19
.LBB201_3:
	v_cmp_ne_u32_e32 vcc_lo, 1, v1
	v_mov_b32_e32 v12, s3
	s_cbranch_vccnz .LBB201_5
.LBB201_4:
	v_dual_mov_b32 v1, s2 :: v_dual_mov_b32 v2, s3
	flat_load_b32 v12, v[1:2] offset:4
.LBB201_5:
	s_waitcnt vmcnt(0) lgkmcnt(0)
	v_cmp_eq_f32_e32 vcc_lo, 0, v9
	v_cmp_eq_f32_e64 s2, 0, v10
	s_delay_alu instid0(VALU_DEP_1)
	s_and_b32 s4, vcc_lo, s2
	s_mov_b32 s2, -1
	s_and_saveexec_b32 s3, s4
; %bb.6:
	v_cmp_neq_f32_e32 vcc_lo, 1.0, v11
	v_cmp_neq_f32_e64 s2, 0, v12
	s_delay_alu instid0(VALU_DEP_1) | instskip(NEXT) | instid1(SALU_CYCLE_1)
	s_or_b32 s2, vcc_lo, s2
	s_or_not1_b32 s2, s2, exec_lo
; %bb.7:
	s_or_b32 exec_lo, exec_lo, s3
	s_and_saveexec_b32 s3, s2
	s_cbranch_execz .LBB201_37
; %bb.8:
	s_load_b64 s[2:3], s[0:1], 0x0
	v_lshrrev_b32_e32 v1, 6, v0
	s_delay_alu instid0(VALU_DEP_1) | instskip(SKIP_1) | instid1(VALU_DEP_1)
	v_lshl_or_b32 v1, s15, 1, v1
	s_waitcnt lgkmcnt(0)
	v_cmp_gt_i32_e32 vcc_lo, s2, v1
	s_and_b32 exec_lo, exec_lo, vcc_lo
	s_cbranch_execz .LBB201_37
; %bb.9:
	s_load_b256 s[4:11], s[0:1], 0x10
	v_ashrrev_i32_e32 v2, 31, v1
	v_and_b32_e32 v0, 63, v0
	s_cmp_lg_u32 s3, 0
	s_delay_alu instid0(VALU_DEP_2) | instskip(SKIP_1) | instid1(VALU_DEP_1)
	v_lshlrev_b64 v[2:3], 2, v[1:2]
	s_waitcnt lgkmcnt(0)
	v_add_co_u32 v2, vcc_lo, s4, v2
	s_delay_alu instid0(VALU_DEP_2) | instskip(SKIP_4) | instid1(VALU_DEP_2)
	v_add_co_ci_u32_e32 v3, vcc_lo, s5, v3, vcc_lo
	global_load_b64 v[3:4], v[2:3], off
	s_waitcnt vmcnt(0)
	v_subrev_nc_u32_e32 v2, s12, v3
	v_subrev_nc_u32_e32 v13, s12, v4
	v_add_nc_u32_e32 v2, v2, v0
	s_delay_alu instid0(VALU_DEP_1)
	v_cmp_lt_i32_e64 s2, v2, v13
	s_cbranch_scc0 .LBB201_20
; %bb.10:
	v_dual_mov_b32 v8, 0 :: v_dual_mov_b32 v15, 0
	v_mov_b32_e32 v14, 0
	v_mov_b32_e32 v16, 0
	s_mov_b32 s3, 0
	s_and_saveexec_b32 s4, s2
	s_cbranch_execz .LBB201_22
; %bb.11:
	v_mul_lo_u32 v4, v3, 22
	v_mul_lo_u32 v17, v2, 22
	s_mul_i32 s5, s12, 22
	v_dual_mov_b32 v5, 0 :: v_dual_mov_b32 v6, v2
	v_dual_mov_b32 v8, 0 :: v_dual_mov_b32 v15, 0
	v_mov_b32_e32 v14, 0
	v_mad_u32_u24 v4, v0, 22, v4
	v_mov_b32_e32 v16, 0
	s_delay_alu instid0(VALU_DEP_2)
	v_subrev_nc_u32_e32 v18, s5, v4
	s_mov_b32 s5, 0
	s_branch .LBB201_13
.LBB201_12:                             ;   in Loop: Header=BB201_13 Depth=1
	v_add_nc_u32_e32 v6, 64, v6
	v_add_nc_u32_e32 v17, 0x580, v17
	v_add_nc_u32_e32 v18, 0x580, v18
	s_delay_alu instid0(VALU_DEP_3) | instskip(SKIP_1) | instid1(SALU_CYCLE_1)
	v_cmp_ge_i32_e32 vcc_lo, v6, v13
	s_or_b32 s5, vcc_lo, s5
	s_and_not1_b32 exec_lo, exec_lo, s5
	s_cbranch_execz .LBB201_21
.LBB201_13:                             ; =>This Loop Header: Depth=1
                                        ;     Child Loop BB201_15 Depth 2
	v_ashrrev_i32_e32 v7, 31, v6
	v_dual_mov_b32 v21, v14 :: v_dual_mov_b32 v22, v16
	s_mov_b32 s13, 0
	s_delay_alu instid0(VALU_DEP_2) | instskip(NEXT) | instid1(VALU_DEP_1)
	v_lshlrev_b64 v[19:20], 2, v[6:7]
	v_add_co_u32 v19, vcc_lo, s6, v19
	s_delay_alu instid0(VALU_DEP_2) | instskip(SKIP_4) | instid1(VALU_DEP_1)
	v_add_co_ci_u32_e32 v20, vcc_lo, s7, v20, vcc_lo
	global_load_b32 v4, v[19:20], off
	v_dual_mov_b32 v19, v8 :: v_dual_mov_b32 v20, v15
	s_waitcnt vmcnt(0)
	v_subrev_nc_u32_e32 v4, s12, v4
	v_mul_lo_u32 v7, v4, 11
	s_branch .LBB201_15
.LBB201_14:                             ;   in Loop: Header=BB201_13 Depth=1
                                        ; implicit-def: $vgpr20
                                        ; implicit-def: $vgpr22
                                        ; implicit-def: $vgpr21
                                        ; implicit-def: $vgpr19
                                        ; implicit-def: $sgpr13
                                        ; implicit-def: $vgpr7
	s_branch .LBB201_12
.LBB201_15:                             ;   Parent Loop BB201_13 Depth=1
                                        ; =>  This Inner Loop Header: Depth=2
	v_add_nc_u32_e32 v4, s13, v18
	v_dual_mov_b32 v8, v5 :: v_dual_add_nc_u32 v23, s13, v17
	s_cmp_eq_u32 s13, 16
	s_delay_alu instid0(VALU_DEP_2) | instskip(NEXT) | instid1(VALU_DEP_2)
	v_lshlrev_b64 v[14:15], 3, v[4:5]
	v_lshlrev_b64 v[24:25], 3, v[7:8]
	s_delay_alu instid0(VALU_DEP_2) | instskip(NEXT) | instid1(VALU_DEP_3)
	v_add_co_u32 v14, vcc_lo, s8, v14
	v_add_co_ci_u32_e32 v15, vcc_lo, s9, v15, vcc_lo
	s_delay_alu instid0(VALU_DEP_3) | instskip(NEXT) | instid1(VALU_DEP_4)
	v_add_co_u32 v28, vcc_lo, s10, v24
	v_add_co_ci_u32_e32 v29, vcc_lo, s11, v25, vcc_lo
	global_load_b128 v[24:27], v[14:15], off
	global_load_b64 v[14:15], v[28:29], off
	s_waitcnt vmcnt(0)
	v_dual_fmac_f32 v19, v25, v14 :: v_dual_add_nc_u32 v4, 2, v23
	s_delay_alu instid0(VALU_DEP_1) | instskip(SKIP_1) | instid1(VALU_DEP_3)
	v_lshlrev_b64 v[30:31], 3, v[4:5]
	v_dual_fmac_f32 v21, v24, v14 :: v_dual_add_nc_u32 v4, 1, v7
	v_fmac_f32_e32 v19, v24, v15
	s_delay_alu instid0(VALU_DEP_2) | instskip(NEXT) | instid1(VALU_DEP_4)
	v_lshlrev_b64 v[28:29], 3, v[4:5]
	v_add_co_u32 v30, vcc_lo, s8, v30
	v_add_co_ci_u32_e32 v31, vcc_lo, s9, v31, vcc_lo
	s_delay_alu instid0(VALU_DEP_3) | instskip(NEXT) | instid1(VALU_DEP_4)
	v_add_co_u32 v32, vcc_lo, s10, v28
	v_add_co_ci_u32_e32 v33, vcc_lo, s11, v29, vcc_lo
	global_load_b128 v[28:31], v[30:31], off
	global_load_b64 v[36:37], v[32:33], off
	s_waitcnt vmcnt(0)
	v_dual_fmac_f32 v19, v29, v36 :: v_dual_add_nc_u32 v4, 4, v23
	s_delay_alu instid0(VALU_DEP_1) | instskip(NEXT) | instid1(VALU_DEP_2)
	v_lshlrev_b64 v[34:35], 3, v[4:5]
	v_dual_fmac_f32 v19, v28, v37 :: v_dual_add_nc_u32 v4, 2, v7
	s_delay_alu instid0(VALU_DEP_1) | instskip(NEXT) | instid1(VALU_DEP_3)
	v_lshlrev_b64 v[32:33], 3, v[4:5]
	v_add_co_u32 v34, vcc_lo, s8, v34
	s_delay_alu instid0(VALU_DEP_4) | instskip(SKIP_1) | instid1(VALU_DEP_4)
	v_add_co_ci_u32_e32 v35, vcc_lo, s9, v35, vcc_lo
	v_fma_f32 v4, -v25, v15, v21
	v_add_co_u32 v38, vcc_lo, s10, v32
	v_add_co_ci_u32_e32 v39, vcc_lo, s11, v33, vcc_lo
	global_load_b128 v[32:35], v[34:35], off
	global_load_b64 v[38:39], v[38:39], off
	v_fmac_f32_e32 v20, v27, v14
	v_fmac_f32_e32 v4, v28, v36
	s_delay_alu instid0(VALU_DEP_2) | instskip(NEXT) | instid1(VALU_DEP_2)
	v_fmac_f32_e32 v20, v26, v15
	v_fma_f32 v4, -v29, v37, v4
	s_waitcnt vmcnt(0)
	s_delay_alu instid0(VALU_DEP_2) | instskip(NEXT) | instid1(VALU_DEP_2)
	v_dual_fmac_f32 v19, v33, v38 :: v_dual_fmac_f32 v20, v31, v36
	v_fmac_f32_e32 v4, v32, v38
	s_delay_alu instid0(VALU_DEP_2) | instskip(NEXT) | instid1(VALU_DEP_1)
	v_fmac_f32_e32 v20, v30, v37
	v_fmac_f32_e32 v20, v35, v38
	;; [unrolled: 1-line block ×3, first 2 shown]
	s_delay_alu instid0(VALU_DEP_4) | instskip(NEXT) | instid1(VALU_DEP_2)
	v_fma_f32 v14, -v33, v39, v4
	v_fma_f32 v8, -v27, v15, v22
	s_delay_alu instid0(VALU_DEP_1) | instskip(NEXT) | instid1(VALU_DEP_1)
	v_dual_mov_b32 v15, v20 :: v_dual_fmac_f32 v8, v30, v36
	v_fmac_f32_e32 v15, v34, v39
	s_delay_alu instid0(VALU_DEP_2) | instskip(SKIP_1) | instid1(VALU_DEP_2)
	v_fma_f32 v16, -v31, v37, v8
	v_mov_b32_e32 v8, v19
	v_fmac_f32_e32 v16, v34, v38
	s_delay_alu instid0(VALU_DEP_2) | instskip(NEXT) | instid1(VALU_DEP_2)
	v_fmac_f32_e32 v8, v32, v39
	v_fma_f32 v16, -v35, v39, v16
	s_cbranch_scc1 .LBB201_14
; %bb.16:                               ;   in Loop: Header=BB201_15 Depth=2
	v_add_nc_u32_e32 v4, 6, v23
	s_add_i32 s13, s13, 8
	s_delay_alu instid0(VALU_DEP_1) | instskip(SKIP_2) | instid1(VALU_DEP_2)
	v_lshlrev_b64 v[19:20], 3, v[4:5]
	v_add_nc_u32_e32 v4, 3, v7
	v_add_nc_u32_e32 v7, 4, v7
	v_lshlrev_b64 v[21:22], 3, v[4:5]
	s_delay_alu instid0(VALU_DEP_4) | instskip(SKIP_1) | instid1(VALU_DEP_3)
	v_add_co_u32 v19, vcc_lo, s8, v19
	v_add_co_ci_u32_e32 v20, vcc_lo, s9, v20, vcc_lo
	v_add_co_u32 v26, vcc_lo, s10, v21
	s_delay_alu instid0(VALU_DEP_4)
	v_add_co_ci_u32_e32 v27, vcc_lo, s11, v22, vcc_lo
	global_load_b128 v[22:25], v[19:20], off
	global_load_b64 v[26:27], v[26:27], off
	s_waitcnt vmcnt(0)
	v_fma_f32 v4, v22, v26, v14
	v_fma_f32 v19, v23, v26, v8
	;; [unrolled: 1-line block ×4, first 2 shown]
	s_delay_alu instid0(VALU_DEP_4) | instskip(NEXT) | instid1(VALU_DEP_4)
	v_fma_f32 v21, -v23, v27, v4
	v_fmac_f32_e32 v19, v22, v27
	s_delay_alu instid0(VALU_DEP_4) | instskip(NEXT) | instid1(VALU_DEP_4)
	v_fma_f32 v22, -v25, v27, v28
	v_fmac_f32_e32 v20, v24, v27
	s_cbranch_execnz .LBB201_15
	s_branch .LBB201_12
.LBB201_17:
	v_dual_mov_b32 v1, s4 :: v_dual_mov_b32 v2, s5
	flat_load_b32 v9, v[1:2]
	v_cndmask_b32_e64 v1, 0, 1, s6
	v_mov_b32_e32 v10, s5
	s_and_not1_b32 vcc_lo, exec_lo, s6
	s_cbranch_vccnz .LBB201_2
.LBB201_18:
	v_dual_mov_b32 v2, s4 :: v_dual_mov_b32 v3, s5
	flat_load_b32 v10, v[2:3] offset:4
	v_cmp_ne_u32_e32 vcc_lo, 1, v1
	v_mov_b32_e32 v11, s2
	s_cbranch_vccnz .LBB201_3
.LBB201_19:
	v_dual_mov_b32 v2, s2 :: v_dual_mov_b32 v3, s3
	flat_load_b32 v11, v[2:3]
	v_cmp_ne_u32_e32 vcc_lo, 1, v1
	v_mov_b32_e32 v12, s3
	s_cbranch_vccz .LBB201_4
	s_branch .LBB201_5
.LBB201_20:
                                        ; implicit-def: $vgpr8
                                        ; implicit-def: $vgpr14
                                        ; implicit-def: $vgpr16
                                        ; implicit-def: $vgpr15
	s_branch .LBB201_23
.LBB201_21:
	s_or_b32 exec_lo, exec_lo, s5
.LBB201_22:
	s_delay_alu instid0(SALU_CYCLE_1) | instskip(NEXT) | instid1(SALU_CYCLE_1)
	s_or_b32 exec_lo, exec_lo, s4
	s_and_not1_b32 vcc_lo, exec_lo, s3
	s_cbranch_vccnz .LBB201_32
.LBB201_23:
	v_dual_mov_b32 v8, 0 :: v_dual_mov_b32 v15, 0
	v_mov_b32_e32 v14, 0
	v_mov_b32_e32 v16, 0
	s_and_saveexec_b32 s3, s2
	s_cbranch_execz .LBB201_31
; %bb.24:
	v_mul_lo_u32 v3, v3, 22
	v_mul_lo_u32 v5, v2, 22
	s_mul_i32 s2, s12, 22
	v_dual_mov_b32 v4, 0 :: v_dual_mov_b32 v15, 0
	v_mov_b32_e32 v8, 0
	v_mov_b32_e32 v14, 0
	;; [unrolled: 1-line block ×3, first 2 shown]
	v_mad_u32_u24 v3, v0, 22, v3
	s_delay_alu instid0(VALU_DEP_1)
	v_subrev_nc_u32_e32 v6, s2, v3
	s_mov_b32 s2, 0
	s_branch .LBB201_26
.LBB201_25:                             ;   in Loop: Header=BB201_26 Depth=1
	v_add_nc_u32_e32 v2, 64, v2
	v_add_nc_u32_e32 v5, 0x580, v5
	;; [unrolled: 1-line block ×3, first 2 shown]
	s_delay_alu instid0(VALU_DEP_3) | instskip(SKIP_1) | instid1(SALU_CYCLE_1)
	v_cmp_ge_i32_e32 vcc_lo, v2, v13
	s_or_b32 s2, vcc_lo, s2
	s_and_not1_b32 exec_lo, exec_lo, s2
	s_cbranch_execz .LBB201_30
.LBB201_26:                             ; =>This Loop Header: Depth=1
                                        ;     Child Loop BB201_28 Depth 2
	v_ashrrev_i32_e32 v3, 31, v2
	v_dual_mov_b32 v19, v14 :: v_dual_mov_b32 v20, v16
	s_mov_b32 s4, 0
	s_delay_alu instid0(VALU_DEP_2) | instskip(NEXT) | instid1(VALU_DEP_1)
	v_lshlrev_b64 v[17:18], 2, v[2:3]
	v_add_co_u32 v17, vcc_lo, s6, v17
	s_delay_alu instid0(VALU_DEP_2) | instskip(SKIP_4) | instid1(VALU_DEP_1)
	v_add_co_ci_u32_e32 v18, vcc_lo, s7, v18, vcc_lo
	global_load_b32 v3, v[17:18], off
	v_dual_mov_b32 v17, v8 :: v_dual_mov_b32 v18, v15
	s_waitcnt vmcnt(0)
	v_subrev_nc_u32_e32 v3, s12, v3
	v_mul_lo_u32 v7, v3, 11
	s_branch .LBB201_28
.LBB201_27:                             ;   in Loop: Header=BB201_26 Depth=1
                                        ; implicit-def: $vgpr18
                                        ; implicit-def: $vgpr20
                                        ; implicit-def: $vgpr19
                                        ; implicit-def: $vgpr17
                                        ; implicit-def: $sgpr4
	s_branch .LBB201_25
.LBB201_28:                             ;   Parent Loop BB201_26 Depth=1
                                        ; =>  This Inner Loop Header: Depth=2
	v_add_nc_u32_e32 v3, s4, v6
	v_add_nc_u32_e32 v21, s4, v5
	v_mov_b32_e32 v15, v4
	s_cmp_eq_u32 s4, 8
	v_mov_b32_e32 v31, v4
	v_lshlrev_b64 v[22:23], 3, v[3:4]
	v_add_nc_u32_e32 v14, 11, v21
	v_add_nc_u32_e32 v3, s4, v7
	v_mov_b32_e32 v27, v4
	v_mov_b32_e32 v35, v4
	s_delay_alu instid0(VALU_DEP_4) | instskip(NEXT) | instid1(VALU_DEP_4)
	v_lshlrev_b64 v[14:15], 3, v[14:15]
	v_lshlrev_b64 v[24:25], 3, v[3:4]
	v_add_co_u32 v22, vcc_lo, s8, v22
	v_add_co_ci_u32_e32 v23, vcc_lo, s9, v23, vcc_lo
	s_delay_alu instid0(VALU_DEP_3) | instskip(NEXT) | instid1(VALU_DEP_4)
	v_add_co_u32 v28, vcc_lo, s10, v24
	v_add_co_ci_u32_e32 v29, vcc_lo, s11, v25, vcc_lo
	v_add_co_u32 v14, vcc_lo, s8, v14
	v_add_co_ci_u32_e32 v15, vcc_lo, s9, v15, vcc_lo
	global_load_b128 v[22:25], v[22:23], off
	global_load_b64 v[32:33], v[28:29], off
	global_load_b64 v[14:15], v[14:15], off
	s_waitcnt vmcnt(1)
	v_fmac_f32_e32 v17, v23, v32
	s_waitcnt vmcnt(0)
	v_fmac_f32_e32 v18, v15, v32
	v_fmac_f32_e32 v20, v14, v32
	v_add_nc_u32_e32 v30, 12, v21
	s_delay_alu instid0(VALU_DEP_3) | instskip(SKIP_1) | instid1(VALU_DEP_3)
	v_fmac_f32_e32 v18, v14, v33
	v_add_nc_u32_e32 v26, 1, v3
	v_lshlrev_b64 v[28:29], 3, v[30:31]
	v_add_nc_u32_e32 v30, 2, v21
	v_add_nc_u32_e32 v34, 2, v3
	v_fma_f32 v14, -v15, v33, v20
	v_lshlrev_b64 v[26:27], 3, v[26:27]
	s_delay_alu instid0(VALU_DEP_4) | instskip(NEXT) | instid1(VALU_DEP_4)
	v_lshlrev_b64 v[30:31], 3, v[30:31]
	v_lshlrev_b64 v[34:35], 3, v[34:35]
	s_delay_alu instid0(VALU_DEP_3) | instskip(NEXT) | instid1(VALU_DEP_4)
	v_add_co_u32 v26, vcc_lo, s10, v26
	v_add_co_ci_u32_e32 v27, vcc_lo, s11, v27, vcc_lo
	v_add_co_u32 v28, vcc_lo, s8, v28
	v_add_co_ci_u32_e32 v29, vcc_lo, s9, v29, vcc_lo
	global_load_b64 v[36:37], v[26:27], off
	global_load_b128 v[26:29], v[28:29], off
	v_add_co_u32 v30, vcc_lo, s8, v30
	v_add_co_ci_u32_e32 v31, vcc_lo, s9, v31, vcc_lo
	v_add_co_u32 v34, vcc_lo, s10, v34
	v_add_co_ci_u32_e32 v35, vcc_lo, s11, v35, vcc_lo
	global_load_b64 v[30:31], v[30:31], off
	global_load_b64 v[34:35], v[34:35], off
	s_waitcnt vmcnt(2)
	v_dual_fmac_f32 v17, v22, v33 :: v_dual_fmac_f32 v18, v27, v36
	s_delay_alu instid0(VALU_DEP_1) | instskip(SKIP_1) | instid1(VALU_DEP_2)
	v_dual_fmac_f32 v17, v25, v36 :: v_dual_fmac_f32 v18, v26, v37
	v_fmac_f32_e32 v19, v22, v32
	v_dual_fmac_f32 v14, v26, v36 :: v_dual_fmac_f32 v17, v24, v37
	s_waitcnt vmcnt(0)
	s_delay_alu instid0(VALU_DEP_3) | instskip(NEXT) | instid1(VALU_DEP_3)
	v_fmac_f32_e32 v18, v29, v34
	v_fma_f32 v8, -v23, v33, v19
	s_delay_alu instid0(VALU_DEP_3) | instskip(SKIP_1) | instid1(VALU_DEP_3)
	v_fma_f32 v19, -v27, v37, v14
	v_fmac_f32_e32 v17, v31, v34
	v_dual_mov_b32 v15, v18 :: v_dual_fmac_f32 v8, v24, v36
	s_delay_alu instid0(VALU_DEP_3) | instskip(NEXT) | instid1(VALU_DEP_2)
	v_fmac_f32_e32 v19, v28, v34
	v_fmac_f32_e32 v15, v28, v35
	s_delay_alu instid0(VALU_DEP_3) | instskip(SKIP_1) | instid1(VALU_DEP_2)
	v_fma_f32 v16, -v25, v37, v8
	v_mov_b32_e32 v8, v17
	v_fmac_f32_e32 v16, v30, v34
	s_delay_alu instid0(VALU_DEP_2) | instskip(NEXT) | instid1(VALU_DEP_2)
	v_fmac_f32_e32 v8, v30, v35
	v_fma_f32 v14, -v31, v35, v16
	v_fma_f32 v16, -v29, v35, v19
	s_cbranch_scc1 .LBB201_27
; %bb.29:                               ;   in Loop: Header=BB201_28 Depth=2
	v_dual_mov_b32 v18, v4 :: v_dual_add_nc_u32 v3, 3, v3
	v_add_nc_u32_e32 v17, 3, v21
	s_add_i32 s4, s4, 4
	s_delay_alu instid0(VALU_DEP_2) | instskip(SKIP_1) | instid1(VALU_DEP_3)
	v_lshlrev_b64 v[19:20], 3, v[3:4]
	v_add_nc_u32_e32 v3, 14, v21
	v_lshlrev_b64 v[17:18], 3, v[17:18]
	s_delay_alu instid0(VALU_DEP_2) | instskip(NEXT) | instid1(VALU_DEP_2)
	v_lshlrev_b64 v[21:22], 3, v[3:4]
	v_add_co_u32 v17, vcc_lo, s8, v17
	s_delay_alu instid0(VALU_DEP_3)
	v_add_co_ci_u32_e32 v18, vcc_lo, s9, v18, vcc_lo
	v_add_co_u32 v19, vcc_lo, s10, v19
	v_add_co_ci_u32_e32 v20, vcc_lo, s11, v20, vcc_lo
	v_add_co_u32 v21, vcc_lo, s8, v21
	v_add_co_ci_u32_e32 v22, vcc_lo, s9, v22, vcc_lo
	global_load_b64 v[23:24], v[17:18], off
	global_load_b64 v[25:26], v[19:20], off
	;; [unrolled: 1-line block ×3, first 2 shown]
	s_waitcnt vmcnt(1)
	v_fma_f32 v3, v23, v25, v14
	v_fma_f32 v17, v24, v25, v8
	s_waitcnt vmcnt(0)
	v_fma_f32 v20, v21, v25, v16
	v_fma_f32 v18, v22, v25, v15
	v_fma_f32 v19, -v24, v26, v3
	v_fmac_f32_e32 v17, v23, v26
	s_delay_alu instid0(VALU_DEP_4) | instskip(NEXT) | instid1(VALU_DEP_4)
	v_fma_f32 v20, -v22, v26, v20
	v_fmac_f32_e32 v18, v21, v26
	s_cbranch_execnz .LBB201_28
	s_branch .LBB201_25
.LBB201_30:
	s_or_b32 exec_lo, exec_lo, s2
.LBB201_31:
	s_delay_alu instid0(SALU_CYCLE_1)
	s_or_b32 exec_lo, exec_lo, s3
.LBB201_32:
	v_mbcnt_lo_u32_b32 v2, -1, 0
	s_delay_alu instid0(VALU_DEP_1) | instskip(SKIP_1) | instid1(VALU_DEP_2)
	v_or_b32_e32 v3, 32, v2
	v_xor_b32_e32 v7, 16, v2
	v_cmp_gt_i32_e32 vcc_lo, 32, v3
	v_cndmask_b32_e32 v3, v2, v3, vcc_lo
	s_delay_alu instid0(VALU_DEP_3) | instskip(NEXT) | instid1(VALU_DEP_2)
	v_cmp_gt_i32_e32 vcc_lo, 32, v7
	v_lshlrev_b32_e32 v3, 2, v3
	ds_bpermute_b32 v4, v3, v14
	s_waitcnt lgkmcnt(0)
	v_add_f32_e32 v4, v14, v4
	ds_bpermute_b32 v6, v3, v16
	v_cndmask_b32_e32 v7, v2, v7, vcc_lo
	ds_bpermute_b32 v5, v3, v8
	ds_bpermute_b32 v3, v3, v15
	s_waitcnt lgkmcnt(2)
	v_dual_add_f32 v6, v16, v6 :: v_dual_lshlrev_b32 v7, 2, v7
	s_waitcnt lgkmcnt(1)
	v_add_f32_e32 v5, v8, v5
	ds_bpermute_b32 v14, v7, v6
	s_waitcnt lgkmcnt(0)
	v_dual_add_f32 v6, v6, v14 :: v_dual_add_f32 v3, v15, v3
	ds_bpermute_b32 v8, v7, v4
	ds_bpermute_b32 v13, v7, v5
	v_xor_b32_e32 v15, 8, v2
	s_delay_alu instid0(VALU_DEP_1) | instskip(SKIP_2) | instid1(VALU_DEP_1)
	v_cmp_gt_i32_e32 vcc_lo, 32, v15
	v_cndmask_b32_e32 v15, v2, v15, vcc_lo
	s_waitcnt lgkmcnt(1)
	v_dual_add_f32 v4, v4, v8 :: v_dual_lshlrev_b32 v15, 2, v15
	s_waitcnt lgkmcnt(0)
	v_add_f32_e32 v5, v5, v13
	ds_bpermute_b32 v13, v15, v6
	s_waitcnt lgkmcnt(0)
	v_add_f32_e32 v6, v6, v13
	ds_bpermute_b32 v7, v7, v3
	;; [unrolled: 3-line block ×3, first 2 shown]
	ds_bpermute_b32 v14, v15, v3
	s_waitcnt lgkmcnt(1)
	v_add_f32_e32 v4, v4, v7
	ds_bpermute_b32 v8, v15, v5
	v_xor_b32_e32 v15, 4, v2
	s_delay_alu instid0(VALU_DEP_1) | instskip(SKIP_1) | instid1(VALU_DEP_1)
	v_cmp_gt_i32_e32 vcc_lo, 32, v15
	v_cndmask_b32_e32 v15, v2, v15, vcc_lo
	v_lshlrev_b32_e32 v15, 2, v15
	ds_bpermute_b32 v7, v15, v4
	s_waitcnt lgkmcnt(1)
	v_add_f32_e32 v5, v5, v8
	ds_bpermute_b32 v13, v15, v6
	s_waitcnt lgkmcnt(1)
	v_dual_add_f32 v4, v4, v7 :: v_dual_add_f32 v3, v3, v14
	ds_bpermute_b32 v8, v15, v5
	s_waitcnt lgkmcnt(1)
	v_add_f32_e32 v6, v6, v13
	ds_bpermute_b32 v14, v15, v3
	v_xor_b32_e32 v15, 2, v2
	s_delay_alu instid0(VALU_DEP_1) | instskip(SKIP_1) | instid1(VALU_DEP_1)
	v_cmp_gt_i32_e32 vcc_lo, 32, v15
	v_cndmask_b32_e32 v15, v2, v15, vcc_lo
	v_lshlrev_b32_e32 v15, 2, v15
	s_waitcnt lgkmcnt(1)
	v_add_f32_e32 v5, v5, v8
	ds_bpermute_b32 v7, v15, v4
	ds_bpermute_b32 v8, v15, v5
	;; [unrolled: 1-line block ×3, first 2 shown]
	s_waitcnt lgkmcnt(2)
	v_dual_add_f32 v4, v4, v7 :: v_dual_add_f32 v3, v3, v14
	s_waitcnt lgkmcnt(1)
	v_add_f32_e32 v5, v5, v8
	ds_bpermute_b32 v14, v15, v3
	v_xor_b32_e32 v15, 1, v2
	s_delay_alu instid0(VALU_DEP_1) | instskip(SKIP_3) | instid1(VALU_DEP_2)
	v_cmp_gt_i32_e32 vcc_lo, 32, v15
	v_cndmask_b32_e32 v2, v2, v15, vcc_lo
	v_cmp_eq_u32_e32 vcc_lo, 63, v0
	s_waitcnt lgkmcnt(1)
	v_dual_add_f32 v2, v6, v13 :: v_dual_lshlrev_b32 v15, 2, v2
	s_waitcnt lgkmcnt(0)
	v_add_f32_e32 v3, v3, v14
	ds_bpermute_b32 v8, v15, v4
	ds_bpermute_b32 v13, v15, v5
	;; [unrolled: 1-line block ×4, first 2 shown]
	s_and_b32 exec_lo, exec_lo, vcc_lo
	s_cbranch_execz .LBB201_37
; %bb.33:
	s_load_b64 s[2:3], s[0:1], 0x38
	v_cmp_eq_f32_e32 vcc_lo, 0, v11
	v_cmp_eq_f32_e64 s0, 0, v12
	s_waitcnt lgkmcnt(0)
	v_dual_add_f32 v0, v4, v8 :: v_dual_add_f32 v3, v3, v7
	v_add_f32_e32 v4, v5, v13
	v_add_f32_e32 v2, v2, v6
	s_and_b32 s0, vcc_lo, s0
	s_delay_alu instid0(SALU_CYCLE_1) | instskip(NEXT) | instid1(SALU_CYCLE_1)
	s_and_saveexec_b32 s1, s0
	s_xor_b32 s0, exec_lo, s1
	s_cbranch_execz .LBB201_35
; %bb.34:
	v_mul_f32_e64 v5, v4, -v10
	v_mul_f32_e32 v6, v4, v9
	v_mul_f32_e64 v7, v3, -v10
	v_mul_f32_e32 v8, v3, v9
                                        ; implicit-def: $vgpr4
                                        ; implicit-def: $vgpr3
	s_delay_alu instid0(VALU_DEP_4) | instskip(NEXT) | instid1(VALU_DEP_4)
	v_fmac_f32_e32 v5, v9, v0
	v_dual_fmac_f32 v6, v10, v0 :: v_dual_lshlrev_b32 v11, 1, v1
	s_delay_alu instid0(VALU_DEP_4) | instskip(NEXT) | instid1(VALU_DEP_4)
	v_fmac_f32_e32 v7, v9, v2
	v_fmac_f32_e32 v8, v10, v2
                                        ; implicit-def: $vgpr9
                                        ; implicit-def: $vgpr10
                                        ; implicit-def: $vgpr2
	s_delay_alu instid0(VALU_DEP_3) | instskip(NEXT) | instid1(VALU_DEP_1)
	v_ashrrev_i32_e32 v12, 31, v11
	v_lshlrev_b64 v[11:12], 3, v[11:12]
	s_delay_alu instid0(VALU_DEP_1) | instskip(NEXT) | instid1(VALU_DEP_2)
	v_add_co_u32 v0, vcc_lo, s2, v11
	v_add_co_ci_u32_e32 v1, vcc_lo, s3, v12, vcc_lo
                                        ; implicit-def: $vgpr11
                                        ; implicit-def: $vgpr12
	global_store_b128 v[0:1], v[5:8], off
                                        ; implicit-def: $vgpr1
                                        ; implicit-def: $vgpr0
.LBB201_35:
	s_and_not1_saveexec_b32 s0, s0
	s_cbranch_execz .LBB201_37
; %bb.36:
	v_lshlrev_b32_e32 v5, 1, v1
	v_mul_f32_e64 v15, v4, -v10
	v_mul_f32_e32 v1, v4, v9
	v_mul_f32_e64 v4, v3, -v10
	v_mul_f32_e32 v3, v3, v9
	s_delay_alu instid0(VALU_DEP_4) | instskip(NEXT) | instid1(VALU_DEP_3)
	v_fmac_f32_e32 v15, v9, v0
	v_fmac_f32_e32 v4, v9, v2
	v_ashrrev_i32_e32 v6, 31, v5
	s_delay_alu instid0(VALU_DEP_4) | instskip(NEXT) | instid1(VALU_DEP_2)
	v_fmac_f32_e32 v3, v10, v2
	v_lshlrev_b64 v[5:6], 3, v[5:6]
	s_delay_alu instid0(VALU_DEP_1) | instskip(NEXT) | instid1(VALU_DEP_2)
	v_add_co_u32 v13, vcc_lo, s2, v5
	v_add_co_ci_u32_e32 v14, vcc_lo, s3, v6, vcc_lo
	global_load_b128 v[5:8], v[13:14], off
	s_waitcnt vmcnt(0)
	v_dual_fmac_f32 v4, v11, v7 :: v_dual_fmac_f32 v1, v10, v0
	v_fmac_f32_e32 v15, v11, v5
	v_fmac_f32_e32 v3, v12, v7
	s_delay_alu instid0(VALU_DEP_3) | instskip(NEXT) | instid1(VALU_DEP_4)
	v_fma_f32 v2, -v12, v8, v4
	v_fmac_f32_e32 v1, v12, v5
	s_delay_alu instid0(VALU_DEP_4) | instskip(NEXT) | instid1(VALU_DEP_4)
	v_fma_f32 v0, -v12, v6, v15
	v_fmac_f32_e32 v3, v11, v8
	s_delay_alu instid0(VALU_DEP_3)
	v_fmac_f32_e32 v1, v11, v6
	global_store_b128 v[13:14], v[0:3], off
.LBB201_37:
	s_nop 0
	s_sendmsg sendmsg(MSG_DEALLOC_VGPRS)
	s_endpgm
	.section	.rodata,"a",@progbits
	.p2align	6, 0x0
	.amdhsa_kernel _ZN9rocsparseL19gebsrmvn_2xn_kernelILj128ELj11ELj64E21rocsparse_complex_numIfEEEvi20rocsparse_direction_NS_24const_host_device_scalarIT2_EEPKiS8_PKS5_SA_S6_PS5_21rocsparse_index_base_b
		.amdhsa_group_segment_fixed_size 0
		.amdhsa_private_segment_fixed_size 0
		.amdhsa_kernarg_size 72
		.amdhsa_user_sgpr_count 15
		.amdhsa_user_sgpr_dispatch_ptr 0
		.amdhsa_user_sgpr_queue_ptr 0
		.amdhsa_user_sgpr_kernarg_segment_ptr 1
		.amdhsa_user_sgpr_dispatch_id 0
		.amdhsa_user_sgpr_private_segment_size 0
		.amdhsa_wavefront_size32 1
		.amdhsa_uses_dynamic_stack 0
		.amdhsa_enable_private_segment 0
		.amdhsa_system_sgpr_workgroup_id_x 1
		.amdhsa_system_sgpr_workgroup_id_y 0
		.amdhsa_system_sgpr_workgroup_id_z 0
		.amdhsa_system_sgpr_workgroup_info 0
		.amdhsa_system_vgpr_workitem_id 0
		.amdhsa_next_free_vgpr 40
		.amdhsa_next_free_sgpr 16
		.amdhsa_reserve_vcc 1
		.amdhsa_float_round_mode_32 0
		.amdhsa_float_round_mode_16_64 0
		.amdhsa_float_denorm_mode_32 3
		.amdhsa_float_denorm_mode_16_64 3
		.amdhsa_dx10_clamp 1
		.amdhsa_ieee_mode 1
		.amdhsa_fp16_overflow 0
		.amdhsa_workgroup_processor_mode 1
		.amdhsa_memory_ordered 1
		.amdhsa_forward_progress 0
		.amdhsa_shared_vgpr_count 0
		.amdhsa_exception_fp_ieee_invalid_op 0
		.amdhsa_exception_fp_denorm_src 0
		.amdhsa_exception_fp_ieee_div_zero 0
		.amdhsa_exception_fp_ieee_overflow 0
		.amdhsa_exception_fp_ieee_underflow 0
		.amdhsa_exception_fp_ieee_inexact 0
		.amdhsa_exception_int_div_zero 0
	.end_amdhsa_kernel
	.section	.text._ZN9rocsparseL19gebsrmvn_2xn_kernelILj128ELj11ELj64E21rocsparse_complex_numIfEEEvi20rocsparse_direction_NS_24const_host_device_scalarIT2_EEPKiS8_PKS5_SA_S6_PS5_21rocsparse_index_base_b,"axG",@progbits,_ZN9rocsparseL19gebsrmvn_2xn_kernelILj128ELj11ELj64E21rocsparse_complex_numIfEEEvi20rocsparse_direction_NS_24const_host_device_scalarIT2_EEPKiS8_PKS5_SA_S6_PS5_21rocsparse_index_base_b,comdat
.Lfunc_end201:
	.size	_ZN9rocsparseL19gebsrmvn_2xn_kernelILj128ELj11ELj64E21rocsparse_complex_numIfEEEvi20rocsparse_direction_NS_24const_host_device_scalarIT2_EEPKiS8_PKS5_SA_S6_PS5_21rocsparse_index_base_b, .Lfunc_end201-_ZN9rocsparseL19gebsrmvn_2xn_kernelILj128ELj11ELj64E21rocsparse_complex_numIfEEEvi20rocsparse_direction_NS_24const_host_device_scalarIT2_EEPKiS8_PKS5_SA_S6_PS5_21rocsparse_index_base_b
                                        ; -- End function
	.section	.AMDGPU.csdata,"",@progbits
; Kernel info:
; codeLenInByte = 2892
; NumSgprs: 18
; NumVgprs: 40
; ScratchSize: 0
; MemoryBound: 0
; FloatMode: 240
; IeeeMode: 1
; LDSByteSize: 0 bytes/workgroup (compile time only)
; SGPRBlocks: 2
; VGPRBlocks: 4
; NumSGPRsForWavesPerEU: 18
; NumVGPRsForWavesPerEU: 40
; Occupancy: 16
; WaveLimiterHint : 1
; COMPUTE_PGM_RSRC2:SCRATCH_EN: 0
; COMPUTE_PGM_RSRC2:USER_SGPR: 15
; COMPUTE_PGM_RSRC2:TRAP_HANDLER: 0
; COMPUTE_PGM_RSRC2:TGID_X_EN: 1
; COMPUTE_PGM_RSRC2:TGID_Y_EN: 0
; COMPUTE_PGM_RSRC2:TGID_Z_EN: 0
; COMPUTE_PGM_RSRC2:TIDIG_COMP_CNT: 0
	.section	.text._ZN9rocsparseL19gebsrmvn_2xn_kernelILj128ELj12ELj4E21rocsparse_complex_numIfEEEvi20rocsparse_direction_NS_24const_host_device_scalarIT2_EEPKiS8_PKS5_SA_S6_PS5_21rocsparse_index_base_b,"axG",@progbits,_ZN9rocsparseL19gebsrmvn_2xn_kernelILj128ELj12ELj4E21rocsparse_complex_numIfEEEvi20rocsparse_direction_NS_24const_host_device_scalarIT2_EEPKiS8_PKS5_SA_S6_PS5_21rocsparse_index_base_b,comdat
	.globl	_ZN9rocsparseL19gebsrmvn_2xn_kernelILj128ELj12ELj4E21rocsparse_complex_numIfEEEvi20rocsparse_direction_NS_24const_host_device_scalarIT2_EEPKiS8_PKS5_SA_S6_PS5_21rocsparse_index_base_b ; -- Begin function _ZN9rocsparseL19gebsrmvn_2xn_kernelILj128ELj12ELj4E21rocsparse_complex_numIfEEEvi20rocsparse_direction_NS_24const_host_device_scalarIT2_EEPKiS8_PKS5_SA_S6_PS5_21rocsparse_index_base_b
	.p2align	8
	.type	_ZN9rocsparseL19gebsrmvn_2xn_kernelILj128ELj12ELj4E21rocsparse_complex_numIfEEEvi20rocsparse_direction_NS_24const_host_device_scalarIT2_EEPKiS8_PKS5_SA_S6_PS5_21rocsparse_index_base_b,@function
_ZN9rocsparseL19gebsrmvn_2xn_kernelILj128ELj12ELj4E21rocsparse_complex_numIfEEEvi20rocsparse_direction_NS_24const_host_device_scalarIT2_EEPKiS8_PKS5_SA_S6_PS5_21rocsparse_index_base_b: ; @_ZN9rocsparseL19gebsrmvn_2xn_kernelILj128ELj12ELj4E21rocsparse_complex_numIfEEEvi20rocsparse_direction_NS_24const_host_device_scalarIT2_EEPKiS8_PKS5_SA_S6_PS5_21rocsparse_index_base_b
; %bb.0:
	s_clause 0x2
	s_load_b64 s[12:13], s[0:1], 0x40
	s_load_b64 s[4:5], s[0:1], 0x8
	;; [unrolled: 1-line block ×3, first 2 shown]
	s_waitcnt lgkmcnt(0)
	s_bitcmp1_b32 s13, 0
	v_mov_b32_e32 v9, s4
	s_cselect_b32 s6, -1, 0
	s_delay_alu instid0(SALU_CYCLE_1)
	s_and_b32 vcc_lo, exec_lo, s6
	s_xor_b32 s6, s6, -1
	s_cbranch_vccz .LBB202_17
; %bb.1:
	v_cndmask_b32_e64 v1, 0, 1, s6
	v_mov_b32_e32 v10, s5
	s_and_not1_b32 vcc_lo, exec_lo, s6
	s_cbranch_vccz .LBB202_18
.LBB202_2:
	s_delay_alu instid0(VALU_DEP_2)
	v_cmp_ne_u32_e32 vcc_lo, 1, v1
	v_mov_b32_e32 v11, s2
	s_cbranch_vccz .LBB202_19
.LBB202_3:
	v_cmp_ne_u32_e32 vcc_lo, 1, v1
	v_mov_b32_e32 v12, s3
	s_cbranch_vccnz .LBB202_5
.LBB202_4:
	v_dual_mov_b32 v1, s2 :: v_dual_mov_b32 v2, s3
	flat_load_b32 v12, v[1:2] offset:4
.LBB202_5:
	s_waitcnt vmcnt(0) lgkmcnt(0)
	v_cmp_eq_f32_e32 vcc_lo, 0, v9
	v_cmp_eq_f32_e64 s2, 0, v10
	s_delay_alu instid0(VALU_DEP_1)
	s_and_b32 s4, vcc_lo, s2
	s_mov_b32 s2, -1
	s_and_saveexec_b32 s3, s4
; %bb.6:
	v_cmp_neq_f32_e32 vcc_lo, 1.0, v11
	v_cmp_neq_f32_e64 s2, 0, v12
	s_delay_alu instid0(VALU_DEP_1) | instskip(NEXT) | instid1(SALU_CYCLE_1)
	s_or_b32 s2, vcc_lo, s2
	s_or_not1_b32 s2, s2, exec_lo
; %bb.7:
	s_or_b32 exec_lo, exec_lo, s3
	s_and_saveexec_b32 s3, s2
	s_cbranch_execz .LBB202_33
; %bb.8:
	s_load_b64 s[2:3], s[0:1], 0x0
	v_lshrrev_b32_e32 v1, 2, v0
	s_delay_alu instid0(VALU_DEP_1) | instskip(SKIP_1) | instid1(VALU_DEP_1)
	v_lshl_or_b32 v1, s15, 5, v1
	s_waitcnt lgkmcnt(0)
	v_cmp_gt_i32_e32 vcc_lo, s2, v1
	s_and_b32 exec_lo, exec_lo, vcc_lo
	s_cbranch_execz .LBB202_33
; %bb.9:
	s_load_b256 s[4:11], s[0:1], 0x10
	v_ashrrev_i32_e32 v2, 31, v1
	v_and_b32_e32 v0, 3, v0
	s_cmp_lg_u32 s3, 0
	s_delay_alu instid0(VALU_DEP_2) | instskip(SKIP_1) | instid1(VALU_DEP_1)
	v_lshlrev_b64 v[2:3], 2, v[1:2]
	s_waitcnt lgkmcnt(0)
	v_add_co_u32 v2, vcc_lo, s4, v2
	s_delay_alu instid0(VALU_DEP_2) | instskip(SKIP_4) | instid1(VALU_DEP_2)
	v_add_co_ci_u32_e32 v3, vcc_lo, s5, v3, vcc_lo
	global_load_b64 v[3:4], v[2:3], off
	s_waitcnt vmcnt(0)
	v_subrev_nc_u32_e32 v2, s12, v3
	v_subrev_nc_u32_e32 v14, s12, v4
	v_add_nc_u32_e32 v2, v2, v0
	s_delay_alu instid0(VALU_DEP_1)
	v_cmp_lt_i32_e64 s2, v2, v14
	s_cbranch_scc0 .LBB202_20
; %bb.10:
	v_dual_mov_b32 v13, 0 :: v_dual_mov_b32 v16, 0
	v_mov_b32_e32 v17, 0
	v_mov_b32_e32 v15, 0
	s_mov_b32 s3, 0
	s_and_saveexec_b32 s4, s2
	s_cbranch_execz .LBB202_16
; %bb.11:
	v_mul_lo_u32 v4, v3, 24
	v_mul_lo_u32 v18, v2, 24
	s_mul_i32 s5, s12, 24
	v_dual_mov_b32 v5, 0 :: v_dual_mov_b32 v6, v2
	v_dual_mov_b32 v13, 0 :: v_dual_mov_b32 v16, 0
	v_mov_b32_e32 v17, 0
	v_mad_u32_u24 v4, v0, 24, v4
	v_mov_b32_e32 v15, 0
	s_delay_alu instid0(VALU_DEP_2)
	v_subrev_nc_u32_e32 v19, s5, v4
	s_mov_b32 s5, 0
.LBB202_12:                             ; =>This Loop Header: Depth=1
                                        ;     Child Loop BB202_13 Depth 2
	v_ashrrev_i32_e32 v7, 31, v6
	s_mov_b32 s13, 0
	s_delay_alu instid0(VALU_DEP_1) | instskip(NEXT) | instid1(VALU_DEP_1)
	v_lshlrev_b64 v[7:8], 2, v[6:7]
	v_add_co_u32 v7, vcc_lo, s6, v7
	s_delay_alu instid0(VALU_DEP_2) | instskip(SKIP_3) | instid1(VALU_DEP_1)
	v_add_co_ci_u32_e32 v8, vcc_lo, s7, v8, vcc_lo
	global_load_b32 v4, v[7:8], off
	s_waitcnt vmcnt(0)
	v_subrev_nc_u32_e32 v4, s12, v4
	v_mul_lo_u32 v7, v4, 12
.LBB202_13:                             ;   Parent Loop BB202_12 Depth=1
                                        ; =>  This Inner Loop Header: Depth=2
	v_add_nc_u32_e32 v4, s13, v19
	v_mov_b32_e32 v8, v5
	s_add_i32 s13, s13, 8
	s_delay_alu instid0(SALU_CYCLE_1) | instskip(NEXT) | instid1(VALU_DEP_2)
	s_cmp_eq_u32 s13, 24
	v_lshlrev_b64 v[20:21], 3, v[4:5]
	s_delay_alu instid0(VALU_DEP_2) | instskip(SKIP_1) | instid1(VALU_DEP_3)
	v_lshlrev_b64 v[22:23], 3, v[7:8]
	v_add_nc_u32_e32 v7, 4, v7
	v_add_co_u32 v40, vcc_lo, s8, v20
	s_delay_alu instid0(VALU_DEP_4) | instskip(NEXT) | instid1(VALU_DEP_4)
	v_add_co_ci_u32_e32 v41, vcc_lo, s9, v21, vcc_lo
	v_add_co_u32 v32, vcc_lo, s10, v22
	v_add_co_ci_u32_e32 v33, vcc_lo, s11, v23, vcc_lo
	global_load_b128 v[20:23], v[40:41], off
	global_load_b128 v[24:27], v[32:33], off
	global_load_b128 v[28:31], v[40:41], off offset:16
	global_load_b128 v[32:35], v[32:33], off offset:16
	s_clause 0x1
	global_load_b128 v[36:39], v[40:41], off offset:32
	global_load_b128 v[40:43], v[40:41], off offset:48
	s_waitcnt vmcnt(4)
	v_fmac_f32_e32 v17, v22, v24
	v_fmac_f32_e32 v15, v23, v24
	;; [unrolled: 1-line block ×4, first 2 shown]
	s_delay_alu instid0(VALU_DEP_4) | instskip(NEXT) | instid1(VALU_DEP_4)
	v_fma_f32 v8, -v23, v25, v17
	v_fmac_f32_e32 v15, v22, v25
	s_delay_alu instid0(VALU_DEP_4) | instskip(SKIP_1) | instid1(VALU_DEP_3)
	v_fma_f32 v4, -v21, v25, v16
	s_waitcnt vmcnt(3)
	v_dual_fmac_f32 v13, v20, v25 :: v_dual_fmac_f32 v8, v30, v26
	s_delay_alu instid0(VALU_DEP_2) | instskip(NEXT) | instid1(VALU_DEP_2)
	v_fmac_f32_e32 v4, v28, v26
	v_fma_f32 v8, -v31, v27, v8
	v_fmac_f32_e32 v15, v31, v26
	s_delay_alu instid0(VALU_DEP_3) | instskip(SKIP_1) | instid1(VALU_DEP_3)
	v_fma_f32 v4, -v29, v27, v4
	s_waitcnt vmcnt(1)
	v_dual_fmac_f32 v13, v29, v26 :: v_dual_fmac_f32 v8, v38, v32
	s_delay_alu instid0(VALU_DEP_2) | instskip(NEXT) | instid1(VALU_DEP_2)
	v_fmac_f32_e32 v4, v36, v32
	v_fma_f32 v8, -v39, v33, v8
	s_delay_alu instid0(VALU_DEP_3) | instskip(NEXT) | instid1(VALU_DEP_3)
	v_fmac_f32_e32 v13, v28, v27
	v_fma_f32 v4, -v37, v33, v4
	v_fmac_f32_e32 v15, v30, v27
	s_waitcnt vmcnt(0)
	s_delay_alu instid0(VALU_DEP_3) | instskip(NEXT) | instid1(VALU_DEP_2)
	v_dual_fmac_f32 v8, v42, v34 :: v_dual_fmac_f32 v13, v37, v32
	v_dual_fmac_f32 v4, v40, v34 :: v_dual_fmac_f32 v15, v39, v32
	s_delay_alu instid0(VALU_DEP_2) | instskip(NEXT) | instid1(VALU_DEP_3)
	v_fma_f32 v17, -v43, v35, v8
	v_fmac_f32_e32 v13, v36, v33
	s_delay_alu instid0(VALU_DEP_3) | instskip(NEXT) | instid1(VALU_DEP_4)
	v_fma_f32 v16, -v41, v35, v4
	v_fmac_f32_e32 v15, v38, v33
	s_delay_alu instid0(VALU_DEP_3) | instskip(NEXT) | instid1(VALU_DEP_2)
	v_fmac_f32_e32 v13, v41, v34
	v_fmac_f32_e32 v15, v43, v34
	s_delay_alu instid0(VALU_DEP_2) | instskip(NEXT) | instid1(VALU_DEP_2)
	v_fmac_f32_e32 v13, v40, v35
	v_fmac_f32_e32 v15, v42, v35
	s_cbranch_scc0 .LBB202_13
; %bb.14:                               ;   in Loop: Header=BB202_12 Depth=1
	v_add_nc_u32_e32 v6, 4, v6
	v_add_nc_u32_e32 v18, 0x60, v18
	;; [unrolled: 1-line block ×3, first 2 shown]
	s_delay_alu instid0(VALU_DEP_3) | instskip(SKIP_1) | instid1(SALU_CYCLE_1)
	v_cmp_ge_i32_e32 vcc_lo, v6, v14
	s_or_b32 s5, vcc_lo, s5
	s_and_not1_b32 exec_lo, exec_lo, s5
	s_cbranch_execnz .LBB202_12
; %bb.15:
	s_or_b32 exec_lo, exec_lo, s5
.LBB202_16:
	s_delay_alu instid0(SALU_CYCLE_1) | instskip(NEXT) | instid1(SALU_CYCLE_1)
	s_or_b32 exec_lo, exec_lo, s4
	s_and_not1_b32 vcc_lo, exec_lo, s3
	s_cbranch_vccz .LBB202_21
	s_branch .LBB202_28
.LBB202_17:
	v_dual_mov_b32 v1, s4 :: v_dual_mov_b32 v2, s5
	flat_load_b32 v9, v[1:2]
	v_cndmask_b32_e64 v1, 0, 1, s6
	v_mov_b32_e32 v10, s5
	s_and_not1_b32 vcc_lo, exec_lo, s6
	s_cbranch_vccnz .LBB202_2
.LBB202_18:
	v_dual_mov_b32 v2, s4 :: v_dual_mov_b32 v3, s5
	flat_load_b32 v10, v[2:3] offset:4
	v_cmp_ne_u32_e32 vcc_lo, 1, v1
	v_mov_b32_e32 v11, s2
	s_cbranch_vccnz .LBB202_3
.LBB202_19:
	v_dual_mov_b32 v2, s2 :: v_dual_mov_b32 v3, s3
	flat_load_b32 v11, v[2:3]
	v_cmp_ne_u32_e32 vcc_lo, 1, v1
	v_mov_b32_e32 v12, s3
	s_cbranch_vccz .LBB202_4
	s_branch .LBB202_5
.LBB202_20:
                                        ; implicit-def: $vgpr13
                                        ; implicit-def: $vgpr16
                                        ; implicit-def: $vgpr17
                                        ; implicit-def: $vgpr15
.LBB202_21:
	v_dual_mov_b32 v13, 0 :: v_dual_mov_b32 v16, 0
	v_mov_b32_e32 v17, 0
	v_mov_b32_e32 v15, 0
	s_and_saveexec_b32 s3, s2
	s_cbranch_execz .LBB202_27
; %bb.22:
	v_mul_lo_u32 v3, v3, 24
	v_mul_lo_u32 v5, v2, 24
	s_mul_i32 s2, s12, 24
	v_dual_mov_b32 v4, 0 :: v_dual_mov_b32 v13, 0
	v_dual_mov_b32 v16, 0 :: v_dual_mov_b32 v17, 0
	v_mov_b32_e32 v15, 0
	v_mad_u32_u24 v3, v0, 24, v3
	s_delay_alu instid0(VALU_DEP_1)
	v_subrev_nc_u32_e32 v6, s2, v3
	s_mov_b32 s2, 0
.LBB202_23:                             ; =>This Loop Header: Depth=1
                                        ;     Child Loop BB202_24 Depth 2
	v_ashrrev_i32_e32 v3, 31, v2
	s_mov_b32 s4, 0
	s_delay_alu instid0(VALU_DEP_1) | instskip(NEXT) | instid1(VALU_DEP_1)
	v_lshlrev_b64 v[7:8], 2, v[2:3]
	v_add_co_u32 v7, vcc_lo, s6, v7
	s_delay_alu instid0(VALU_DEP_2) | instskip(SKIP_3) | instid1(VALU_DEP_1)
	v_add_co_ci_u32_e32 v8, vcc_lo, s7, v8, vcc_lo
	global_load_b32 v3, v[7:8], off
	s_waitcnt vmcnt(0)
	v_subrev_nc_u32_e32 v3, s12, v3
	v_mul_lo_u32 v7, v3, 12
.LBB202_24:                             ;   Parent Loop BB202_23 Depth=1
                                        ; =>  This Inner Loop Header: Depth=2
	v_add_nc_u32_e32 v3, s4, v6
	s_delay_alu instid0(VALU_DEP_1) | instskip(NEXT) | instid1(VALU_DEP_3)
	v_lshlrev_b64 v[18:19], 3, v[3:4]
	v_add_nc_u32_e32 v3, s4, v7
	s_delay_alu instid0(VALU_DEP_1) | instskip(SKIP_1) | instid1(VALU_DEP_4)
	v_lshlrev_b64 v[22:23], 3, v[3:4]
	v_add3_u32 v3, v5, s4, 12
	v_add_co_u32 v24, vcc_lo, s8, v18
	v_add_co_ci_u32_e32 v25, vcc_lo, s9, v19, vcc_lo
	s_delay_alu instid0(VALU_DEP_3)
	v_lshlrev_b64 v[26:27], 3, v[3:4]
	v_add_co_u32 v30, vcc_lo, s10, v22
	v_add_co_ci_u32_e32 v31, vcc_lo, s11, v23, vcc_lo
	global_load_b128 v[18:21], v[24:25], off offset:16
	v_add_co_u32 v38, vcc_lo, s8, v26
	v_add_co_ci_u32_e32 v39, vcc_lo, s9, v27, vcc_lo
	global_load_b128 v[22:25], v[24:25], off
	s_clause 0x1
	global_load_b128 v[26:29], v[30:31], off
	global_load_b128 v[30:33], v[30:31], off offset:16
	s_clause 0x1
	global_load_b128 v[34:37], v[38:39], off
	global_load_b128 v[38:41], v[38:39], off offset:16
	s_add_i32 s4, s4, 4
	s_delay_alu instid0(SALU_CYCLE_1)
	s_cmp_eq_u32 s4, 12
	s_waitcnt vmcnt(3)
	v_fmac_f32_e32 v16, v22, v26
	s_waitcnt vmcnt(1)
	v_fmac_f32_e32 v17, v34, v26
	v_fmac_f32_e32 v15, v35, v26
	s_delay_alu instid0(VALU_DEP_3) | instskip(NEXT) | instid1(VALU_DEP_3)
	v_fma_f32 v3, -v23, v27, v16
	v_fma_f32 v8, -v35, v27, v17
	s_delay_alu instid0(VALU_DEP_1) | instskip(NEXT) | instid1(VALU_DEP_1)
	v_dual_fmac_f32 v15, v34, v27 :: v_dual_fmac_f32 v8, v36, v28
	v_fmac_f32_e32 v15, v37, v28
	s_delay_alu instid0(VALU_DEP_2) | instskip(SKIP_2) | instid1(VALU_DEP_2)
	v_fma_f32 v8, -v37, v29, v8
	v_fmac_f32_e32 v3, v24, v28
	s_waitcnt vmcnt(0)
	v_dual_fmac_f32 v15, v36, v29 :: v_dual_fmac_f32 v8, v38, v30
	s_delay_alu instid0(VALU_DEP_2) | instskip(NEXT) | instid1(VALU_DEP_2)
	v_fma_f32 v3, -v25, v29, v3
	v_fmac_f32_e32 v15, v39, v30
	s_delay_alu instid0(VALU_DEP_3) | instskip(SKIP_1) | instid1(VALU_DEP_4)
	v_fma_f32 v8, -v39, v31, v8
	v_fmac_f32_e32 v13, v23, v26
	v_fmac_f32_e32 v3, v18, v30
	s_delay_alu instid0(VALU_DEP_3) | instskip(NEXT) | instid1(VALU_DEP_3)
	v_dual_fmac_f32 v15, v38, v31 :: v_dual_fmac_f32 v8, v40, v32
	v_fmac_f32_e32 v13, v22, v27
	s_delay_alu instid0(VALU_DEP_3) | instskip(NEXT) | instid1(VALU_DEP_3)
	v_fma_f32 v3, -v19, v31, v3
	v_fmac_f32_e32 v15, v41, v32
	s_delay_alu instid0(VALU_DEP_4) | instskip(NEXT) | instid1(VALU_DEP_4)
	v_fma_f32 v17, -v41, v33, v8
	v_fmac_f32_e32 v13, v25, v28
	s_delay_alu instid0(VALU_DEP_4) | instskip(NEXT) | instid1(VALU_DEP_4)
	v_fmac_f32_e32 v3, v20, v32
	v_fmac_f32_e32 v15, v40, v33
	s_delay_alu instid0(VALU_DEP_3) | instskip(NEXT) | instid1(VALU_DEP_3)
	v_fmac_f32_e32 v13, v24, v29
	v_fma_f32 v16, -v21, v33, v3
	s_delay_alu instid0(VALU_DEP_2) | instskip(NEXT) | instid1(VALU_DEP_1)
	v_fmac_f32_e32 v13, v19, v30
	v_fmac_f32_e32 v13, v18, v31
	s_delay_alu instid0(VALU_DEP_1) | instskip(NEXT) | instid1(VALU_DEP_1)
	v_fmac_f32_e32 v13, v21, v32
	v_fmac_f32_e32 v13, v20, v33
	s_cbranch_scc0 .LBB202_24
; %bb.25:                               ;   in Loop: Header=BB202_23 Depth=1
	v_add_nc_u32_e32 v2, 4, v2
	v_add_nc_u32_e32 v5, 0x60, v5
	;; [unrolled: 1-line block ×3, first 2 shown]
	s_delay_alu instid0(VALU_DEP_3) | instskip(SKIP_1) | instid1(SALU_CYCLE_1)
	v_cmp_ge_i32_e32 vcc_lo, v2, v14
	s_or_b32 s2, vcc_lo, s2
	s_and_not1_b32 exec_lo, exec_lo, s2
	s_cbranch_execnz .LBB202_23
; %bb.26:
	s_or_b32 exec_lo, exec_lo, s2
.LBB202_27:
	s_delay_alu instid0(SALU_CYCLE_1)
	s_or_b32 exec_lo, exec_lo, s3
.LBB202_28:
	v_mbcnt_lo_u32_b32 v2, -1, 0
	s_delay_alu instid0(VALU_DEP_1) | instskip(SKIP_1) | instid1(VALU_DEP_2)
	v_xor_b32_e32 v3, 2, v2
	v_xor_b32_e32 v7, 1, v2
	v_cmp_gt_i32_e32 vcc_lo, 32, v3
	v_cndmask_b32_e32 v3, v2, v3, vcc_lo
	s_delay_alu instid0(VALU_DEP_3) | instskip(NEXT) | instid1(VALU_DEP_2)
	v_cmp_gt_i32_e32 vcc_lo, 32, v7
	v_lshlrev_b32_e32 v3, 2, v3
	v_cndmask_b32_e32 v2, v2, v7, vcc_lo
	v_cmp_eq_u32_e32 vcc_lo, 3, v0
	ds_bpermute_b32 v6, v3, v17
	v_lshlrev_b32_e32 v7, 2, v2
	s_waitcnt lgkmcnt(0)
	v_add_f32_e32 v2, v17, v6
	ds_bpermute_b32 v4, v3, v16
	ds_bpermute_b32 v5, v3, v13
	;; [unrolled: 1-line block ×4, first 2 shown]
	s_waitcnt lgkmcnt(2)
	v_dual_add_f32 v4, v16, v4 :: v_dual_add_f32 v5, v13, v5
	s_waitcnt lgkmcnt(1)
	v_add_f32_e32 v3, v15, v3
	ds_bpermute_b32 v8, v7, v4
	ds_bpermute_b32 v13, v7, v5
	;; [unrolled: 1-line block ×3, first 2 shown]
	s_and_b32 exec_lo, exec_lo, vcc_lo
	s_cbranch_execz .LBB202_33
; %bb.29:
	s_load_b64 s[2:3], s[0:1], 0x38
	v_cmp_eq_f32_e32 vcc_lo, 0, v11
	v_cmp_eq_f32_e64 s0, 0, v12
	s_waitcnt lgkmcnt(0)
	v_dual_add_f32 v0, v4, v8 :: v_dual_add_f32 v3, v3, v7
	v_add_f32_e32 v4, v5, v13
	v_add_f32_e32 v2, v2, v6
	s_and_b32 s0, vcc_lo, s0
	s_delay_alu instid0(SALU_CYCLE_1) | instskip(NEXT) | instid1(SALU_CYCLE_1)
	s_and_saveexec_b32 s1, s0
	s_xor_b32 s0, exec_lo, s1
	s_cbranch_execz .LBB202_31
; %bb.30:
	v_mul_f32_e64 v5, v4, -v10
	v_mul_f32_e32 v6, v4, v9
	v_mul_f32_e64 v7, v3, -v10
	v_mul_f32_e32 v8, v3, v9
                                        ; implicit-def: $vgpr4
                                        ; implicit-def: $vgpr3
	s_delay_alu instid0(VALU_DEP_4) | instskip(NEXT) | instid1(VALU_DEP_4)
	v_fmac_f32_e32 v5, v9, v0
	v_dual_fmac_f32 v6, v10, v0 :: v_dual_lshlrev_b32 v11, 1, v1
	s_delay_alu instid0(VALU_DEP_4) | instskip(NEXT) | instid1(VALU_DEP_4)
	v_fmac_f32_e32 v7, v9, v2
	v_fmac_f32_e32 v8, v10, v2
                                        ; implicit-def: $vgpr9
                                        ; implicit-def: $vgpr10
                                        ; implicit-def: $vgpr2
	s_delay_alu instid0(VALU_DEP_3) | instskip(NEXT) | instid1(VALU_DEP_1)
	v_ashrrev_i32_e32 v12, 31, v11
	v_lshlrev_b64 v[11:12], 3, v[11:12]
	s_delay_alu instid0(VALU_DEP_1) | instskip(NEXT) | instid1(VALU_DEP_2)
	v_add_co_u32 v0, vcc_lo, s2, v11
	v_add_co_ci_u32_e32 v1, vcc_lo, s3, v12, vcc_lo
                                        ; implicit-def: $vgpr11
                                        ; implicit-def: $vgpr12
	global_store_b128 v[0:1], v[5:8], off
                                        ; implicit-def: $vgpr1
                                        ; implicit-def: $vgpr0
.LBB202_31:
	s_and_not1_saveexec_b32 s0, s0
	s_cbranch_execz .LBB202_33
; %bb.32:
	v_lshlrev_b32_e32 v5, 1, v1
	v_mul_f32_e64 v15, v4, -v10
	v_mul_f32_e32 v1, v4, v9
	v_mul_f32_e64 v4, v3, -v10
	v_mul_f32_e32 v3, v3, v9
	s_delay_alu instid0(VALU_DEP_4) | instskip(NEXT) | instid1(VALU_DEP_3)
	v_fmac_f32_e32 v15, v9, v0
	v_fmac_f32_e32 v4, v9, v2
	v_ashrrev_i32_e32 v6, 31, v5
	s_delay_alu instid0(VALU_DEP_4) | instskip(NEXT) | instid1(VALU_DEP_2)
	v_fmac_f32_e32 v3, v10, v2
	v_lshlrev_b64 v[5:6], 3, v[5:6]
	s_delay_alu instid0(VALU_DEP_1) | instskip(NEXT) | instid1(VALU_DEP_2)
	v_add_co_u32 v13, vcc_lo, s2, v5
	v_add_co_ci_u32_e32 v14, vcc_lo, s3, v6, vcc_lo
	global_load_b128 v[5:8], v[13:14], off
	s_waitcnt vmcnt(0)
	v_dual_fmac_f32 v4, v11, v7 :: v_dual_fmac_f32 v1, v10, v0
	v_fmac_f32_e32 v15, v11, v5
	v_fmac_f32_e32 v3, v12, v7
	s_delay_alu instid0(VALU_DEP_3) | instskip(NEXT) | instid1(VALU_DEP_4)
	v_fma_f32 v2, -v12, v8, v4
	v_fmac_f32_e32 v1, v12, v5
	s_delay_alu instid0(VALU_DEP_4) | instskip(NEXT) | instid1(VALU_DEP_4)
	v_fma_f32 v0, -v12, v6, v15
	v_fmac_f32_e32 v3, v11, v8
	s_delay_alu instid0(VALU_DEP_3)
	v_fmac_f32_e32 v1, v11, v6
	global_store_b128 v[13:14], v[0:3], off
.LBB202_33:
	s_nop 0
	s_sendmsg sendmsg(MSG_DEALLOC_VGPRS)
	s_endpgm
	.section	.rodata,"a",@progbits
	.p2align	6, 0x0
	.amdhsa_kernel _ZN9rocsparseL19gebsrmvn_2xn_kernelILj128ELj12ELj4E21rocsparse_complex_numIfEEEvi20rocsparse_direction_NS_24const_host_device_scalarIT2_EEPKiS8_PKS5_SA_S6_PS5_21rocsparse_index_base_b
		.amdhsa_group_segment_fixed_size 0
		.amdhsa_private_segment_fixed_size 0
		.amdhsa_kernarg_size 72
		.amdhsa_user_sgpr_count 15
		.amdhsa_user_sgpr_dispatch_ptr 0
		.amdhsa_user_sgpr_queue_ptr 0
		.amdhsa_user_sgpr_kernarg_segment_ptr 1
		.amdhsa_user_sgpr_dispatch_id 0
		.amdhsa_user_sgpr_private_segment_size 0
		.amdhsa_wavefront_size32 1
		.amdhsa_uses_dynamic_stack 0
		.amdhsa_enable_private_segment 0
		.amdhsa_system_sgpr_workgroup_id_x 1
		.amdhsa_system_sgpr_workgroup_id_y 0
		.amdhsa_system_sgpr_workgroup_id_z 0
		.amdhsa_system_sgpr_workgroup_info 0
		.amdhsa_system_vgpr_workitem_id 0
		.amdhsa_next_free_vgpr 44
		.amdhsa_next_free_sgpr 16
		.amdhsa_reserve_vcc 1
		.amdhsa_float_round_mode_32 0
		.amdhsa_float_round_mode_16_64 0
		.amdhsa_float_denorm_mode_32 3
		.amdhsa_float_denorm_mode_16_64 3
		.amdhsa_dx10_clamp 1
		.amdhsa_ieee_mode 1
		.amdhsa_fp16_overflow 0
		.amdhsa_workgroup_processor_mode 1
		.amdhsa_memory_ordered 1
		.amdhsa_forward_progress 0
		.amdhsa_shared_vgpr_count 0
		.amdhsa_exception_fp_ieee_invalid_op 0
		.amdhsa_exception_fp_denorm_src 0
		.amdhsa_exception_fp_ieee_div_zero 0
		.amdhsa_exception_fp_ieee_overflow 0
		.amdhsa_exception_fp_ieee_underflow 0
		.amdhsa_exception_fp_ieee_inexact 0
		.amdhsa_exception_int_div_zero 0
	.end_amdhsa_kernel
	.section	.text._ZN9rocsparseL19gebsrmvn_2xn_kernelILj128ELj12ELj4E21rocsparse_complex_numIfEEEvi20rocsparse_direction_NS_24const_host_device_scalarIT2_EEPKiS8_PKS5_SA_S6_PS5_21rocsparse_index_base_b,"axG",@progbits,_ZN9rocsparseL19gebsrmvn_2xn_kernelILj128ELj12ELj4E21rocsparse_complex_numIfEEEvi20rocsparse_direction_NS_24const_host_device_scalarIT2_EEPKiS8_PKS5_SA_S6_PS5_21rocsparse_index_base_b,comdat
.Lfunc_end202:
	.size	_ZN9rocsparseL19gebsrmvn_2xn_kernelILj128ELj12ELj4E21rocsparse_complex_numIfEEEvi20rocsparse_direction_NS_24const_host_device_scalarIT2_EEPKiS8_PKS5_SA_S6_PS5_21rocsparse_index_base_b, .Lfunc_end202-_ZN9rocsparseL19gebsrmvn_2xn_kernelILj128ELj12ELj4E21rocsparse_complex_numIfEEEvi20rocsparse_direction_NS_24const_host_device_scalarIT2_EEPKiS8_PKS5_SA_S6_PS5_21rocsparse_index_base_b
                                        ; -- End function
	.section	.AMDGPU.csdata,"",@progbits
; Kernel info:
; codeLenInByte = 2036
; NumSgprs: 18
; NumVgprs: 44
; ScratchSize: 0
; MemoryBound: 0
; FloatMode: 240
; IeeeMode: 1
; LDSByteSize: 0 bytes/workgroup (compile time only)
; SGPRBlocks: 2
; VGPRBlocks: 5
; NumSGPRsForWavesPerEU: 18
; NumVGPRsForWavesPerEU: 44
; Occupancy: 16
; WaveLimiterHint : 1
; COMPUTE_PGM_RSRC2:SCRATCH_EN: 0
; COMPUTE_PGM_RSRC2:USER_SGPR: 15
; COMPUTE_PGM_RSRC2:TRAP_HANDLER: 0
; COMPUTE_PGM_RSRC2:TGID_X_EN: 1
; COMPUTE_PGM_RSRC2:TGID_Y_EN: 0
; COMPUTE_PGM_RSRC2:TGID_Z_EN: 0
; COMPUTE_PGM_RSRC2:TIDIG_COMP_CNT: 0
	.section	.text._ZN9rocsparseL19gebsrmvn_2xn_kernelILj128ELj12ELj8E21rocsparse_complex_numIfEEEvi20rocsparse_direction_NS_24const_host_device_scalarIT2_EEPKiS8_PKS5_SA_S6_PS5_21rocsparse_index_base_b,"axG",@progbits,_ZN9rocsparseL19gebsrmvn_2xn_kernelILj128ELj12ELj8E21rocsparse_complex_numIfEEEvi20rocsparse_direction_NS_24const_host_device_scalarIT2_EEPKiS8_PKS5_SA_S6_PS5_21rocsparse_index_base_b,comdat
	.globl	_ZN9rocsparseL19gebsrmvn_2xn_kernelILj128ELj12ELj8E21rocsparse_complex_numIfEEEvi20rocsparse_direction_NS_24const_host_device_scalarIT2_EEPKiS8_PKS5_SA_S6_PS5_21rocsparse_index_base_b ; -- Begin function _ZN9rocsparseL19gebsrmvn_2xn_kernelILj128ELj12ELj8E21rocsparse_complex_numIfEEEvi20rocsparse_direction_NS_24const_host_device_scalarIT2_EEPKiS8_PKS5_SA_S6_PS5_21rocsparse_index_base_b
	.p2align	8
	.type	_ZN9rocsparseL19gebsrmvn_2xn_kernelILj128ELj12ELj8E21rocsparse_complex_numIfEEEvi20rocsparse_direction_NS_24const_host_device_scalarIT2_EEPKiS8_PKS5_SA_S6_PS5_21rocsparse_index_base_b,@function
_ZN9rocsparseL19gebsrmvn_2xn_kernelILj128ELj12ELj8E21rocsparse_complex_numIfEEEvi20rocsparse_direction_NS_24const_host_device_scalarIT2_EEPKiS8_PKS5_SA_S6_PS5_21rocsparse_index_base_b: ; @_ZN9rocsparseL19gebsrmvn_2xn_kernelILj128ELj12ELj8E21rocsparse_complex_numIfEEEvi20rocsparse_direction_NS_24const_host_device_scalarIT2_EEPKiS8_PKS5_SA_S6_PS5_21rocsparse_index_base_b
; %bb.0:
	s_clause 0x2
	s_load_b64 s[12:13], s[0:1], 0x40
	s_load_b64 s[4:5], s[0:1], 0x8
	;; [unrolled: 1-line block ×3, first 2 shown]
	s_waitcnt lgkmcnt(0)
	s_bitcmp1_b32 s13, 0
	v_mov_b32_e32 v9, s4
	s_cselect_b32 s6, -1, 0
	s_delay_alu instid0(SALU_CYCLE_1)
	s_and_b32 vcc_lo, exec_lo, s6
	s_xor_b32 s6, s6, -1
	s_cbranch_vccz .LBB203_17
; %bb.1:
	v_cndmask_b32_e64 v1, 0, 1, s6
	v_mov_b32_e32 v10, s5
	s_and_not1_b32 vcc_lo, exec_lo, s6
	s_cbranch_vccz .LBB203_18
.LBB203_2:
	s_delay_alu instid0(VALU_DEP_2)
	v_cmp_ne_u32_e32 vcc_lo, 1, v1
	v_mov_b32_e32 v11, s2
	s_cbranch_vccz .LBB203_19
.LBB203_3:
	v_cmp_ne_u32_e32 vcc_lo, 1, v1
	v_mov_b32_e32 v12, s3
	s_cbranch_vccnz .LBB203_5
.LBB203_4:
	v_dual_mov_b32 v1, s2 :: v_dual_mov_b32 v2, s3
	flat_load_b32 v12, v[1:2] offset:4
.LBB203_5:
	s_waitcnt vmcnt(0) lgkmcnt(0)
	v_cmp_eq_f32_e32 vcc_lo, 0, v9
	v_cmp_eq_f32_e64 s2, 0, v10
	s_delay_alu instid0(VALU_DEP_1)
	s_and_b32 s4, vcc_lo, s2
	s_mov_b32 s2, -1
	s_and_saveexec_b32 s3, s4
; %bb.6:
	v_cmp_neq_f32_e32 vcc_lo, 1.0, v11
	v_cmp_neq_f32_e64 s2, 0, v12
	s_delay_alu instid0(VALU_DEP_1) | instskip(NEXT) | instid1(SALU_CYCLE_1)
	s_or_b32 s2, vcc_lo, s2
	s_or_not1_b32 s2, s2, exec_lo
; %bb.7:
	s_or_b32 exec_lo, exec_lo, s3
	s_and_saveexec_b32 s3, s2
	s_cbranch_execz .LBB203_33
; %bb.8:
	s_load_b64 s[2:3], s[0:1], 0x0
	v_lshrrev_b32_e32 v1, 3, v0
	s_delay_alu instid0(VALU_DEP_1) | instskip(SKIP_1) | instid1(VALU_DEP_1)
	v_lshl_or_b32 v1, s15, 4, v1
	s_waitcnt lgkmcnt(0)
	v_cmp_gt_i32_e32 vcc_lo, s2, v1
	s_and_b32 exec_lo, exec_lo, vcc_lo
	s_cbranch_execz .LBB203_33
; %bb.9:
	s_load_b256 s[4:11], s[0:1], 0x10
	v_ashrrev_i32_e32 v2, 31, v1
	v_and_b32_e32 v0, 7, v0
	s_cmp_lg_u32 s3, 0
	s_delay_alu instid0(VALU_DEP_2) | instskip(SKIP_1) | instid1(VALU_DEP_1)
	v_lshlrev_b64 v[2:3], 2, v[1:2]
	s_waitcnt lgkmcnt(0)
	v_add_co_u32 v2, vcc_lo, s4, v2
	s_delay_alu instid0(VALU_DEP_2) | instskip(SKIP_4) | instid1(VALU_DEP_2)
	v_add_co_ci_u32_e32 v3, vcc_lo, s5, v3, vcc_lo
	global_load_b64 v[3:4], v[2:3], off
	s_waitcnt vmcnt(0)
	v_subrev_nc_u32_e32 v2, s12, v3
	v_subrev_nc_u32_e32 v15, s12, v4
	v_add_nc_u32_e32 v2, v2, v0
	s_delay_alu instid0(VALU_DEP_1)
	v_cmp_lt_i32_e64 s2, v2, v15
	s_cbranch_scc0 .LBB203_20
; %bb.10:
	v_dual_mov_b32 v13, 0 :: v_dual_mov_b32 v16, 0
	v_dual_mov_b32 v17, 0 :: v_dual_mov_b32 v14, 0
	s_mov_b32 s3, 0
	s_and_saveexec_b32 s4, s2
	s_cbranch_execz .LBB203_16
; %bb.11:
	v_mul_lo_u32 v4, v3, 24
	v_mul_lo_u32 v18, v2, 24
	s_mul_i32 s5, s12, 24
	v_dual_mov_b32 v5, 0 :: v_dual_mov_b32 v6, v2
	v_dual_mov_b32 v13, 0 :: v_dual_mov_b32 v16, 0
	;; [unrolled: 1-line block ×3, first 2 shown]
	v_mad_u32_u24 v4, v0, 24, v4
	s_delay_alu instid0(VALU_DEP_1)
	v_subrev_nc_u32_e32 v19, s5, v4
	s_mov_b32 s5, 0
.LBB203_12:                             ; =>This Loop Header: Depth=1
                                        ;     Child Loop BB203_13 Depth 2
	v_ashrrev_i32_e32 v7, 31, v6
	s_mov_b32 s13, 0
	s_delay_alu instid0(VALU_DEP_1) | instskip(NEXT) | instid1(VALU_DEP_1)
	v_lshlrev_b64 v[7:8], 2, v[6:7]
	v_add_co_u32 v7, vcc_lo, s6, v7
	s_delay_alu instid0(VALU_DEP_2) | instskip(SKIP_3) | instid1(VALU_DEP_1)
	v_add_co_ci_u32_e32 v8, vcc_lo, s7, v8, vcc_lo
	global_load_b32 v4, v[7:8], off
	s_waitcnt vmcnt(0)
	v_subrev_nc_u32_e32 v4, s12, v4
	v_mul_lo_u32 v7, v4, 12
.LBB203_13:                             ;   Parent Loop BB203_12 Depth=1
                                        ; =>  This Inner Loop Header: Depth=2
	v_add_nc_u32_e32 v4, s13, v19
	v_mov_b32_e32 v8, v5
	s_add_i32 s13, s13, 8
	s_delay_alu instid0(SALU_CYCLE_1) | instskip(NEXT) | instid1(VALU_DEP_2)
	s_cmp_eq_u32 s13, 24
	v_lshlrev_b64 v[20:21], 3, v[4:5]
	s_delay_alu instid0(VALU_DEP_2) | instskip(SKIP_1) | instid1(VALU_DEP_3)
	v_lshlrev_b64 v[22:23], 3, v[7:8]
	v_add_nc_u32_e32 v7, 4, v7
	v_add_co_u32 v40, vcc_lo, s8, v20
	s_delay_alu instid0(VALU_DEP_4) | instskip(NEXT) | instid1(VALU_DEP_4)
	v_add_co_ci_u32_e32 v41, vcc_lo, s9, v21, vcc_lo
	v_add_co_u32 v32, vcc_lo, s10, v22
	v_add_co_ci_u32_e32 v33, vcc_lo, s11, v23, vcc_lo
	global_load_b128 v[20:23], v[40:41], off
	global_load_b128 v[24:27], v[32:33], off
	global_load_b128 v[28:31], v[40:41], off offset:16
	global_load_b128 v[32:35], v[32:33], off offset:16
	s_clause 0x1
	global_load_b128 v[36:39], v[40:41], off offset:32
	global_load_b128 v[40:43], v[40:41], off offset:48
	s_waitcnt vmcnt(4)
	v_fmac_f32_e32 v17, v22, v24
	v_fmac_f32_e32 v13, v21, v24
	;; [unrolled: 1-line block ×3, first 2 shown]
	s_delay_alu instid0(VALU_DEP_3) | instskip(NEXT) | instid1(VALU_DEP_3)
	v_fma_f32 v8, -v23, v25, v17
	v_fmac_f32_e32 v13, v20, v25
	s_waitcnt vmcnt(3)
	s_delay_alu instid0(VALU_DEP_1) | instskip(NEXT) | instid1(VALU_DEP_1)
	v_dual_fmac_f32 v16, v20, v24 :: v_dual_fmac_f32 v13, v29, v26
	v_fma_f32 v4, -v21, v25, v16
	s_delay_alu instid0(VALU_DEP_2) | instskip(NEXT) | instid1(VALU_DEP_2)
	v_dual_fmac_f32 v14, v22, v25 :: v_dual_fmac_f32 v13, v28, v27
	v_fmac_f32_e32 v4, v28, v26
	s_waitcnt vmcnt(1)
	s_delay_alu instid0(VALU_DEP_2) | instskip(SKIP_1) | instid1(VALU_DEP_3)
	v_dual_fmac_f32 v14, v31, v26 :: v_dual_fmac_f32 v13, v37, v32
	v_fmac_f32_e32 v8, v30, v26
	v_fma_f32 v4, -v29, v27, v4
	s_delay_alu instid0(VALU_DEP_3) | instskip(NEXT) | instid1(VALU_DEP_3)
	v_fmac_f32_e32 v13, v36, v33
	v_fma_f32 v8, -v31, v27, v8
	v_fmac_f32_e32 v14, v30, v27
	s_waitcnt vmcnt(0)
	s_delay_alu instid0(VALU_DEP_3) | instskip(NEXT) | instid1(VALU_DEP_3)
	v_dual_fmac_f32 v4, v36, v32 :: v_dual_fmac_f32 v13, v41, v34
	v_fmac_f32_e32 v8, v38, v32
	s_delay_alu instid0(VALU_DEP_3) | instskip(NEXT) | instid1(VALU_DEP_3)
	v_fmac_f32_e32 v14, v39, v32
	v_fma_f32 v4, -v37, v33, v4
	s_delay_alu instid0(VALU_DEP_4) | instskip(NEXT) | instid1(VALU_DEP_4)
	v_fmac_f32_e32 v13, v40, v35
	v_fma_f32 v8, -v39, v33, v8
	s_delay_alu instid0(VALU_DEP_4) | instskip(NEXT) | instid1(VALU_DEP_4)
	v_fmac_f32_e32 v14, v38, v33
	v_fmac_f32_e32 v4, v40, v34
	s_delay_alu instid0(VALU_DEP_3) | instskip(NEXT) | instid1(VALU_DEP_3)
	v_fmac_f32_e32 v8, v42, v34
	v_fmac_f32_e32 v14, v43, v34
	s_delay_alu instid0(VALU_DEP_3) | instskip(NEXT) | instid1(VALU_DEP_3)
	v_fma_f32 v16, -v41, v35, v4
	v_fma_f32 v17, -v43, v35, v8
	s_delay_alu instid0(VALU_DEP_3)
	v_fmac_f32_e32 v14, v42, v35
	s_cbranch_scc0 .LBB203_13
; %bb.14:                               ;   in Loop: Header=BB203_12 Depth=1
	v_add_nc_u32_e32 v6, 8, v6
	v_add_nc_u32_e32 v18, 0xc0, v18
	;; [unrolled: 1-line block ×3, first 2 shown]
	s_delay_alu instid0(VALU_DEP_3) | instskip(SKIP_1) | instid1(SALU_CYCLE_1)
	v_cmp_ge_i32_e32 vcc_lo, v6, v15
	s_or_b32 s5, vcc_lo, s5
	s_and_not1_b32 exec_lo, exec_lo, s5
	s_cbranch_execnz .LBB203_12
; %bb.15:
	s_or_b32 exec_lo, exec_lo, s5
.LBB203_16:
	s_delay_alu instid0(SALU_CYCLE_1) | instskip(NEXT) | instid1(SALU_CYCLE_1)
	s_or_b32 exec_lo, exec_lo, s4
	s_and_not1_b32 vcc_lo, exec_lo, s3
	s_cbranch_vccz .LBB203_21
	s_branch .LBB203_28
.LBB203_17:
	v_dual_mov_b32 v1, s4 :: v_dual_mov_b32 v2, s5
	flat_load_b32 v9, v[1:2]
	v_cndmask_b32_e64 v1, 0, 1, s6
	v_mov_b32_e32 v10, s5
	s_and_not1_b32 vcc_lo, exec_lo, s6
	s_cbranch_vccnz .LBB203_2
.LBB203_18:
	v_dual_mov_b32 v2, s4 :: v_dual_mov_b32 v3, s5
	flat_load_b32 v10, v[2:3] offset:4
	v_cmp_ne_u32_e32 vcc_lo, 1, v1
	v_mov_b32_e32 v11, s2
	s_cbranch_vccnz .LBB203_3
.LBB203_19:
	v_dual_mov_b32 v2, s2 :: v_dual_mov_b32 v3, s3
	flat_load_b32 v11, v[2:3]
	v_cmp_ne_u32_e32 vcc_lo, 1, v1
	v_mov_b32_e32 v12, s3
	s_cbranch_vccz .LBB203_4
	s_branch .LBB203_5
.LBB203_20:
                                        ; implicit-def: $vgpr13
                                        ; implicit-def: $vgpr16
                                        ; implicit-def: $vgpr17
                                        ; implicit-def: $vgpr14
.LBB203_21:
	v_dual_mov_b32 v13, 0 :: v_dual_mov_b32 v16, 0
	v_dual_mov_b32 v17, 0 :: v_dual_mov_b32 v14, 0
	s_delay_alu instid0(VALU_DEP_3)
	s_and_saveexec_b32 s3, s2
	s_cbranch_execz .LBB203_27
; %bb.22:
	v_mul_lo_u32 v3, v3, 24
	v_mul_lo_u32 v5, v2, 24
	s_mul_i32 s2, s12, 24
	v_dual_mov_b32 v4, 0 :: v_dual_mov_b32 v13, 0
	v_dual_mov_b32 v16, 0 :: v_dual_mov_b32 v17, 0
	v_mov_b32_e32 v14, 0
	v_mad_u32_u24 v3, v0, 24, v3
	s_delay_alu instid0(VALU_DEP_1)
	v_subrev_nc_u32_e32 v6, s2, v3
	s_mov_b32 s2, 0
.LBB203_23:                             ; =>This Loop Header: Depth=1
                                        ;     Child Loop BB203_24 Depth 2
	v_ashrrev_i32_e32 v3, 31, v2
	s_mov_b32 s4, 0
	s_delay_alu instid0(VALU_DEP_1) | instskip(NEXT) | instid1(VALU_DEP_1)
	v_lshlrev_b64 v[7:8], 2, v[2:3]
	v_add_co_u32 v7, vcc_lo, s6, v7
	s_delay_alu instid0(VALU_DEP_2) | instskip(SKIP_3) | instid1(VALU_DEP_1)
	v_add_co_ci_u32_e32 v8, vcc_lo, s7, v8, vcc_lo
	global_load_b32 v3, v[7:8], off
	s_waitcnt vmcnt(0)
	v_subrev_nc_u32_e32 v3, s12, v3
	v_mul_lo_u32 v7, v3, 12
.LBB203_24:                             ;   Parent Loop BB203_23 Depth=1
                                        ; =>  This Inner Loop Header: Depth=2
	v_add_nc_u32_e32 v3, s4, v6
	s_delay_alu instid0(VALU_DEP_1) | instskip(NEXT) | instid1(VALU_DEP_3)
	v_lshlrev_b64 v[18:19], 3, v[3:4]
	v_add_nc_u32_e32 v3, s4, v7
	s_delay_alu instid0(VALU_DEP_1) | instskip(SKIP_1) | instid1(VALU_DEP_4)
	v_lshlrev_b64 v[22:23], 3, v[3:4]
	v_add3_u32 v3, v5, s4, 12
	v_add_co_u32 v24, vcc_lo, s8, v18
	v_add_co_ci_u32_e32 v25, vcc_lo, s9, v19, vcc_lo
	s_delay_alu instid0(VALU_DEP_3)
	v_lshlrev_b64 v[26:27], 3, v[3:4]
	v_add_co_u32 v30, vcc_lo, s10, v22
	v_add_co_ci_u32_e32 v31, vcc_lo, s11, v23, vcc_lo
	global_load_b128 v[18:21], v[24:25], off offset:16
	v_add_co_u32 v38, vcc_lo, s8, v26
	v_add_co_ci_u32_e32 v39, vcc_lo, s9, v27, vcc_lo
	global_load_b128 v[22:25], v[24:25], off
	s_clause 0x1
	global_load_b128 v[26:29], v[30:31], off
	global_load_b128 v[30:33], v[30:31], off offset:16
	s_clause 0x1
	global_load_b128 v[34:37], v[38:39], off
	global_load_b128 v[38:41], v[38:39], off offset:16
	s_add_i32 s4, s4, 4
	s_delay_alu instid0(SALU_CYCLE_1) | instskip(SKIP_4) | instid1(VALU_DEP_2)
	s_cmp_eq_u32 s4, 12
	s_waitcnt vmcnt(3)
	v_fmac_f32_e32 v16, v22, v26
	s_waitcnt vmcnt(1)
	v_fmac_f32_e32 v14, v35, v26
	v_fma_f32 v3, -v23, v27, v16
	s_delay_alu instid0(VALU_DEP_2) | instskip(NEXT) | instid1(VALU_DEP_1)
	v_fmac_f32_e32 v14, v34, v27
	v_dual_fmac_f32 v17, v34, v26 :: v_dual_fmac_f32 v14, v37, v28
	s_delay_alu instid0(VALU_DEP_1) | instskip(NEXT) | instid1(VALU_DEP_2)
	v_fma_f32 v8, -v35, v27, v17
	v_dual_fmac_f32 v13, v23, v26 :: v_dual_fmac_f32 v14, v36, v29
	s_delay_alu instid0(VALU_DEP_1) | instskip(SKIP_1) | instid1(VALU_DEP_2)
	v_dual_fmac_f32 v8, v36, v28 :: v_dual_fmac_f32 v13, v22, v27
	s_waitcnt vmcnt(0)
	v_fmac_f32_e32 v14, v39, v30
	s_delay_alu instid0(VALU_DEP_2) | instskip(SKIP_1) | instid1(VALU_DEP_3)
	v_fma_f32 v8, -v37, v29, v8
	v_fmac_f32_e32 v3, v24, v28
	v_dual_fmac_f32 v13, v25, v28 :: v_dual_fmac_f32 v14, v38, v31
	s_delay_alu instid0(VALU_DEP_3) | instskip(NEXT) | instid1(VALU_DEP_3)
	v_fmac_f32_e32 v8, v38, v30
	v_fma_f32 v3, -v25, v29, v3
	s_delay_alu instid0(VALU_DEP_3) | instskip(NEXT) | instid1(VALU_DEP_3)
	v_dual_fmac_f32 v13, v24, v29 :: v_dual_fmac_f32 v14, v41, v32
	v_fma_f32 v8, -v39, v31, v8
	s_delay_alu instid0(VALU_DEP_3) | instskip(NEXT) | instid1(VALU_DEP_3)
	v_fmac_f32_e32 v3, v18, v30
	v_dual_fmac_f32 v13, v19, v30 :: v_dual_fmac_f32 v14, v40, v33
	s_delay_alu instid0(VALU_DEP_3) | instskip(NEXT) | instid1(VALU_DEP_3)
	v_fmac_f32_e32 v8, v40, v32
	v_fma_f32 v3, -v19, v31, v3
	s_delay_alu instid0(VALU_DEP_3) | instskip(NEXT) | instid1(VALU_DEP_3)
	v_fmac_f32_e32 v13, v18, v31
	v_fma_f32 v17, -v41, v33, v8
	s_delay_alu instid0(VALU_DEP_3) | instskip(NEXT) | instid1(VALU_DEP_3)
	v_fmac_f32_e32 v3, v20, v32
	v_fmac_f32_e32 v13, v21, v32
	s_delay_alu instid0(VALU_DEP_2) | instskip(NEXT) | instid1(VALU_DEP_2)
	v_fma_f32 v16, -v21, v33, v3
	v_fmac_f32_e32 v13, v20, v33
	s_cbranch_scc0 .LBB203_24
; %bb.25:                               ;   in Loop: Header=BB203_23 Depth=1
	v_add_nc_u32_e32 v2, 8, v2
	v_add_nc_u32_e32 v5, 0xc0, v5
	;; [unrolled: 1-line block ×3, first 2 shown]
	s_delay_alu instid0(VALU_DEP_3) | instskip(SKIP_1) | instid1(SALU_CYCLE_1)
	v_cmp_ge_i32_e32 vcc_lo, v2, v15
	s_or_b32 s2, vcc_lo, s2
	s_and_not1_b32 exec_lo, exec_lo, s2
	s_cbranch_execnz .LBB203_23
; %bb.26:
	s_or_b32 exec_lo, exec_lo, s2
.LBB203_27:
	s_delay_alu instid0(SALU_CYCLE_1)
	s_or_b32 exec_lo, exec_lo, s3
.LBB203_28:
	v_mbcnt_lo_u32_b32 v2, -1, 0
	s_delay_alu instid0(VALU_DEP_1) | instskip(SKIP_2) | instid1(VALU_DEP_3)
	v_xor_b32_e32 v3, 4, v2
	v_xor_b32_e32 v7, 2, v2
	;; [unrolled: 1-line block ×3, first 2 shown]
	v_cmp_gt_i32_e32 vcc_lo, 32, v3
	v_cndmask_b32_e32 v3, v2, v3, vcc_lo
	s_delay_alu instid0(VALU_DEP_4) | instskip(NEXT) | instid1(VALU_DEP_2)
	v_cmp_gt_i32_e32 vcc_lo, 32, v7
	v_lshlrev_b32_e32 v3, 2, v3
	ds_bpermute_b32 v6, v3, v17
	s_waitcnt lgkmcnt(0)
	v_add_f32_e32 v6, v17, v6
	ds_bpermute_b32 v4, v3, v16
	ds_bpermute_b32 v5, v3, v13
	;; [unrolled: 1-line block ×3, first 2 shown]
	s_waitcnt lgkmcnt(2)
	v_dual_add_f32 v4, v16, v4 :: v_dual_cndmask_b32 v7, v2, v7
	s_waitcnt lgkmcnt(0)
	v_add_f32_e32 v3, v14, v3
	v_cmp_gt_i32_e32 vcc_lo, 32, v15
	v_add_f32_e32 v5, v13, v5
	v_lshlrev_b32_e32 v7, 2, v7
	v_cndmask_b32_e32 v2, v2, v15, vcc_lo
	v_cmp_eq_u32_e32 vcc_lo, 7, v0
	ds_bpermute_b32 v14, v7, v6
	v_lshlrev_b32_e32 v15, 2, v2
	s_waitcnt lgkmcnt(0)
	v_add_f32_e32 v2, v6, v14
	ds_bpermute_b32 v8, v7, v4
	ds_bpermute_b32 v13, v7, v5
	;; [unrolled: 1-line block ×4, first 2 shown]
	s_waitcnt lgkmcnt(2)
	v_dual_add_f32 v4, v4, v8 :: v_dual_add_f32 v5, v5, v13
	s_waitcnt lgkmcnt(1)
	v_add_f32_e32 v3, v3, v7
	ds_bpermute_b32 v8, v15, v4
	ds_bpermute_b32 v13, v15, v5
	;; [unrolled: 1-line block ×3, first 2 shown]
	s_and_b32 exec_lo, exec_lo, vcc_lo
	s_cbranch_execz .LBB203_33
; %bb.29:
	s_load_b64 s[2:3], s[0:1], 0x38
	v_cmp_eq_f32_e32 vcc_lo, 0, v11
	v_cmp_eq_f32_e64 s0, 0, v12
	s_waitcnt lgkmcnt(0)
	v_dual_add_f32 v0, v4, v8 :: v_dual_add_f32 v3, v3, v7
	v_add_f32_e32 v4, v5, v13
	v_add_f32_e32 v2, v2, v6
	s_and_b32 s0, vcc_lo, s0
	s_delay_alu instid0(SALU_CYCLE_1) | instskip(NEXT) | instid1(SALU_CYCLE_1)
	s_and_saveexec_b32 s1, s0
	s_xor_b32 s0, exec_lo, s1
	s_cbranch_execz .LBB203_31
; %bb.30:
	v_mul_f32_e64 v5, v4, -v10
	v_mul_f32_e32 v6, v4, v9
	v_mul_f32_e64 v7, v3, -v10
	v_mul_f32_e32 v8, v3, v9
                                        ; implicit-def: $vgpr4
                                        ; implicit-def: $vgpr3
	s_delay_alu instid0(VALU_DEP_4) | instskip(NEXT) | instid1(VALU_DEP_4)
	v_fmac_f32_e32 v5, v9, v0
	v_dual_fmac_f32 v6, v10, v0 :: v_dual_lshlrev_b32 v11, 1, v1
	s_delay_alu instid0(VALU_DEP_4) | instskip(NEXT) | instid1(VALU_DEP_4)
	v_fmac_f32_e32 v7, v9, v2
	v_fmac_f32_e32 v8, v10, v2
                                        ; implicit-def: $vgpr9
                                        ; implicit-def: $vgpr10
                                        ; implicit-def: $vgpr2
	s_delay_alu instid0(VALU_DEP_3) | instskip(NEXT) | instid1(VALU_DEP_1)
	v_ashrrev_i32_e32 v12, 31, v11
	v_lshlrev_b64 v[11:12], 3, v[11:12]
	s_delay_alu instid0(VALU_DEP_1) | instskip(NEXT) | instid1(VALU_DEP_2)
	v_add_co_u32 v0, vcc_lo, s2, v11
	v_add_co_ci_u32_e32 v1, vcc_lo, s3, v12, vcc_lo
                                        ; implicit-def: $vgpr11
                                        ; implicit-def: $vgpr12
	global_store_b128 v[0:1], v[5:8], off
                                        ; implicit-def: $vgpr1
                                        ; implicit-def: $vgpr0
.LBB203_31:
	s_and_not1_saveexec_b32 s0, s0
	s_cbranch_execz .LBB203_33
; %bb.32:
	v_lshlrev_b32_e32 v5, 1, v1
	v_mul_f32_e64 v15, v4, -v10
	v_mul_f32_e32 v1, v4, v9
	v_mul_f32_e64 v4, v3, -v10
	v_mul_f32_e32 v3, v3, v9
	s_delay_alu instid0(VALU_DEP_4) | instskip(NEXT) | instid1(VALU_DEP_3)
	v_fmac_f32_e32 v15, v9, v0
	v_fmac_f32_e32 v4, v9, v2
	v_ashrrev_i32_e32 v6, 31, v5
	s_delay_alu instid0(VALU_DEP_4) | instskip(NEXT) | instid1(VALU_DEP_2)
	v_fmac_f32_e32 v3, v10, v2
	v_lshlrev_b64 v[5:6], 3, v[5:6]
	s_delay_alu instid0(VALU_DEP_1) | instskip(NEXT) | instid1(VALU_DEP_2)
	v_add_co_u32 v13, vcc_lo, s2, v5
	v_add_co_ci_u32_e32 v14, vcc_lo, s3, v6, vcc_lo
	global_load_b128 v[5:8], v[13:14], off
	s_waitcnt vmcnt(0)
	v_dual_fmac_f32 v4, v11, v7 :: v_dual_fmac_f32 v1, v10, v0
	v_fmac_f32_e32 v15, v11, v5
	v_fmac_f32_e32 v3, v12, v7
	s_delay_alu instid0(VALU_DEP_3) | instskip(NEXT) | instid1(VALU_DEP_4)
	v_fma_f32 v2, -v12, v8, v4
	v_fmac_f32_e32 v1, v12, v5
	s_delay_alu instid0(VALU_DEP_4) | instskip(NEXT) | instid1(VALU_DEP_4)
	v_fma_f32 v0, -v12, v6, v15
	v_fmac_f32_e32 v3, v11, v8
	s_delay_alu instid0(VALU_DEP_3)
	v_fmac_f32_e32 v1, v11, v6
	global_store_b128 v[13:14], v[0:3], off
.LBB203_33:
	s_nop 0
	s_sendmsg sendmsg(MSG_DEALLOC_VGPRS)
	s_endpgm
	.section	.rodata,"a",@progbits
	.p2align	6, 0x0
	.amdhsa_kernel _ZN9rocsparseL19gebsrmvn_2xn_kernelILj128ELj12ELj8E21rocsparse_complex_numIfEEEvi20rocsparse_direction_NS_24const_host_device_scalarIT2_EEPKiS8_PKS5_SA_S6_PS5_21rocsparse_index_base_b
		.amdhsa_group_segment_fixed_size 0
		.amdhsa_private_segment_fixed_size 0
		.amdhsa_kernarg_size 72
		.amdhsa_user_sgpr_count 15
		.amdhsa_user_sgpr_dispatch_ptr 0
		.amdhsa_user_sgpr_queue_ptr 0
		.amdhsa_user_sgpr_kernarg_segment_ptr 1
		.amdhsa_user_sgpr_dispatch_id 0
		.amdhsa_user_sgpr_private_segment_size 0
		.amdhsa_wavefront_size32 1
		.amdhsa_uses_dynamic_stack 0
		.amdhsa_enable_private_segment 0
		.amdhsa_system_sgpr_workgroup_id_x 1
		.amdhsa_system_sgpr_workgroup_id_y 0
		.amdhsa_system_sgpr_workgroup_id_z 0
		.amdhsa_system_sgpr_workgroup_info 0
		.amdhsa_system_vgpr_workitem_id 0
		.amdhsa_next_free_vgpr 44
		.amdhsa_next_free_sgpr 16
		.amdhsa_reserve_vcc 1
		.amdhsa_float_round_mode_32 0
		.amdhsa_float_round_mode_16_64 0
		.amdhsa_float_denorm_mode_32 3
		.amdhsa_float_denorm_mode_16_64 3
		.amdhsa_dx10_clamp 1
		.amdhsa_ieee_mode 1
		.amdhsa_fp16_overflow 0
		.amdhsa_workgroup_processor_mode 1
		.amdhsa_memory_ordered 1
		.amdhsa_forward_progress 0
		.amdhsa_shared_vgpr_count 0
		.amdhsa_exception_fp_ieee_invalid_op 0
		.amdhsa_exception_fp_denorm_src 0
		.amdhsa_exception_fp_ieee_div_zero 0
		.amdhsa_exception_fp_ieee_overflow 0
		.amdhsa_exception_fp_ieee_underflow 0
		.amdhsa_exception_fp_ieee_inexact 0
		.amdhsa_exception_int_div_zero 0
	.end_amdhsa_kernel
	.section	.text._ZN9rocsparseL19gebsrmvn_2xn_kernelILj128ELj12ELj8E21rocsparse_complex_numIfEEEvi20rocsparse_direction_NS_24const_host_device_scalarIT2_EEPKiS8_PKS5_SA_S6_PS5_21rocsparse_index_base_b,"axG",@progbits,_ZN9rocsparseL19gebsrmvn_2xn_kernelILj128ELj12ELj8E21rocsparse_complex_numIfEEEvi20rocsparse_direction_NS_24const_host_device_scalarIT2_EEPKiS8_PKS5_SA_S6_PS5_21rocsparse_index_base_b,comdat
.Lfunc_end203:
	.size	_ZN9rocsparseL19gebsrmvn_2xn_kernelILj128ELj12ELj8E21rocsparse_complex_numIfEEEvi20rocsparse_direction_NS_24const_host_device_scalarIT2_EEPKiS8_PKS5_SA_S6_PS5_21rocsparse_index_base_b, .Lfunc_end203-_ZN9rocsparseL19gebsrmvn_2xn_kernelILj128ELj12ELj8E21rocsparse_complex_numIfEEEvi20rocsparse_direction_NS_24const_host_device_scalarIT2_EEPKiS8_PKS5_SA_S6_PS5_21rocsparse_index_base_b
                                        ; -- End function
	.section	.AMDGPU.csdata,"",@progbits
; Kernel info:
; codeLenInByte = 2116
; NumSgprs: 18
; NumVgprs: 44
; ScratchSize: 0
; MemoryBound: 0
; FloatMode: 240
; IeeeMode: 1
; LDSByteSize: 0 bytes/workgroup (compile time only)
; SGPRBlocks: 2
; VGPRBlocks: 5
; NumSGPRsForWavesPerEU: 18
; NumVGPRsForWavesPerEU: 44
; Occupancy: 16
; WaveLimiterHint : 1
; COMPUTE_PGM_RSRC2:SCRATCH_EN: 0
; COMPUTE_PGM_RSRC2:USER_SGPR: 15
; COMPUTE_PGM_RSRC2:TRAP_HANDLER: 0
; COMPUTE_PGM_RSRC2:TGID_X_EN: 1
; COMPUTE_PGM_RSRC2:TGID_Y_EN: 0
; COMPUTE_PGM_RSRC2:TGID_Z_EN: 0
; COMPUTE_PGM_RSRC2:TIDIG_COMP_CNT: 0
	.section	.text._ZN9rocsparseL19gebsrmvn_2xn_kernelILj128ELj12ELj16E21rocsparse_complex_numIfEEEvi20rocsparse_direction_NS_24const_host_device_scalarIT2_EEPKiS8_PKS5_SA_S6_PS5_21rocsparse_index_base_b,"axG",@progbits,_ZN9rocsparseL19gebsrmvn_2xn_kernelILj128ELj12ELj16E21rocsparse_complex_numIfEEEvi20rocsparse_direction_NS_24const_host_device_scalarIT2_EEPKiS8_PKS5_SA_S6_PS5_21rocsparse_index_base_b,comdat
	.globl	_ZN9rocsparseL19gebsrmvn_2xn_kernelILj128ELj12ELj16E21rocsparse_complex_numIfEEEvi20rocsparse_direction_NS_24const_host_device_scalarIT2_EEPKiS8_PKS5_SA_S6_PS5_21rocsparse_index_base_b ; -- Begin function _ZN9rocsparseL19gebsrmvn_2xn_kernelILj128ELj12ELj16E21rocsparse_complex_numIfEEEvi20rocsparse_direction_NS_24const_host_device_scalarIT2_EEPKiS8_PKS5_SA_S6_PS5_21rocsparse_index_base_b
	.p2align	8
	.type	_ZN9rocsparseL19gebsrmvn_2xn_kernelILj128ELj12ELj16E21rocsparse_complex_numIfEEEvi20rocsparse_direction_NS_24const_host_device_scalarIT2_EEPKiS8_PKS5_SA_S6_PS5_21rocsparse_index_base_b,@function
_ZN9rocsparseL19gebsrmvn_2xn_kernelILj128ELj12ELj16E21rocsparse_complex_numIfEEEvi20rocsparse_direction_NS_24const_host_device_scalarIT2_EEPKiS8_PKS5_SA_S6_PS5_21rocsparse_index_base_b: ; @_ZN9rocsparseL19gebsrmvn_2xn_kernelILj128ELj12ELj16E21rocsparse_complex_numIfEEEvi20rocsparse_direction_NS_24const_host_device_scalarIT2_EEPKiS8_PKS5_SA_S6_PS5_21rocsparse_index_base_b
; %bb.0:
	s_clause 0x2
	s_load_b64 s[12:13], s[0:1], 0x40
	s_load_b64 s[4:5], s[0:1], 0x8
	;; [unrolled: 1-line block ×3, first 2 shown]
	s_waitcnt lgkmcnt(0)
	s_bitcmp1_b32 s13, 0
	v_mov_b32_e32 v9, s4
	s_cselect_b32 s6, -1, 0
	s_delay_alu instid0(SALU_CYCLE_1)
	s_and_b32 vcc_lo, exec_lo, s6
	s_xor_b32 s6, s6, -1
	s_cbranch_vccz .LBB204_17
; %bb.1:
	v_cndmask_b32_e64 v1, 0, 1, s6
	v_mov_b32_e32 v10, s5
	s_and_not1_b32 vcc_lo, exec_lo, s6
	s_cbranch_vccz .LBB204_18
.LBB204_2:
	s_delay_alu instid0(VALU_DEP_2)
	v_cmp_ne_u32_e32 vcc_lo, 1, v1
	v_mov_b32_e32 v11, s2
	s_cbranch_vccz .LBB204_19
.LBB204_3:
	v_cmp_ne_u32_e32 vcc_lo, 1, v1
	v_mov_b32_e32 v12, s3
	s_cbranch_vccnz .LBB204_5
.LBB204_4:
	v_dual_mov_b32 v1, s2 :: v_dual_mov_b32 v2, s3
	flat_load_b32 v12, v[1:2] offset:4
.LBB204_5:
	s_waitcnt vmcnt(0) lgkmcnt(0)
	v_cmp_eq_f32_e32 vcc_lo, 0, v9
	v_cmp_eq_f32_e64 s2, 0, v10
	s_delay_alu instid0(VALU_DEP_1)
	s_and_b32 s4, vcc_lo, s2
	s_mov_b32 s2, -1
	s_and_saveexec_b32 s3, s4
; %bb.6:
	v_cmp_neq_f32_e32 vcc_lo, 1.0, v11
	v_cmp_neq_f32_e64 s2, 0, v12
	s_delay_alu instid0(VALU_DEP_1) | instskip(NEXT) | instid1(SALU_CYCLE_1)
	s_or_b32 s2, vcc_lo, s2
	s_or_not1_b32 s2, s2, exec_lo
; %bb.7:
	s_or_b32 exec_lo, exec_lo, s3
	s_and_saveexec_b32 s3, s2
	s_cbranch_execz .LBB204_33
; %bb.8:
	s_load_b64 s[2:3], s[0:1], 0x0
	v_lshrrev_b32_e32 v1, 4, v0
	s_delay_alu instid0(VALU_DEP_1) | instskip(SKIP_1) | instid1(VALU_DEP_1)
	v_lshl_or_b32 v1, s15, 3, v1
	s_waitcnt lgkmcnt(0)
	v_cmp_gt_i32_e32 vcc_lo, s2, v1
	s_and_b32 exec_lo, exec_lo, vcc_lo
	s_cbranch_execz .LBB204_33
; %bb.9:
	s_load_b256 s[4:11], s[0:1], 0x10
	v_ashrrev_i32_e32 v2, 31, v1
	v_and_b32_e32 v0, 15, v0
	s_cmp_lg_u32 s3, 0
	s_delay_alu instid0(VALU_DEP_2) | instskip(SKIP_1) | instid1(VALU_DEP_1)
	v_lshlrev_b64 v[2:3], 2, v[1:2]
	s_waitcnt lgkmcnt(0)
	v_add_co_u32 v2, vcc_lo, s4, v2
	s_delay_alu instid0(VALU_DEP_2) | instskip(SKIP_4) | instid1(VALU_DEP_2)
	v_add_co_ci_u32_e32 v3, vcc_lo, s5, v3, vcc_lo
	global_load_b64 v[3:4], v[2:3], off
	s_waitcnt vmcnt(0)
	v_subrev_nc_u32_e32 v2, s12, v3
	v_subrev_nc_u32_e32 v15, s12, v4
	v_add_nc_u32_e32 v2, v2, v0
	s_delay_alu instid0(VALU_DEP_1)
	v_cmp_lt_i32_e64 s2, v2, v15
	s_cbranch_scc0 .LBB204_20
; %bb.10:
	v_dual_mov_b32 v13, 0 :: v_dual_mov_b32 v16, 0
	v_dual_mov_b32 v17, 0 :: v_dual_mov_b32 v14, 0
	s_mov_b32 s3, 0
	s_and_saveexec_b32 s4, s2
	s_cbranch_execz .LBB204_16
; %bb.11:
	v_mul_lo_u32 v4, v3, 24
	v_mul_lo_u32 v18, v2, 24
	s_mul_i32 s5, s12, 24
	v_dual_mov_b32 v5, 0 :: v_dual_mov_b32 v6, v2
	v_dual_mov_b32 v13, 0 :: v_dual_mov_b32 v16, 0
	v_dual_mov_b32 v17, 0 :: v_dual_mov_b32 v14, 0
	v_mad_u32_u24 v4, v0, 24, v4
	s_delay_alu instid0(VALU_DEP_1)
	v_subrev_nc_u32_e32 v19, s5, v4
	s_mov_b32 s5, 0
.LBB204_12:                             ; =>This Loop Header: Depth=1
                                        ;     Child Loop BB204_13 Depth 2
	v_ashrrev_i32_e32 v7, 31, v6
	s_mov_b32 s13, 0
	s_delay_alu instid0(VALU_DEP_1) | instskip(NEXT) | instid1(VALU_DEP_1)
	v_lshlrev_b64 v[7:8], 2, v[6:7]
	v_add_co_u32 v7, vcc_lo, s6, v7
	s_delay_alu instid0(VALU_DEP_2) | instskip(SKIP_3) | instid1(VALU_DEP_1)
	v_add_co_ci_u32_e32 v8, vcc_lo, s7, v8, vcc_lo
	global_load_b32 v4, v[7:8], off
	s_waitcnt vmcnt(0)
	v_subrev_nc_u32_e32 v4, s12, v4
	v_mul_lo_u32 v7, v4, 12
.LBB204_13:                             ;   Parent Loop BB204_12 Depth=1
                                        ; =>  This Inner Loop Header: Depth=2
	v_add_nc_u32_e32 v4, s13, v19
	v_mov_b32_e32 v8, v5
	s_add_i32 s13, s13, 8
	s_delay_alu instid0(SALU_CYCLE_1) | instskip(NEXT) | instid1(VALU_DEP_2)
	s_cmp_eq_u32 s13, 24
	v_lshlrev_b64 v[20:21], 3, v[4:5]
	s_delay_alu instid0(VALU_DEP_2) | instskip(SKIP_1) | instid1(VALU_DEP_3)
	v_lshlrev_b64 v[22:23], 3, v[7:8]
	v_add_nc_u32_e32 v7, 4, v7
	v_add_co_u32 v40, vcc_lo, s8, v20
	s_delay_alu instid0(VALU_DEP_4) | instskip(NEXT) | instid1(VALU_DEP_4)
	v_add_co_ci_u32_e32 v41, vcc_lo, s9, v21, vcc_lo
	v_add_co_u32 v32, vcc_lo, s10, v22
	v_add_co_ci_u32_e32 v33, vcc_lo, s11, v23, vcc_lo
	global_load_b128 v[20:23], v[40:41], off
	global_load_b128 v[24:27], v[32:33], off
	global_load_b128 v[28:31], v[40:41], off offset:16
	global_load_b128 v[32:35], v[32:33], off offset:16
	s_clause 0x1
	global_load_b128 v[36:39], v[40:41], off offset:32
	global_load_b128 v[40:43], v[40:41], off offset:48
	s_waitcnt vmcnt(4)
	v_fmac_f32_e32 v17, v22, v24
	v_fmac_f32_e32 v13, v21, v24
	;; [unrolled: 1-line block ×3, first 2 shown]
	s_delay_alu instid0(VALU_DEP_3) | instskip(NEXT) | instid1(VALU_DEP_3)
	v_fma_f32 v8, -v23, v25, v17
	v_fmac_f32_e32 v13, v20, v25
	s_waitcnt vmcnt(3)
	s_delay_alu instid0(VALU_DEP_1) | instskip(NEXT) | instid1(VALU_DEP_1)
	v_dual_fmac_f32 v16, v20, v24 :: v_dual_fmac_f32 v13, v29, v26
	v_fma_f32 v4, -v21, v25, v16
	s_delay_alu instid0(VALU_DEP_2) | instskip(NEXT) | instid1(VALU_DEP_2)
	v_dual_fmac_f32 v14, v22, v25 :: v_dual_fmac_f32 v13, v28, v27
	v_fmac_f32_e32 v4, v28, v26
	s_waitcnt vmcnt(1)
	s_delay_alu instid0(VALU_DEP_2) | instskip(SKIP_1) | instid1(VALU_DEP_3)
	v_dual_fmac_f32 v14, v31, v26 :: v_dual_fmac_f32 v13, v37, v32
	v_fmac_f32_e32 v8, v30, v26
	v_fma_f32 v4, -v29, v27, v4
	s_delay_alu instid0(VALU_DEP_3) | instskip(NEXT) | instid1(VALU_DEP_3)
	v_fmac_f32_e32 v13, v36, v33
	v_fma_f32 v8, -v31, v27, v8
	v_fmac_f32_e32 v14, v30, v27
	s_waitcnt vmcnt(0)
	s_delay_alu instid0(VALU_DEP_3) | instskip(NEXT) | instid1(VALU_DEP_3)
	v_dual_fmac_f32 v4, v36, v32 :: v_dual_fmac_f32 v13, v41, v34
	v_fmac_f32_e32 v8, v38, v32
	s_delay_alu instid0(VALU_DEP_3) | instskip(NEXT) | instid1(VALU_DEP_3)
	v_fmac_f32_e32 v14, v39, v32
	v_fma_f32 v4, -v37, v33, v4
	s_delay_alu instid0(VALU_DEP_4) | instskip(NEXT) | instid1(VALU_DEP_4)
	v_fmac_f32_e32 v13, v40, v35
	v_fma_f32 v8, -v39, v33, v8
	s_delay_alu instid0(VALU_DEP_4) | instskip(NEXT) | instid1(VALU_DEP_4)
	v_fmac_f32_e32 v14, v38, v33
	v_fmac_f32_e32 v4, v40, v34
	s_delay_alu instid0(VALU_DEP_3) | instskip(NEXT) | instid1(VALU_DEP_3)
	v_fmac_f32_e32 v8, v42, v34
	v_fmac_f32_e32 v14, v43, v34
	s_delay_alu instid0(VALU_DEP_3) | instskip(NEXT) | instid1(VALU_DEP_3)
	v_fma_f32 v16, -v41, v35, v4
	v_fma_f32 v17, -v43, v35, v8
	s_delay_alu instid0(VALU_DEP_3)
	v_fmac_f32_e32 v14, v42, v35
	s_cbranch_scc0 .LBB204_13
; %bb.14:                               ;   in Loop: Header=BB204_12 Depth=1
	v_add_nc_u32_e32 v6, 16, v6
	v_add_nc_u32_e32 v18, 0x180, v18
	;; [unrolled: 1-line block ×3, first 2 shown]
	s_delay_alu instid0(VALU_DEP_3) | instskip(SKIP_1) | instid1(SALU_CYCLE_1)
	v_cmp_ge_i32_e32 vcc_lo, v6, v15
	s_or_b32 s5, vcc_lo, s5
	s_and_not1_b32 exec_lo, exec_lo, s5
	s_cbranch_execnz .LBB204_12
; %bb.15:
	s_or_b32 exec_lo, exec_lo, s5
.LBB204_16:
	s_delay_alu instid0(SALU_CYCLE_1) | instskip(NEXT) | instid1(SALU_CYCLE_1)
	s_or_b32 exec_lo, exec_lo, s4
	s_and_not1_b32 vcc_lo, exec_lo, s3
	s_cbranch_vccz .LBB204_21
	s_branch .LBB204_28
.LBB204_17:
	v_dual_mov_b32 v1, s4 :: v_dual_mov_b32 v2, s5
	flat_load_b32 v9, v[1:2]
	v_cndmask_b32_e64 v1, 0, 1, s6
	v_mov_b32_e32 v10, s5
	s_and_not1_b32 vcc_lo, exec_lo, s6
	s_cbranch_vccnz .LBB204_2
.LBB204_18:
	v_dual_mov_b32 v2, s4 :: v_dual_mov_b32 v3, s5
	flat_load_b32 v10, v[2:3] offset:4
	v_cmp_ne_u32_e32 vcc_lo, 1, v1
	v_mov_b32_e32 v11, s2
	s_cbranch_vccnz .LBB204_3
.LBB204_19:
	v_dual_mov_b32 v2, s2 :: v_dual_mov_b32 v3, s3
	flat_load_b32 v11, v[2:3]
	v_cmp_ne_u32_e32 vcc_lo, 1, v1
	v_mov_b32_e32 v12, s3
	s_cbranch_vccz .LBB204_4
	s_branch .LBB204_5
.LBB204_20:
                                        ; implicit-def: $vgpr13
                                        ; implicit-def: $vgpr16
                                        ; implicit-def: $vgpr17
                                        ; implicit-def: $vgpr14
.LBB204_21:
	v_dual_mov_b32 v13, 0 :: v_dual_mov_b32 v16, 0
	v_dual_mov_b32 v17, 0 :: v_dual_mov_b32 v14, 0
	s_delay_alu instid0(VALU_DEP_3)
	s_and_saveexec_b32 s3, s2
	s_cbranch_execz .LBB204_27
; %bb.22:
	v_mul_lo_u32 v3, v3, 24
	v_mul_lo_u32 v5, v2, 24
	s_mul_i32 s2, s12, 24
	v_dual_mov_b32 v4, 0 :: v_dual_mov_b32 v13, 0
	v_dual_mov_b32 v16, 0 :: v_dual_mov_b32 v17, 0
	v_mov_b32_e32 v14, 0
	v_mad_u32_u24 v3, v0, 24, v3
	s_delay_alu instid0(VALU_DEP_1)
	v_subrev_nc_u32_e32 v6, s2, v3
	s_mov_b32 s2, 0
.LBB204_23:                             ; =>This Loop Header: Depth=1
                                        ;     Child Loop BB204_24 Depth 2
	v_ashrrev_i32_e32 v3, 31, v2
	s_mov_b32 s4, 0
	s_delay_alu instid0(VALU_DEP_1) | instskip(NEXT) | instid1(VALU_DEP_1)
	v_lshlrev_b64 v[7:8], 2, v[2:3]
	v_add_co_u32 v7, vcc_lo, s6, v7
	s_delay_alu instid0(VALU_DEP_2) | instskip(SKIP_3) | instid1(VALU_DEP_1)
	v_add_co_ci_u32_e32 v8, vcc_lo, s7, v8, vcc_lo
	global_load_b32 v3, v[7:8], off
	s_waitcnt vmcnt(0)
	v_subrev_nc_u32_e32 v3, s12, v3
	v_mul_lo_u32 v7, v3, 12
.LBB204_24:                             ;   Parent Loop BB204_23 Depth=1
                                        ; =>  This Inner Loop Header: Depth=2
	v_add_nc_u32_e32 v3, s4, v6
	s_delay_alu instid0(VALU_DEP_1) | instskip(NEXT) | instid1(VALU_DEP_3)
	v_lshlrev_b64 v[18:19], 3, v[3:4]
	v_add_nc_u32_e32 v3, s4, v7
	s_delay_alu instid0(VALU_DEP_1) | instskip(SKIP_1) | instid1(VALU_DEP_4)
	v_lshlrev_b64 v[22:23], 3, v[3:4]
	v_add3_u32 v3, v5, s4, 12
	v_add_co_u32 v24, vcc_lo, s8, v18
	v_add_co_ci_u32_e32 v25, vcc_lo, s9, v19, vcc_lo
	s_delay_alu instid0(VALU_DEP_3)
	v_lshlrev_b64 v[26:27], 3, v[3:4]
	v_add_co_u32 v30, vcc_lo, s10, v22
	v_add_co_ci_u32_e32 v31, vcc_lo, s11, v23, vcc_lo
	global_load_b128 v[18:21], v[24:25], off offset:16
	v_add_co_u32 v38, vcc_lo, s8, v26
	v_add_co_ci_u32_e32 v39, vcc_lo, s9, v27, vcc_lo
	global_load_b128 v[22:25], v[24:25], off
	s_clause 0x1
	global_load_b128 v[26:29], v[30:31], off
	global_load_b128 v[30:33], v[30:31], off offset:16
	s_clause 0x1
	global_load_b128 v[34:37], v[38:39], off
	global_load_b128 v[38:41], v[38:39], off offset:16
	s_add_i32 s4, s4, 4
	s_delay_alu instid0(SALU_CYCLE_1) | instskip(SKIP_4) | instid1(VALU_DEP_2)
	s_cmp_eq_u32 s4, 12
	s_waitcnt vmcnt(3)
	v_fmac_f32_e32 v16, v22, v26
	s_waitcnt vmcnt(1)
	v_fmac_f32_e32 v14, v35, v26
	v_fma_f32 v3, -v23, v27, v16
	s_delay_alu instid0(VALU_DEP_2) | instskip(NEXT) | instid1(VALU_DEP_1)
	v_fmac_f32_e32 v14, v34, v27
	v_dual_fmac_f32 v17, v34, v26 :: v_dual_fmac_f32 v14, v37, v28
	s_delay_alu instid0(VALU_DEP_1) | instskip(NEXT) | instid1(VALU_DEP_2)
	v_fma_f32 v8, -v35, v27, v17
	v_dual_fmac_f32 v13, v23, v26 :: v_dual_fmac_f32 v14, v36, v29
	s_delay_alu instid0(VALU_DEP_1) | instskip(SKIP_1) | instid1(VALU_DEP_2)
	v_dual_fmac_f32 v8, v36, v28 :: v_dual_fmac_f32 v13, v22, v27
	s_waitcnt vmcnt(0)
	v_fmac_f32_e32 v14, v39, v30
	s_delay_alu instid0(VALU_DEP_2) | instskip(SKIP_1) | instid1(VALU_DEP_3)
	v_fma_f32 v8, -v37, v29, v8
	v_fmac_f32_e32 v3, v24, v28
	v_dual_fmac_f32 v13, v25, v28 :: v_dual_fmac_f32 v14, v38, v31
	s_delay_alu instid0(VALU_DEP_3) | instskip(NEXT) | instid1(VALU_DEP_3)
	v_fmac_f32_e32 v8, v38, v30
	v_fma_f32 v3, -v25, v29, v3
	s_delay_alu instid0(VALU_DEP_3) | instskip(NEXT) | instid1(VALU_DEP_3)
	v_dual_fmac_f32 v13, v24, v29 :: v_dual_fmac_f32 v14, v41, v32
	v_fma_f32 v8, -v39, v31, v8
	s_delay_alu instid0(VALU_DEP_3) | instskip(NEXT) | instid1(VALU_DEP_3)
	v_fmac_f32_e32 v3, v18, v30
	v_dual_fmac_f32 v13, v19, v30 :: v_dual_fmac_f32 v14, v40, v33
	s_delay_alu instid0(VALU_DEP_3) | instskip(NEXT) | instid1(VALU_DEP_3)
	v_fmac_f32_e32 v8, v40, v32
	v_fma_f32 v3, -v19, v31, v3
	s_delay_alu instid0(VALU_DEP_3) | instskip(NEXT) | instid1(VALU_DEP_3)
	v_fmac_f32_e32 v13, v18, v31
	v_fma_f32 v17, -v41, v33, v8
	s_delay_alu instid0(VALU_DEP_3) | instskip(NEXT) | instid1(VALU_DEP_3)
	v_fmac_f32_e32 v3, v20, v32
	v_fmac_f32_e32 v13, v21, v32
	s_delay_alu instid0(VALU_DEP_2) | instskip(NEXT) | instid1(VALU_DEP_2)
	v_fma_f32 v16, -v21, v33, v3
	v_fmac_f32_e32 v13, v20, v33
	s_cbranch_scc0 .LBB204_24
; %bb.25:                               ;   in Loop: Header=BB204_23 Depth=1
	v_add_nc_u32_e32 v2, 16, v2
	v_add_nc_u32_e32 v5, 0x180, v5
	;; [unrolled: 1-line block ×3, first 2 shown]
	s_delay_alu instid0(VALU_DEP_3) | instskip(SKIP_1) | instid1(SALU_CYCLE_1)
	v_cmp_ge_i32_e32 vcc_lo, v2, v15
	s_or_b32 s2, vcc_lo, s2
	s_and_not1_b32 exec_lo, exec_lo, s2
	s_cbranch_execnz .LBB204_23
; %bb.26:
	s_or_b32 exec_lo, exec_lo, s2
.LBB204_27:
	s_delay_alu instid0(SALU_CYCLE_1)
	s_or_b32 exec_lo, exec_lo, s3
.LBB204_28:
	v_mbcnt_lo_u32_b32 v2, -1, 0
	s_delay_alu instid0(VALU_DEP_1) | instskip(SKIP_2) | instid1(VALU_DEP_3)
	v_xor_b32_e32 v3, 8, v2
	v_xor_b32_e32 v7, 4, v2
	;; [unrolled: 1-line block ×3, first 2 shown]
	v_cmp_gt_i32_e32 vcc_lo, 32, v3
	v_cndmask_b32_e32 v3, v2, v3, vcc_lo
	s_delay_alu instid0(VALU_DEP_4) | instskip(NEXT) | instid1(VALU_DEP_2)
	v_cmp_gt_i32_e32 vcc_lo, 32, v7
	v_lshlrev_b32_e32 v3, 2, v3
	ds_bpermute_b32 v6, v3, v17
	s_waitcnt lgkmcnt(0)
	v_add_f32_e32 v6, v17, v6
	ds_bpermute_b32 v4, v3, v16
	ds_bpermute_b32 v5, v3, v13
	;; [unrolled: 1-line block ×3, first 2 shown]
	s_waitcnt lgkmcnt(2)
	v_dual_add_f32 v4, v16, v4 :: v_dual_cndmask_b32 v7, v2, v7
	s_waitcnt lgkmcnt(0)
	v_add_f32_e32 v3, v14, v3
	v_add_f32_e32 v5, v13, v5
	v_cmp_gt_i32_e32 vcc_lo, 32, v15
	v_lshlrev_b32_e32 v7, 2, v7
	v_cndmask_b32_e32 v15, v2, v15, vcc_lo
	ds_bpermute_b32 v14, v7, v6
	s_waitcnt lgkmcnt(0)
	v_add_f32_e32 v6, v6, v14
	ds_bpermute_b32 v8, v7, v4
	ds_bpermute_b32 v13, v7, v5
	;; [unrolled: 1-line block ×3, first 2 shown]
	s_waitcnt lgkmcnt(2)
	v_dual_add_f32 v4, v4, v8 :: v_dual_lshlrev_b32 v15, 2, v15
	s_waitcnt lgkmcnt(0)
	v_add_f32_e32 v3, v3, v7
	ds_bpermute_b32 v7, v15, v4
	v_add_f32_e32 v5, v5, v13
	ds_bpermute_b32 v13, v15, v6
	ds_bpermute_b32 v14, v15, v3
	s_waitcnt lgkmcnt(2)
	v_add_f32_e32 v4, v4, v7
	ds_bpermute_b32 v8, v15, v5
	v_xor_b32_e32 v15, 1, v2
	s_waitcnt lgkmcnt(1)
	v_add_f32_e32 v3, v3, v14
	s_delay_alu instid0(VALU_DEP_2) | instskip(SKIP_2) | instid1(VALU_DEP_2)
	v_cmp_gt_i32_e32 vcc_lo, 32, v15
	v_cndmask_b32_e32 v2, v2, v15, vcc_lo
	v_cmp_eq_u32_e32 vcc_lo, 15, v0
	v_dual_add_f32 v2, v6, v13 :: v_dual_lshlrev_b32 v15, 2, v2
	s_waitcnt lgkmcnt(0)
	v_add_f32_e32 v5, v5, v8
	ds_bpermute_b32 v8, v15, v4
	ds_bpermute_b32 v6, v15, v2
	;; [unrolled: 1-line block ×4, first 2 shown]
	s_and_b32 exec_lo, exec_lo, vcc_lo
	s_cbranch_execz .LBB204_33
; %bb.29:
	s_load_b64 s[2:3], s[0:1], 0x38
	v_cmp_eq_f32_e32 vcc_lo, 0, v11
	v_cmp_eq_f32_e64 s0, 0, v12
	s_waitcnt lgkmcnt(0)
	v_dual_add_f32 v0, v4, v8 :: v_dual_add_f32 v3, v3, v7
	v_add_f32_e32 v4, v5, v13
	v_add_f32_e32 v2, v2, v6
	s_and_b32 s0, vcc_lo, s0
	s_delay_alu instid0(SALU_CYCLE_1) | instskip(NEXT) | instid1(SALU_CYCLE_1)
	s_and_saveexec_b32 s1, s0
	s_xor_b32 s0, exec_lo, s1
	s_cbranch_execz .LBB204_31
; %bb.30:
	v_mul_f32_e64 v5, v4, -v10
	v_mul_f32_e32 v6, v4, v9
	v_mul_f32_e64 v7, v3, -v10
	v_mul_f32_e32 v8, v3, v9
                                        ; implicit-def: $vgpr4
                                        ; implicit-def: $vgpr3
	s_delay_alu instid0(VALU_DEP_4) | instskip(NEXT) | instid1(VALU_DEP_4)
	v_fmac_f32_e32 v5, v9, v0
	v_dual_fmac_f32 v6, v10, v0 :: v_dual_lshlrev_b32 v11, 1, v1
	s_delay_alu instid0(VALU_DEP_4) | instskip(NEXT) | instid1(VALU_DEP_4)
	v_fmac_f32_e32 v7, v9, v2
	v_fmac_f32_e32 v8, v10, v2
                                        ; implicit-def: $vgpr9
                                        ; implicit-def: $vgpr10
                                        ; implicit-def: $vgpr2
	s_delay_alu instid0(VALU_DEP_3) | instskip(NEXT) | instid1(VALU_DEP_1)
	v_ashrrev_i32_e32 v12, 31, v11
	v_lshlrev_b64 v[11:12], 3, v[11:12]
	s_delay_alu instid0(VALU_DEP_1) | instskip(NEXT) | instid1(VALU_DEP_2)
	v_add_co_u32 v0, vcc_lo, s2, v11
	v_add_co_ci_u32_e32 v1, vcc_lo, s3, v12, vcc_lo
                                        ; implicit-def: $vgpr11
                                        ; implicit-def: $vgpr12
	global_store_b128 v[0:1], v[5:8], off
                                        ; implicit-def: $vgpr1
                                        ; implicit-def: $vgpr0
.LBB204_31:
	s_and_not1_saveexec_b32 s0, s0
	s_cbranch_execz .LBB204_33
; %bb.32:
	v_lshlrev_b32_e32 v5, 1, v1
	v_mul_f32_e64 v15, v4, -v10
	v_mul_f32_e32 v1, v4, v9
	v_mul_f32_e64 v4, v3, -v10
	v_mul_f32_e32 v3, v3, v9
	s_delay_alu instid0(VALU_DEP_4) | instskip(NEXT) | instid1(VALU_DEP_3)
	v_fmac_f32_e32 v15, v9, v0
	v_fmac_f32_e32 v4, v9, v2
	v_ashrrev_i32_e32 v6, 31, v5
	s_delay_alu instid0(VALU_DEP_4) | instskip(NEXT) | instid1(VALU_DEP_2)
	v_fmac_f32_e32 v3, v10, v2
	v_lshlrev_b64 v[5:6], 3, v[5:6]
	s_delay_alu instid0(VALU_DEP_1) | instskip(NEXT) | instid1(VALU_DEP_2)
	v_add_co_u32 v13, vcc_lo, s2, v5
	v_add_co_ci_u32_e32 v14, vcc_lo, s3, v6, vcc_lo
	global_load_b128 v[5:8], v[13:14], off
	s_waitcnt vmcnt(0)
	v_dual_fmac_f32 v4, v11, v7 :: v_dual_fmac_f32 v1, v10, v0
	v_fmac_f32_e32 v15, v11, v5
	v_fmac_f32_e32 v3, v12, v7
	s_delay_alu instid0(VALU_DEP_3) | instskip(NEXT) | instid1(VALU_DEP_4)
	v_fma_f32 v2, -v12, v8, v4
	v_fmac_f32_e32 v1, v12, v5
	s_delay_alu instid0(VALU_DEP_4) | instskip(NEXT) | instid1(VALU_DEP_4)
	v_fma_f32 v0, -v12, v6, v15
	v_fmac_f32_e32 v3, v11, v8
	s_delay_alu instid0(VALU_DEP_3)
	v_fmac_f32_e32 v1, v11, v6
	global_store_b128 v[13:14], v[0:3], off
.LBB204_33:
	s_nop 0
	s_sendmsg sendmsg(MSG_DEALLOC_VGPRS)
	s_endpgm
	.section	.rodata,"a",@progbits
	.p2align	6, 0x0
	.amdhsa_kernel _ZN9rocsparseL19gebsrmvn_2xn_kernelILj128ELj12ELj16E21rocsparse_complex_numIfEEEvi20rocsparse_direction_NS_24const_host_device_scalarIT2_EEPKiS8_PKS5_SA_S6_PS5_21rocsparse_index_base_b
		.amdhsa_group_segment_fixed_size 0
		.amdhsa_private_segment_fixed_size 0
		.amdhsa_kernarg_size 72
		.amdhsa_user_sgpr_count 15
		.amdhsa_user_sgpr_dispatch_ptr 0
		.amdhsa_user_sgpr_queue_ptr 0
		.amdhsa_user_sgpr_kernarg_segment_ptr 1
		.amdhsa_user_sgpr_dispatch_id 0
		.amdhsa_user_sgpr_private_segment_size 0
		.amdhsa_wavefront_size32 1
		.amdhsa_uses_dynamic_stack 0
		.amdhsa_enable_private_segment 0
		.amdhsa_system_sgpr_workgroup_id_x 1
		.amdhsa_system_sgpr_workgroup_id_y 0
		.amdhsa_system_sgpr_workgroup_id_z 0
		.amdhsa_system_sgpr_workgroup_info 0
		.amdhsa_system_vgpr_workitem_id 0
		.amdhsa_next_free_vgpr 44
		.amdhsa_next_free_sgpr 16
		.amdhsa_reserve_vcc 1
		.amdhsa_float_round_mode_32 0
		.amdhsa_float_round_mode_16_64 0
		.amdhsa_float_denorm_mode_32 3
		.amdhsa_float_denorm_mode_16_64 3
		.amdhsa_dx10_clamp 1
		.amdhsa_ieee_mode 1
		.amdhsa_fp16_overflow 0
		.amdhsa_workgroup_processor_mode 1
		.amdhsa_memory_ordered 1
		.amdhsa_forward_progress 0
		.amdhsa_shared_vgpr_count 0
		.amdhsa_exception_fp_ieee_invalid_op 0
		.amdhsa_exception_fp_denorm_src 0
		.amdhsa_exception_fp_ieee_div_zero 0
		.amdhsa_exception_fp_ieee_overflow 0
		.amdhsa_exception_fp_ieee_underflow 0
		.amdhsa_exception_fp_ieee_inexact 0
		.amdhsa_exception_int_div_zero 0
	.end_amdhsa_kernel
	.section	.text._ZN9rocsparseL19gebsrmvn_2xn_kernelILj128ELj12ELj16E21rocsparse_complex_numIfEEEvi20rocsparse_direction_NS_24const_host_device_scalarIT2_EEPKiS8_PKS5_SA_S6_PS5_21rocsparse_index_base_b,"axG",@progbits,_ZN9rocsparseL19gebsrmvn_2xn_kernelILj128ELj12ELj16E21rocsparse_complex_numIfEEEvi20rocsparse_direction_NS_24const_host_device_scalarIT2_EEPKiS8_PKS5_SA_S6_PS5_21rocsparse_index_base_b,comdat
.Lfunc_end204:
	.size	_ZN9rocsparseL19gebsrmvn_2xn_kernelILj128ELj12ELj16E21rocsparse_complex_numIfEEEvi20rocsparse_direction_NS_24const_host_device_scalarIT2_EEPKiS8_PKS5_SA_S6_PS5_21rocsparse_index_base_b, .Lfunc_end204-_ZN9rocsparseL19gebsrmvn_2xn_kernelILj128ELj12ELj16E21rocsparse_complex_numIfEEEvi20rocsparse_direction_NS_24const_host_device_scalarIT2_EEPKiS8_PKS5_SA_S6_PS5_21rocsparse_index_base_b
                                        ; -- End function
	.section	.AMDGPU.csdata,"",@progbits
; Kernel info:
; codeLenInByte = 2196
; NumSgprs: 18
; NumVgprs: 44
; ScratchSize: 0
; MemoryBound: 0
; FloatMode: 240
; IeeeMode: 1
; LDSByteSize: 0 bytes/workgroup (compile time only)
; SGPRBlocks: 2
; VGPRBlocks: 5
; NumSGPRsForWavesPerEU: 18
; NumVGPRsForWavesPerEU: 44
; Occupancy: 16
; WaveLimiterHint : 1
; COMPUTE_PGM_RSRC2:SCRATCH_EN: 0
; COMPUTE_PGM_RSRC2:USER_SGPR: 15
; COMPUTE_PGM_RSRC2:TRAP_HANDLER: 0
; COMPUTE_PGM_RSRC2:TGID_X_EN: 1
; COMPUTE_PGM_RSRC2:TGID_Y_EN: 0
; COMPUTE_PGM_RSRC2:TGID_Z_EN: 0
; COMPUTE_PGM_RSRC2:TIDIG_COMP_CNT: 0
	.section	.text._ZN9rocsparseL19gebsrmvn_2xn_kernelILj128ELj12ELj32E21rocsparse_complex_numIfEEEvi20rocsparse_direction_NS_24const_host_device_scalarIT2_EEPKiS8_PKS5_SA_S6_PS5_21rocsparse_index_base_b,"axG",@progbits,_ZN9rocsparseL19gebsrmvn_2xn_kernelILj128ELj12ELj32E21rocsparse_complex_numIfEEEvi20rocsparse_direction_NS_24const_host_device_scalarIT2_EEPKiS8_PKS5_SA_S6_PS5_21rocsparse_index_base_b,comdat
	.globl	_ZN9rocsparseL19gebsrmvn_2xn_kernelILj128ELj12ELj32E21rocsparse_complex_numIfEEEvi20rocsparse_direction_NS_24const_host_device_scalarIT2_EEPKiS8_PKS5_SA_S6_PS5_21rocsparse_index_base_b ; -- Begin function _ZN9rocsparseL19gebsrmvn_2xn_kernelILj128ELj12ELj32E21rocsparse_complex_numIfEEEvi20rocsparse_direction_NS_24const_host_device_scalarIT2_EEPKiS8_PKS5_SA_S6_PS5_21rocsparse_index_base_b
	.p2align	8
	.type	_ZN9rocsparseL19gebsrmvn_2xn_kernelILj128ELj12ELj32E21rocsparse_complex_numIfEEEvi20rocsparse_direction_NS_24const_host_device_scalarIT2_EEPKiS8_PKS5_SA_S6_PS5_21rocsparse_index_base_b,@function
_ZN9rocsparseL19gebsrmvn_2xn_kernelILj128ELj12ELj32E21rocsparse_complex_numIfEEEvi20rocsparse_direction_NS_24const_host_device_scalarIT2_EEPKiS8_PKS5_SA_S6_PS5_21rocsparse_index_base_b: ; @_ZN9rocsparseL19gebsrmvn_2xn_kernelILj128ELj12ELj32E21rocsparse_complex_numIfEEEvi20rocsparse_direction_NS_24const_host_device_scalarIT2_EEPKiS8_PKS5_SA_S6_PS5_21rocsparse_index_base_b
; %bb.0:
	s_clause 0x2
	s_load_b64 s[12:13], s[0:1], 0x40
	s_load_b64 s[4:5], s[0:1], 0x8
	;; [unrolled: 1-line block ×3, first 2 shown]
	s_waitcnt lgkmcnt(0)
	s_bitcmp1_b32 s13, 0
	v_mov_b32_e32 v9, s4
	s_cselect_b32 s6, -1, 0
	s_delay_alu instid0(SALU_CYCLE_1)
	s_and_b32 vcc_lo, exec_lo, s6
	s_xor_b32 s6, s6, -1
	s_cbranch_vccz .LBB205_17
; %bb.1:
	v_cndmask_b32_e64 v1, 0, 1, s6
	v_mov_b32_e32 v10, s5
	s_and_not1_b32 vcc_lo, exec_lo, s6
	s_cbranch_vccz .LBB205_18
.LBB205_2:
	s_delay_alu instid0(VALU_DEP_2)
	v_cmp_ne_u32_e32 vcc_lo, 1, v1
	v_mov_b32_e32 v11, s2
	s_cbranch_vccz .LBB205_19
.LBB205_3:
	v_cmp_ne_u32_e32 vcc_lo, 1, v1
	v_mov_b32_e32 v12, s3
	s_cbranch_vccnz .LBB205_5
.LBB205_4:
	v_dual_mov_b32 v1, s2 :: v_dual_mov_b32 v2, s3
	flat_load_b32 v12, v[1:2] offset:4
.LBB205_5:
	s_waitcnt vmcnt(0) lgkmcnt(0)
	v_cmp_eq_f32_e32 vcc_lo, 0, v9
	v_cmp_eq_f32_e64 s2, 0, v10
	s_delay_alu instid0(VALU_DEP_1)
	s_and_b32 s4, vcc_lo, s2
	s_mov_b32 s2, -1
	s_and_saveexec_b32 s3, s4
; %bb.6:
	v_cmp_neq_f32_e32 vcc_lo, 1.0, v11
	v_cmp_neq_f32_e64 s2, 0, v12
	s_delay_alu instid0(VALU_DEP_1) | instskip(NEXT) | instid1(SALU_CYCLE_1)
	s_or_b32 s2, vcc_lo, s2
	s_or_not1_b32 s2, s2, exec_lo
; %bb.7:
	s_or_b32 exec_lo, exec_lo, s3
	s_and_saveexec_b32 s3, s2
	s_cbranch_execz .LBB205_33
; %bb.8:
	s_load_b64 s[2:3], s[0:1], 0x0
	v_lshrrev_b32_e32 v1, 5, v0
	s_delay_alu instid0(VALU_DEP_1) | instskip(SKIP_1) | instid1(VALU_DEP_1)
	v_lshl_or_b32 v1, s15, 2, v1
	s_waitcnt lgkmcnt(0)
	v_cmp_gt_i32_e32 vcc_lo, s2, v1
	s_and_b32 exec_lo, exec_lo, vcc_lo
	s_cbranch_execz .LBB205_33
; %bb.9:
	s_load_b256 s[4:11], s[0:1], 0x10
	v_ashrrev_i32_e32 v2, 31, v1
	v_and_b32_e32 v0, 31, v0
	s_cmp_lg_u32 s3, 0
	s_delay_alu instid0(VALU_DEP_2) | instskip(SKIP_1) | instid1(VALU_DEP_1)
	v_lshlrev_b64 v[2:3], 2, v[1:2]
	s_waitcnt lgkmcnt(0)
	v_add_co_u32 v2, vcc_lo, s4, v2
	s_delay_alu instid0(VALU_DEP_2) | instskip(SKIP_4) | instid1(VALU_DEP_2)
	v_add_co_ci_u32_e32 v3, vcc_lo, s5, v3, vcc_lo
	global_load_b64 v[3:4], v[2:3], off
	s_waitcnt vmcnt(0)
	v_subrev_nc_u32_e32 v2, s12, v3
	v_subrev_nc_u32_e32 v15, s12, v4
	v_add_nc_u32_e32 v2, v2, v0
	s_delay_alu instid0(VALU_DEP_1)
	v_cmp_lt_i32_e64 s2, v2, v15
	s_cbranch_scc0 .LBB205_20
; %bb.10:
	v_dual_mov_b32 v13, 0 :: v_dual_mov_b32 v16, 0
	v_dual_mov_b32 v17, 0 :: v_dual_mov_b32 v14, 0
	s_mov_b32 s3, 0
	s_and_saveexec_b32 s4, s2
	s_cbranch_execz .LBB205_16
; %bb.11:
	v_mul_lo_u32 v4, v3, 24
	v_mul_lo_u32 v18, v2, 24
	s_mul_i32 s5, s12, 24
	v_dual_mov_b32 v5, 0 :: v_dual_mov_b32 v6, v2
	v_dual_mov_b32 v13, 0 :: v_dual_mov_b32 v16, 0
	;; [unrolled: 1-line block ×3, first 2 shown]
	v_mad_u32_u24 v4, v0, 24, v4
	s_delay_alu instid0(VALU_DEP_1)
	v_subrev_nc_u32_e32 v19, s5, v4
	s_mov_b32 s5, 0
.LBB205_12:                             ; =>This Loop Header: Depth=1
                                        ;     Child Loop BB205_13 Depth 2
	v_ashrrev_i32_e32 v7, 31, v6
	s_mov_b32 s13, 0
	s_delay_alu instid0(VALU_DEP_1) | instskip(NEXT) | instid1(VALU_DEP_1)
	v_lshlrev_b64 v[7:8], 2, v[6:7]
	v_add_co_u32 v7, vcc_lo, s6, v7
	s_delay_alu instid0(VALU_DEP_2) | instskip(SKIP_3) | instid1(VALU_DEP_1)
	v_add_co_ci_u32_e32 v8, vcc_lo, s7, v8, vcc_lo
	global_load_b32 v4, v[7:8], off
	s_waitcnt vmcnt(0)
	v_subrev_nc_u32_e32 v4, s12, v4
	v_mul_lo_u32 v7, v4, 12
.LBB205_13:                             ;   Parent Loop BB205_12 Depth=1
                                        ; =>  This Inner Loop Header: Depth=2
	v_add_nc_u32_e32 v4, s13, v19
	v_mov_b32_e32 v8, v5
	s_add_i32 s13, s13, 8
	s_delay_alu instid0(SALU_CYCLE_1) | instskip(NEXT) | instid1(VALU_DEP_2)
	s_cmp_eq_u32 s13, 24
	v_lshlrev_b64 v[20:21], 3, v[4:5]
	s_delay_alu instid0(VALU_DEP_2) | instskip(SKIP_1) | instid1(VALU_DEP_3)
	v_lshlrev_b64 v[22:23], 3, v[7:8]
	v_add_nc_u32_e32 v7, 4, v7
	v_add_co_u32 v40, vcc_lo, s8, v20
	s_delay_alu instid0(VALU_DEP_4) | instskip(NEXT) | instid1(VALU_DEP_4)
	v_add_co_ci_u32_e32 v41, vcc_lo, s9, v21, vcc_lo
	v_add_co_u32 v32, vcc_lo, s10, v22
	v_add_co_ci_u32_e32 v33, vcc_lo, s11, v23, vcc_lo
	global_load_b128 v[20:23], v[40:41], off
	global_load_b128 v[24:27], v[32:33], off
	global_load_b128 v[28:31], v[40:41], off offset:16
	global_load_b128 v[32:35], v[32:33], off offset:16
	s_clause 0x1
	global_load_b128 v[36:39], v[40:41], off offset:32
	global_load_b128 v[40:43], v[40:41], off offset:48
	s_waitcnt vmcnt(4)
	v_fmac_f32_e32 v17, v22, v24
	v_fmac_f32_e32 v13, v21, v24
	;; [unrolled: 1-line block ×3, first 2 shown]
	s_delay_alu instid0(VALU_DEP_3) | instskip(NEXT) | instid1(VALU_DEP_3)
	v_fma_f32 v8, -v23, v25, v17
	v_fmac_f32_e32 v13, v20, v25
	s_waitcnt vmcnt(3)
	s_delay_alu instid0(VALU_DEP_1) | instskip(NEXT) | instid1(VALU_DEP_1)
	v_dual_fmac_f32 v16, v20, v24 :: v_dual_fmac_f32 v13, v29, v26
	v_fma_f32 v4, -v21, v25, v16
	s_delay_alu instid0(VALU_DEP_2) | instskip(NEXT) | instid1(VALU_DEP_2)
	v_dual_fmac_f32 v14, v22, v25 :: v_dual_fmac_f32 v13, v28, v27
	v_fmac_f32_e32 v4, v28, v26
	s_waitcnt vmcnt(1)
	s_delay_alu instid0(VALU_DEP_2) | instskip(SKIP_1) | instid1(VALU_DEP_3)
	v_dual_fmac_f32 v14, v31, v26 :: v_dual_fmac_f32 v13, v37, v32
	v_fmac_f32_e32 v8, v30, v26
	v_fma_f32 v4, -v29, v27, v4
	s_delay_alu instid0(VALU_DEP_3) | instskip(NEXT) | instid1(VALU_DEP_3)
	v_fmac_f32_e32 v13, v36, v33
	v_fma_f32 v8, -v31, v27, v8
	v_fmac_f32_e32 v14, v30, v27
	s_waitcnt vmcnt(0)
	s_delay_alu instid0(VALU_DEP_3) | instskip(NEXT) | instid1(VALU_DEP_3)
	v_dual_fmac_f32 v4, v36, v32 :: v_dual_fmac_f32 v13, v41, v34
	v_fmac_f32_e32 v8, v38, v32
	s_delay_alu instid0(VALU_DEP_3) | instskip(NEXT) | instid1(VALU_DEP_3)
	v_fmac_f32_e32 v14, v39, v32
	v_fma_f32 v4, -v37, v33, v4
	s_delay_alu instid0(VALU_DEP_4) | instskip(NEXT) | instid1(VALU_DEP_4)
	v_fmac_f32_e32 v13, v40, v35
	v_fma_f32 v8, -v39, v33, v8
	s_delay_alu instid0(VALU_DEP_4) | instskip(NEXT) | instid1(VALU_DEP_4)
	v_fmac_f32_e32 v14, v38, v33
	v_fmac_f32_e32 v4, v40, v34
	s_delay_alu instid0(VALU_DEP_3) | instskip(NEXT) | instid1(VALU_DEP_3)
	v_fmac_f32_e32 v8, v42, v34
	v_fmac_f32_e32 v14, v43, v34
	s_delay_alu instid0(VALU_DEP_3) | instskip(NEXT) | instid1(VALU_DEP_3)
	v_fma_f32 v16, -v41, v35, v4
	v_fma_f32 v17, -v43, v35, v8
	s_delay_alu instid0(VALU_DEP_3)
	v_fmac_f32_e32 v14, v42, v35
	s_cbranch_scc0 .LBB205_13
; %bb.14:                               ;   in Loop: Header=BB205_12 Depth=1
	v_add_nc_u32_e32 v6, 32, v6
	v_add_nc_u32_e32 v18, 0x300, v18
	;; [unrolled: 1-line block ×3, first 2 shown]
	s_delay_alu instid0(VALU_DEP_3) | instskip(SKIP_1) | instid1(SALU_CYCLE_1)
	v_cmp_ge_i32_e32 vcc_lo, v6, v15
	s_or_b32 s5, vcc_lo, s5
	s_and_not1_b32 exec_lo, exec_lo, s5
	s_cbranch_execnz .LBB205_12
; %bb.15:
	s_or_b32 exec_lo, exec_lo, s5
.LBB205_16:
	s_delay_alu instid0(SALU_CYCLE_1) | instskip(NEXT) | instid1(SALU_CYCLE_1)
	s_or_b32 exec_lo, exec_lo, s4
	s_and_not1_b32 vcc_lo, exec_lo, s3
	s_cbranch_vccz .LBB205_21
	s_branch .LBB205_28
.LBB205_17:
	v_dual_mov_b32 v1, s4 :: v_dual_mov_b32 v2, s5
	flat_load_b32 v9, v[1:2]
	v_cndmask_b32_e64 v1, 0, 1, s6
	v_mov_b32_e32 v10, s5
	s_and_not1_b32 vcc_lo, exec_lo, s6
	s_cbranch_vccnz .LBB205_2
.LBB205_18:
	v_dual_mov_b32 v2, s4 :: v_dual_mov_b32 v3, s5
	flat_load_b32 v10, v[2:3] offset:4
	v_cmp_ne_u32_e32 vcc_lo, 1, v1
	v_mov_b32_e32 v11, s2
	s_cbranch_vccnz .LBB205_3
.LBB205_19:
	v_dual_mov_b32 v2, s2 :: v_dual_mov_b32 v3, s3
	flat_load_b32 v11, v[2:3]
	v_cmp_ne_u32_e32 vcc_lo, 1, v1
	v_mov_b32_e32 v12, s3
	s_cbranch_vccz .LBB205_4
	s_branch .LBB205_5
.LBB205_20:
                                        ; implicit-def: $vgpr13
                                        ; implicit-def: $vgpr16
                                        ; implicit-def: $vgpr17
                                        ; implicit-def: $vgpr14
.LBB205_21:
	v_dual_mov_b32 v13, 0 :: v_dual_mov_b32 v16, 0
	v_dual_mov_b32 v17, 0 :: v_dual_mov_b32 v14, 0
	s_delay_alu instid0(VALU_DEP_3)
	s_and_saveexec_b32 s3, s2
	s_cbranch_execz .LBB205_27
; %bb.22:
	v_mul_lo_u32 v3, v3, 24
	v_mul_lo_u32 v5, v2, 24
	s_mul_i32 s2, s12, 24
	v_dual_mov_b32 v4, 0 :: v_dual_mov_b32 v13, 0
	v_dual_mov_b32 v16, 0 :: v_dual_mov_b32 v17, 0
	v_mov_b32_e32 v14, 0
	v_mad_u32_u24 v3, v0, 24, v3
	s_delay_alu instid0(VALU_DEP_1)
	v_subrev_nc_u32_e32 v6, s2, v3
	s_mov_b32 s2, 0
.LBB205_23:                             ; =>This Loop Header: Depth=1
                                        ;     Child Loop BB205_24 Depth 2
	v_ashrrev_i32_e32 v3, 31, v2
	s_mov_b32 s4, 0
	s_delay_alu instid0(VALU_DEP_1) | instskip(NEXT) | instid1(VALU_DEP_1)
	v_lshlrev_b64 v[7:8], 2, v[2:3]
	v_add_co_u32 v7, vcc_lo, s6, v7
	s_delay_alu instid0(VALU_DEP_2) | instskip(SKIP_3) | instid1(VALU_DEP_1)
	v_add_co_ci_u32_e32 v8, vcc_lo, s7, v8, vcc_lo
	global_load_b32 v3, v[7:8], off
	s_waitcnt vmcnt(0)
	v_subrev_nc_u32_e32 v3, s12, v3
	v_mul_lo_u32 v7, v3, 12
.LBB205_24:                             ;   Parent Loop BB205_23 Depth=1
                                        ; =>  This Inner Loop Header: Depth=2
	v_add_nc_u32_e32 v3, s4, v6
	s_delay_alu instid0(VALU_DEP_1) | instskip(NEXT) | instid1(VALU_DEP_3)
	v_lshlrev_b64 v[18:19], 3, v[3:4]
	v_add_nc_u32_e32 v3, s4, v7
	s_delay_alu instid0(VALU_DEP_1) | instskip(SKIP_1) | instid1(VALU_DEP_4)
	v_lshlrev_b64 v[22:23], 3, v[3:4]
	v_add3_u32 v3, v5, s4, 12
	v_add_co_u32 v24, vcc_lo, s8, v18
	v_add_co_ci_u32_e32 v25, vcc_lo, s9, v19, vcc_lo
	s_delay_alu instid0(VALU_DEP_3)
	v_lshlrev_b64 v[26:27], 3, v[3:4]
	v_add_co_u32 v30, vcc_lo, s10, v22
	v_add_co_ci_u32_e32 v31, vcc_lo, s11, v23, vcc_lo
	global_load_b128 v[18:21], v[24:25], off offset:16
	v_add_co_u32 v38, vcc_lo, s8, v26
	v_add_co_ci_u32_e32 v39, vcc_lo, s9, v27, vcc_lo
	global_load_b128 v[22:25], v[24:25], off
	s_clause 0x1
	global_load_b128 v[26:29], v[30:31], off
	global_load_b128 v[30:33], v[30:31], off offset:16
	s_clause 0x1
	global_load_b128 v[34:37], v[38:39], off
	global_load_b128 v[38:41], v[38:39], off offset:16
	s_add_i32 s4, s4, 4
	s_delay_alu instid0(SALU_CYCLE_1) | instskip(SKIP_4) | instid1(VALU_DEP_2)
	s_cmp_eq_u32 s4, 12
	s_waitcnt vmcnt(3)
	v_fmac_f32_e32 v16, v22, v26
	s_waitcnt vmcnt(1)
	v_fmac_f32_e32 v14, v35, v26
	v_fma_f32 v3, -v23, v27, v16
	s_delay_alu instid0(VALU_DEP_2) | instskip(NEXT) | instid1(VALU_DEP_1)
	v_fmac_f32_e32 v14, v34, v27
	v_dual_fmac_f32 v17, v34, v26 :: v_dual_fmac_f32 v14, v37, v28
	s_delay_alu instid0(VALU_DEP_1) | instskip(NEXT) | instid1(VALU_DEP_2)
	v_fma_f32 v8, -v35, v27, v17
	v_dual_fmac_f32 v13, v23, v26 :: v_dual_fmac_f32 v14, v36, v29
	s_delay_alu instid0(VALU_DEP_1) | instskip(SKIP_1) | instid1(VALU_DEP_2)
	v_dual_fmac_f32 v8, v36, v28 :: v_dual_fmac_f32 v13, v22, v27
	s_waitcnt vmcnt(0)
	v_fmac_f32_e32 v14, v39, v30
	s_delay_alu instid0(VALU_DEP_2) | instskip(SKIP_1) | instid1(VALU_DEP_3)
	v_fma_f32 v8, -v37, v29, v8
	v_fmac_f32_e32 v3, v24, v28
	v_dual_fmac_f32 v13, v25, v28 :: v_dual_fmac_f32 v14, v38, v31
	s_delay_alu instid0(VALU_DEP_3) | instskip(NEXT) | instid1(VALU_DEP_3)
	v_fmac_f32_e32 v8, v38, v30
	v_fma_f32 v3, -v25, v29, v3
	s_delay_alu instid0(VALU_DEP_3) | instskip(NEXT) | instid1(VALU_DEP_3)
	v_dual_fmac_f32 v13, v24, v29 :: v_dual_fmac_f32 v14, v41, v32
	v_fma_f32 v8, -v39, v31, v8
	s_delay_alu instid0(VALU_DEP_3) | instskip(NEXT) | instid1(VALU_DEP_3)
	v_fmac_f32_e32 v3, v18, v30
	v_dual_fmac_f32 v13, v19, v30 :: v_dual_fmac_f32 v14, v40, v33
	s_delay_alu instid0(VALU_DEP_3) | instskip(NEXT) | instid1(VALU_DEP_3)
	v_fmac_f32_e32 v8, v40, v32
	v_fma_f32 v3, -v19, v31, v3
	s_delay_alu instid0(VALU_DEP_3) | instskip(NEXT) | instid1(VALU_DEP_3)
	v_fmac_f32_e32 v13, v18, v31
	v_fma_f32 v17, -v41, v33, v8
	s_delay_alu instid0(VALU_DEP_3) | instskip(NEXT) | instid1(VALU_DEP_3)
	v_fmac_f32_e32 v3, v20, v32
	v_fmac_f32_e32 v13, v21, v32
	s_delay_alu instid0(VALU_DEP_2) | instskip(NEXT) | instid1(VALU_DEP_2)
	v_fma_f32 v16, -v21, v33, v3
	v_fmac_f32_e32 v13, v20, v33
	s_cbranch_scc0 .LBB205_24
; %bb.25:                               ;   in Loop: Header=BB205_23 Depth=1
	v_add_nc_u32_e32 v2, 32, v2
	v_add_nc_u32_e32 v5, 0x300, v5
	;; [unrolled: 1-line block ×3, first 2 shown]
	s_delay_alu instid0(VALU_DEP_3) | instskip(SKIP_1) | instid1(SALU_CYCLE_1)
	v_cmp_ge_i32_e32 vcc_lo, v2, v15
	s_or_b32 s2, vcc_lo, s2
	s_and_not1_b32 exec_lo, exec_lo, s2
	s_cbranch_execnz .LBB205_23
; %bb.26:
	s_or_b32 exec_lo, exec_lo, s2
.LBB205_27:
	s_delay_alu instid0(SALU_CYCLE_1)
	s_or_b32 exec_lo, exec_lo, s3
.LBB205_28:
	v_mbcnt_lo_u32_b32 v2, -1, 0
	s_delay_alu instid0(VALU_DEP_1) | instskip(SKIP_2) | instid1(VALU_DEP_3)
	v_xor_b32_e32 v3, 16, v2
	v_xor_b32_e32 v7, 8, v2
	v_xor_b32_e32 v15, 4, v2
	v_cmp_gt_i32_e32 vcc_lo, 32, v3
	v_cndmask_b32_e32 v3, v2, v3, vcc_lo
	s_delay_alu instid0(VALU_DEP_4) | instskip(NEXT) | instid1(VALU_DEP_2)
	v_cmp_gt_i32_e32 vcc_lo, 32, v7
	v_lshlrev_b32_e32 v3, 2, v3
	ds_bpermute_b32 v6, v3, v17
	s_waitcnt lgkmcnt(0)
	v_add_f32_e32 v6, v17, v6
	ds_bpermute_b32 v4, v3, v16
	ds_bpermute_b32 v5, v3, v13
	;; [unrolled: 1-line block ×3, first 2 shown]
	s_waitcnt lgkmcnt(2)
	v_dual_add_f32 v4, v16, v4 :: v_dual_cndmask_b32 v7, v2, v7
	s_waitcnt lgkmcnt(0)
	v_add_f32_e32 v3, v14, v3
	v_cmp_gt_i32_e32 vcc_lo, 32, v15
	s_delay_alu instid0(VALU_DEP_3)
	v_lshlrev_b32_e32 v7, 2, v7
	v_cndmask_b32_e32 v15, v2, v15, vcc_lo
	ds_bpermute_b32 v14, v7, v6
	s_waitcnt lgkmcnt(0)
	v_add_f32_e32 v6, v6, v14
	ds_bpermute_b32 v8, v7, v4
	s_waitcnt lgkmcnt(0)
	v_dual_add_f32 v4, v4, v8 :: v_dual_lshlrev_b32 v15, 2, v15
	v_add_f32_e32 v5, v13, v5
	ds_bpermute_b32 v13, v7, v5
	ds_bpermute_b32 v7, v7, v3
	s_waitcnt lgkmcnt(0)
	v_add_f32_e32 v3, v3, v7
	ds_bpermute_b32 v7, v15, v4
	s_waitcnt lgkmcnt(0)
	v_dual_add_f32 v4, v4, v7 :: v_dual_add_f32 v5, v5, v13
	ds_bpermute_b32 v13, v15, v6
	s_waitcnt lgkmcnt(0)
	v_add_f32_e32 v6, v6, v13
	ds_bpermute_b32 v8, v15, v5
	ds_bpermute_b32 v14, v15, v3
	v_xor_b32_e32 v15, 2, v2
	s_delay_alu instid0(VALU_DEP_1) | instskip(SKIP_1) | instid1(VALU_DEP_1)
	v_cmp_gt_i32_e32 vcc_lo, 32, v15
	v_cndmask_b32_e32 v15, v2, v15, vcc_lo
	v_lshlrev_b32_e32 v15, 2, v15
	s_waitcnt lgkmcnt(0)
	v_add_f32_e32 v3, v3, v14
	ds_bpermute_b32 v7, v15, v4
	v_add_f32_e32 v5, v5, v8
	ds_bpermute_b32 v13, v15, v6
	ds_bpermute_b32 v14, v15, v3
	s_waitcnt lgkmcnt(2)
	v_add_f32_e32 v4, v4, v7
	ds_bpermute_b32 v8, v15, v5
	v_xor_b32_e32 v15, 1, v2
	s_waitcnt lgkmcnt(1)
	v_add_f32_e32 v3, v3, v14
	s_delay_alu instid0(VALU_DEP_2) | instskip(SKIP_2) | instid1(VALU_DEP_2)
	v_cmp_gt_i32_e32 vcc_lo, 32, v15
	v_cndmask_b32_e32 v2, v2, v15, vcc_lo
	v_cmp_eq_u32_e32 vcc_lo, 31, v0
	v_dual_add_f32 v2, v6, v13 :: v_dual_lshlrev_b32 v15, 2, v2
	s_waitcnt lgkmcnt(0)
	v_add_f32_e32 v5, v5, v8
	ds_bpermute_b32 v8, v15, v4
	ds_bpermute_b32 v6, v15, v2
	;; [unrolled: 1-line block ×4, first 2 shown]
	s_and_b32 exec_lo, exec_lo, vcc_lo
	s_cbranch_execz .LBB205_33
; %bb.29:
	s_load_b64 s[2:3], s[0:1], 0x38
	v_cmp_eq_f32_e32 vcc_lo, 0, v11
	v_cmp_eq_f32_e64 s0, 0, v12
	s_waitcnt lgkmcnt(0)
	v_dual_add_f32 v0, v4, v8 :: v_dual_add_f32 v3, v3, v7
	v_add_f32_e32 v4, v5, v13
	v_add_f32_e32 v2, v2, v6
	s_and_b32 s0, vcc_lo, s0
	s_delay_alu instid0(SALU_CYCLE_1) | instskip(NEXT) | instid1(SALU_CYCLE_1)
	s_and_saveexec_b32 s1, s0
	s_xor_b32 s0, exec_lo, s1
	s_cbranch_execz .LBB205_31
; %bb.30:
	v_mul_f32_e64 v5, v4, -v10
	v_mul_f32_e32 v6, v4, v9
	v_mul_f32_e64 v7, v3, -v10
	v_mul_f32_e32 v8, v3, v9
                                        ; implicit-def: $vgpr4
                                        ; implicit-def: $vgpr3
	s_delay_alu instid0(VALU_DEP_4) | instskip(NEXT) | instid1(VALU_DEP_4)
	v_fmac_f32_e32 v5, v9, v0
	v_dual_fmac_f32 v6, v10, v0 :: v_dual_lshlrev_b32 v11, 1, v1
	s_delay_alu instid0(VALU_DEP_4) | instskip(NEXT) | instid1(VALU_DEP_4)
	v_fmac_f32_e32 v7, v9, v2
	v_fmac_f32_e32 v8, v10, v2
                                        ; implicit-def: $vgpr9
                                        ; implicit-def: $vgpr10
                                        ; implicit-def: $vgpr2
	s_delay_alu instid0(VALU_DEP_3) | instskip(NEXT) | instid1(VALU_DEP_1)
	v_ashrrev_i32_e32 v12, 31, v11
	v_lshlrev_b64 v[11:12], 3, v[11:12]
	s_delay_alu instid0(VALU_DEP_1) | instskip(NEXT) | instid1(VALU_DEP_2)
	v_add_co_u32 v0, vcc_lo, s2, v11
	v_add_co_ci_u32_e32 v1, vcc_lo, s3, v12, vcc_lo
                                        ; implicit-def: $vgpr11
                                        ; implicit-def: $vgpr12
	global_store_b128 v[0:1], v[5:8], off
                                        ; implicit-def: $vgpr1
                                        ; implicit-def: $vgpr0
.LBB205_31:
	s_and_not1_saveexec_b32 s0, s0
	s_cbranch_execz .LBB205_33
; %bb.32:
	v_lshlrev_b32_e32 v5, 1, v1
	v_mul_f32_e64 v15, v4, -v10
	v_mul_f32_e32 v1, v4, v9
	v_mul_f32_e64 v4, v3, -v10
	v_mul_f32_e32 v3, v3, v9
	s_delay_alu instid0(VALU_DEP_4) | instskip(NEXT) | instid1(VALU_DEP_3)
	v_fmac_f32_e32 v15, v9, v0
	v_fmac_f32_e32 v4, v9, v2
	v_ashrrev_i32_e32 v6, 31, v5
	s_delay_alu instid0(VALU_DEP_4) | instskip(NEXT) | instid1(VALU_DEP_2)
	v_fmac_f32_e32 v3, v10, v2
	v_lshlrev_b64 v[5:6], 3, v[5:6]
	s_delay_alu instid0(VALU_DEP_1) | instskip(NEXT) | instid1(VALU_DEP_2)
	v_add_co_u32 v13, vcc_lo, s2, v5
	v_add_co_ci_u32_e32 v14, vcc_lo, s3, v6, vcc_lo
	global_load_b128 v[5:8], v[13:14], off
	s_waitcnt vmcnt(0)
	v_dual_fmac_f32 v4, v11, v7 :: v_dual_fmac_f32 v1, v10, v0
	v_fmac_f32_e32 v15, v11, v5
	v_fmac_f32_e32 v3, v12, v7
	s_delay_alu instid0(VALU_DEP_3) | instskip(NEXT) | instid1(VALU_DEP_4)
	v_fma_f32 v2, -v12, v8, v4
	v_fmac_f32_e32 v1, v12, v5
	s_delay_alu instid0(VALU_DEP_4) | instskip(NEXT) | instid1(VALU_DEP_4)
	v_fma_f32 v0, -v12, v6, v15
	v_fmac_f32_e32 v3, v11, v8
	s_delay_alu instid0(VALU_DEP_3)
	v_fmac_f32_e32 v1, v11, v6
	global_store_b128 v[13:14], v[0:3], off
.LBB205_33:
	s_nop 0
	s_sendmsg sendmsg(MSG_DEALLOC_VGPRS)
	s_endpgm
	.section	.rodata,"a",@progbits
	.p2align	6, 0x0
	.amdhsa_kernel _ZN9rocsparseL19gebsrmvn_2xn_kernelILj128ELj12ELj32E21rocsparse_complex_numIfEEEvi20rocsparse_direction_NS_24const_host_device_scalarIT2_EEPKiS8_PKS5_SA_S6_PS5_21rocsparse_index_base_b
		.amdhsa_group_segment_fixed_size 0
		.amdhsa_private_segment_fixed_size 0
		.amdhsa_kernarg_size 72
		.amdhsa_user_sgpr_count 15
		.amdhsa_user_sgpr_dispatch_ptr 0
		.amdhsa_user_sgpr_queue_ptr 0
		.amdhsa_user_sgpr_kernarg_segment_ptr 1
		.amdhsa_user_sgpr_dispatch_id 0
		.amdhsa_user_sgpr_private_segment_size 0
		.amdhsa_wavefront_size32 1
		.amdhsa_uses_dynamic_stack 0
		.amdhsa_enable_private_segment 0
		.amdhsa_system_sgpr_workgroup_id_x 1
		.amdhsa_system_sgpr_workgroup_id_y 0
		.amdhsa_system_sgpr_workgroup_id_z 0
		.amdhsa_system_sgpr_workgroup_info 0
		.amdhsa_system_vgpr_workitem_id 0
		.amdhsa_next_free_vgpr 44
		.amdhsa_next_free_sgpr 16
		.amdhsa_reserve_vcc 1
		.amdhsa_float_round_mode_32 0
		.amdhsa_float_round_mode_16_64 0
		.amdhsa_float_denorm_mode_32 3
		.amdhsa_float_denorm_mode_16_64 3
		.amdhsa_dx10_clamp 1
		.amdhsa_ieee_mode 1
		.amdhsa_fp16_overflow 0
		.amdhsa_workgroup_processor_mode 1
		.amdhsa_memory_ordered 1
		.amdhsa_forward_progress 0
		.amdhsa_shared_vgpr_count 0
		.amdhsa_exception_fp_ieee_invalid_op 0
		.amdhsa_exception_fp_denorm_src 0
		.amdhsa_exception_fp_ieee_div_zero 0
		.amdhsa_exception_fp_ieee_overflow 0
		.amdhsa_exception_fp_ieee_underflow 0
		.amdhsa_exception_fp_ieee_inexact 0
		.amdhsa_exception_int_div_zero 0
	.end_amdhsa_kernel
	.section	.text._ZN9rocsparseL19gebsrmvn_2xn_kernelILj128ELj12ELj32E21rocsparse_complex_numIfEEEvi20rocsparse_direction_NS_24const_host_device_scalarIT2_EEPKiS8_PKS5_SA_S6_PS5_21rocsparse_index_base_b,"axG",@progbits,_ZN9rocsparseL19gebsrmvn_2xn_kernelILj128ELj12ELj32E21rocsparse_complex_numIfEEEvi20rocsparse_direction_NS_24const_host_device_scalarIT2_EEPKiS8_PKS5_SA_S6_PS5_21rocsparse_index_base_b,comdat
.Lfunc_end205:
	.size	_ZN9rocsparseL19gebsrmvn_2xn_kernelILj128ELj12ELj32E21rocsparse_complex_numIfEEEvi20rocsparse_direction_NS_24const_host_device_scalarIT2_EEPKiS8_PKS5_SA_S6_PS5_21rocsparse_index_base_b, .Lfunc_end205-_ZN9rocsparseL19gebsrmvn_2xn_kernelILj128ELj12ELj32E21rocsparse_complex_numIfEEEvi20rocsparse_direction_NS_24const_host_device_scalarIT2_EEPKiS8_PKS5_SA_S6_PS5_21rocsparse_index_base_b
                                        ; -- End function
	.section	.AMDGPU.csdata,"",@progbits
; Kernel info:
; codeLenInByte = 2280
; NumSgprs: 18
; NumVgprs: 44
; ScratchSize: 0
; MemoryBound: 0
; FloatMode: 240
; IeeeMode: 1
; LDSByteSize: 0 bytes/workgroup (compile time only)
; SGPRBlocks: 2
; VGPRBlocks: 5
; NumSGPRsForWavesPerEU: 18
; NumVGPRsForWavesPerEU: 44
; Occupancy: 16
; WaveLimiterHint : 1
; COMPUTE_PGM_RSRC2:SCRATCH_EN: 0
; COMPUTE_PGM_RSRC2:USER_SGPR: 15
; COMPUTE_PGM_RSRC2:TRAP_HANDLER: 0
; COMPUTE_PGM_RSRC2:TGID_X_EN: 1
; COMPUTE_PGM_RSRC2:TGID_Y_EN: 0
; COMPUTE_PGM_RSRC2:TGID_Z_EN: 0
; COMPUTE_PGM_RSRC2:TIDIG_COMP_CNT: 0
	.section	.text._ZN9rocsparseL19gebsrmvn_2xn_kernelILj128ELj12ELj64E21rocsparse_complex_numIfEEEvi20rocsparse_direction_NS_24const_host_device_scalarIT2_EEPKiS8_PKS5_SA_S6_PS5_21rocsparse_index_base_b,"axG",@progbits,_ZN9rocsparseL19gebsrmvn_2xn_kernelILj128ELj12ELj64E21rocsparse_complex_numIfEEEvi20rocsparse_direction_NS_24const_host_device_scalarIT2_EEPKiS8_PKS5_SA_S6_PS5_21rocsparse_index_base_b,comdat
	.globl	_ZN9rocsparseL19gebsrmvn_2xn_kernelILj128ELj12ELj64E21rocsparse_complex_numIfEEEvi20rocsparse_direction_NS_24const_host_device_scalarIT2_EEPKiS8_PKS5_SA_S6_PS5_21rocsparse_index_base_b ; -- Begin function _ZN9rocsparseL19gebsrmvn_2xn_kernelILj128ELj12ELj64E21rocsparse_complex_numIfEEEvi20rocsparse_direction_NS_24const_host_device_scalarIT2_EEPKiS8_PKS5_SA_S6_PS5_21rocsparse_index_base_b
	.p2align	8
	.type	_ZN9rocsparseL19gebsrmvn_2xn_kernelILj128ELj12ELj64E21rocsparse_complex_numIfEEEvi20rocsparse_direction_NS_24const_host_device_scalarIT2_EEPKiS8_PKS5_SA_S6_PS5_21rocsparse_index_base_b,@function
_ZN9rocsparseL19gebsrmvn_2xn_kernelILj128ELj12ELj64E21rocsparse_complex_numIfEEEvi20rocsparse_direction_NS_24const_host_device_scalarIT2_EEPKiS8_PKS5_SA_S6_PS5_21rocsparse_index_base_b: ; @_ZN9rocsparseL19gebsrmvn_2xn_kernelILj128ELj12ELj64E21rocsparse_complex_numIfEEEvi20rocsparse_direction_NS_24const_host_device_scalarIT2_EEPKiS8_PKS5_SA_S6_PS5_21rocsparse_index_base_b
; %bb.0:
	s_clause 0x2
	s_load_b64 s[12:13], s[0:1], 0x40
	s_load_b64 s[4:5], s[0:1], 0x8
	;; [unrolled: 1-line block ×3, first 2 shown]
	s_waitcnt lgkmcnt(0)
	s_bitcmp1_b32 s13, 0
	v_mov_b32_e32 v9, s4
	s_cselect_b32 s6, -1, 0
	s_delay_alu instid0(SALU_CYCLE_1)
	s_and_b32 vcc_lo, exec_lo, s6
	s_xor_b32 s6, s6, -1
	s_cbranch_vccz .LBB206_17
; %bb.1:
	v_cndmask_b32_e64 v1, 0, 1, s6
	v_mov_b32_e32 v10, s5
	s_and_not1_b32 vcc_lo, exec_lo, s6
	s_cbranch_vccz .LBB206_18
.LBB206_2:
	s_delay_alu instid0(VALU_DEP_2)
	v_cmp_ne_u32_e32 vcc_lo, 1, v1
	v_mov_b32_e32 v11, s2
	s_cbranch_vccz .LBB206_19
.LBB206_3:
	v_cmp_ne_u32_e32 vcc_lo, 1, v1
	v_mov_b32_e32 v12, s3
	s_cbranch_vccnz .LBB206_5
.LBB206_4:
	v_dual_mov_b32 v1, s2 :: v_dual_mov_b32 v2, s3
	flat_load_b32 v12, v[1:2] offset:4
.LBB206_5:
	s_waitcnt vmcnt(0) lgkmcnt(0)
	v_cmp_eq_f32_e32 vcc_lo, 0, v9
	v_cmp_eq_f32_e64 s2, 0, v10
	s_delay_alu instid0(VALU_DEP_1)
	s_and_b32 s4, vcc_lo, s2
	s_mov_b32 s2, -1
	s_and_saveexec_b32 s3, s4
; %bb.6:
	v_cmp_neq_f32_e32 vcc_lo, 1.0, v11
	v_cmp_neq_f32_e64 s2, 0, v12
	s_delay_alu instid0(VALU_DEP_1) | instskip(NEXT) | instid1(SALU_CYCLE_1)
	s_or_b32 s2, vcc_lo, s2
	s_or_not1_b32 s2, s2, exec_lo
; %bb.7:
	s_or_b32 exec_lo, exec_lo, s3
	s_and_saveexec_b32 s3, s2
	s_cbranch_execz .LBB206_33
; %bb.8:
	s_load_b64 s[2:3], s[0:1], 0x0
	v_lshrrev_b32_e32 v1, 6, v0
	s_delay_alu instid0(VALU_DEP_1) | instskip(SKIP_1) | instid1(VALU_DEP_1)
	v_lshl_or_b32 v1, s15, 1, v1
	s_waitcnt lgkmcnt(0)
	v_cmp_gt_i32_e32 vcc_lo, s2, v1
	s_and_b32 exec_lo, exec_lo, vcc_lo
	s_cbranch_execz .LBB206_33
; %bb.9:
	s_load_b256 s[4:11], s[0:1], 0x10
	v_ashrrev_i32_e32 v2, 31, v1
	v_and_b32_e32 v0, 63, v0
	s_cmp_lg_u32 s3, 0
	s_delay_alu instid0(VALU_DEP_2) | instskip(SKIP_1) | instid1(VALU_DEP_1)
	v_lshlrev_b64 v[2:3], 2, v[1:2]
	s_waitcnt lgkmcnt(0)
	v_add_co_u32 v2, vcc_lo, s4, v2
	s_delay_alu instid0(VALU_DEP_2) | instskip(SKIP_4) | instid1(VALU_DEP_2)
	v_add_co_ci_u32_e32 v3, vcc_lo, s5, v3, vcc_lo
	global_load_b64 v[3:4], v[2:3], off
	s_waitcnt vmcnt(0)
	v_subrev_nc_u32_e32 v2, s12, v3
	v_subrev_nc_u32_e32 v15, s12, v4
	v_add_nc_u32_e32 v2, v2, v0
	s_delay_alu instid0(VALU_DEP_1)
	v_cmp_lt_i32_e64 s2, v2, v15
	s_cbranch_scc0 .LBB206_20
; %bb.10:
	v_dual_mov_b32 v13, 0 :: v_dual_mov_b32 v16, 0
	v_dual_mov_b32 v17, 0 :: v_dual_mov_b32 v14, 0
	s_mov_b32 s3, 0
	s_and_saveexec_b32 s4, s2
	s_cbranch_execz .LBB206_16
; %bb.11:
	v_mul_lo_u32 v4, v3, 24
	v_mul_lo_u32 v18, v2, 24
	s_mul_i32 s5, s12, 24
	v_dual_mov_b32 v5, 0 :: v_dual_mov_b32 v6, v2
	v_dual_mov_b32 v13, 0 :: v_dual_mov_b32 v16, 0
	;; [unrolled: 1-line block ×3, first 2 shown]
	v_mad_u32_u24 v4, v0, 24, v4
	s_delay_alu instid0(VALU_DEP_1)
	v_subrev_nc_u32_e32 v19, s5, v4
	s_mov_b32 s5, 0
.LBB206_12:                             ; =>This Loop Header: Depth=1
                                        ;     Child Loop BB206_13 Depth 2
	v_ashrrev_i32_e32 v7, 31, v6
	s_mov_b32 s13, 0
	s_delay_alu instid0(VALU_DEP_1) | instskip(NEXT) | instid1(VALU_DEP_1)
	v_lshlrev_b64 v[7:8], 2, v[6:7]
	v_add_co_u32 v7, vcc_lo, s6, v7
	s_delay_alu instid0(VALU_DEP_2) | instskip(SKIP_3) | instid1(VALU_DEP_1)
	v_add_co_ci_u32_e32 v8, vcc_lo, s7, v8, vcc_lo
	global_load_b32 v4, v[7:8], off
	s_waitcnt vmcnt(0)
	v_subrev_nc_u32_e32 v4, s12, v4
	v_mul_lo_u32 v7, v4, 12
.LBB206_13:                             ;   Parent Loop BB206_12 Depth=1
                                        ; =>  This Inner Loop Header: Depth=2
	v_add_nc_u32_e32 v4, s13, v19
	v_mov_b32_e32 v8, v5
	s_add_i32 s13, s13, 8
	s_delay_alu instid0(SALU_CYCLE_1) | instskip(NEXT) | instid1(VALU_DEP_2)
	s_cmp_eq_u32 s13, 24
	v_lshlrev_b64 v[20:21], 3, v[4:5]
	s_delay_alu instid0(VALU_DEP_2) | instskip(SKIP_1) | instid1(VALU_DEP_3)
	v_lshlrev_b64 v[22:23], 3, v[7:8]
	v_add_nc_u32_e32 v7, 4, v7
	v_add_co_u32 v40, vcc_lo, s8, v20
	s_delay_alu instid0(VALU_DEP_4) | instskip(NEXT) | instid1(VALU_DEP_4)
	v_add_co_ci_u32_e32 v41, vcc_lo, s9, v21, vcc_lo
	v_add_co_u32 v32, vcc_lo, s10, v22
	v_add_co_ci_u32_e32 v33, vcc_lo, s11, v23, vcc_lo
	global_load_b128 v[20:23], v[40:41], off
	global_load_b128 v[24:27], v[32:33], off
	global_load_b128 v[28:31], v[40:41], off offset:16
	global_load_b128 v[32:35], v[32:33], off offset:16
	s_clause 0x1
	global_load_b128 v[36:39], v[40:41], off offset:32
	global_load_b128 v[40:43], v[40:41], off offset:48
	s_waitcnt vmcnt(4)
	v_fmac_f32_e32 v17, v22, v24
	v_fmac_f32_e32 v13, v21, v24
	;; [unrolled: 1-line block ×3, first 2 shown]
	s_delay_alu instid0(VALU_DEP_3) | instskip(NEXT) | instid1(VALU_DEP_3)
	v_fma_f32 v8, -v23, v25, v17
	v_fmac_f32_e32 v13, v20, v25
	s_waitcnt vmcnt(3)
	s_delay_alu instid0(VALU_DEP_1) | instskip(NEXT) | instid1(VALU_DEP_1)
	v_dual_fmac_f32 v16, v20, v24 :: v_dual_fmac_f32 v13, v29, v26
	v_fma_f32 v4, -v21, v25, v16
	s_delay_alu instid0(VALU_DEP_2) | instskip(NEXT) | instid1(VALU_DEP_2)
	v_dual_fmac_f32 v14, v22, v25 :: v_dual_fmac_f32 v13, v28, v27
	v_fmac_f32_e32 v4, v28, v26
	s_waitcnt vmcnt(1)
	s_delay_alu instid0(VALU_DEP_2) | instskip(SKIP_1) | instid1(VALU_DEP_3)
	v_dual_fmac_f32 v14, v31, v26 :: v_dual_fmac_f32 v13, v37, v32
	v_fmac_f32_e32 v8, v30, v26
	v_fma_f32 v4, -v29, v27, v4
	s_delay_alu instid0(VALU_DEP_3) | instskip(NEXT) | instid1(VALU_DEP_3)
	v_fmac_f32_e32 v13, v36, v33
	v_fma_f32 v8, -v31, v27, v8
	v_fmac_f32_e32 v14, v30, v27
	s_waitcnt vmcnt(0)
	s_delay_alu instid0(VALU_DEP_3) | instskip(NEXT) | instid1(VALU_DEP_3)
	v_dual_fmac_f32 v4, v36, v32 :: v_dual_fmac_f32 v13, v41, v34
	v_fmac_f32_e32 v8, v38, v32
	s_delay_alu instid0(VALU_DEP_3) | instskip(NEXT) | instid1(VALU_DEP_3)
	v_fmac_f32_e32 v14, v39, v32
	v_fma_f32 v4, -v37, v33, v4
	s_delay_alu instid0(VALU_DEP_4) | instskip(NEXT) | instid1(VALU_DEP_4)
	v_fmac_f32_e32 v13, v40, v35
	v_fma_f32 v8, -v39, v33, v8
	s_delay_alu instid0(VALU_DEP_4) | instskip(NEXT) | instid1(VALU_DEP_4)
	v_fmac_f32_e32 v14, v38, v33
	v_fmac_f32_e32 v4, v40, v34
	s_delay_alu instid0(VALU_DEP_3) | instskip(NEXT) | instid1(VALU_DEP_3)
	v_fmac_f32_e32 v8, v42, v34
	v_fmac_f32_e32 v14, v43, v34
	s_delay_alu instid0(VALU_DEP_3) | instskip(NEXT) | instid1(VALU_DEP_3)
	v_fma_f32 v16, -v41, v35, v4
	v_fma_f32 v17, -v43, v35, v8
	s_delay_alu instid0(VALU_DEP_3)
	v_fmac_f32_e32 v14, v42, v35
	s_cbranch_scc0 .LBB206_13
; %bb.14:                               ;   in Loop: Header=BB206_12 Depth=1
	v_add_nc_u32_e32 v6, 64, v6
	v_add_nc_u32_e32 v18, 0x600, v18
	;; [unrolled: 1-line block ×3, first 2 shown]
	s_delay_alu instid0(VALU_DEP_3) | instskip(SKIP_1) | instid1(SALU_CYCLE_1)
	v_cmp_ge_i32_e32 vcc_lo, v6, v15
	s_or_b32 s5, vcc_lo, s5
	s_and_not1_b32 exec_lo, exec_lo, s5
	s_cbranch_execnz .LBB206_12
; %bb.15:
	s_or_b32 exec_lo, exec_lo, s5
.LBB206_16:
	s_delay_alu instid0(SALU_CYCLE_1) | instskip(NEXT) | instid1(SALU_CYCLE_1)
	s_or_b32 exec_lo, exec_lo, s4
	s_and_not1_b32 vcc_lo, exec_lo, s3
	s_cbranch_vccz .LBB206_21
	s_branch .LBB206_28
.LBB206_17:
	v_dual_mov_b32 v1, s4 :: v_dual_mov_b32 v2, s5
	flat_load_b32 v9, v[1:2]
	v_cndmask_b32_e64 v1, 0, 1, s6
	v_mov_b32_e32 v10, s5
	s_and_not1_b32 vcc_lo, exec_lo, s6
	s_cbranch_vccnz .LBB206_2
.LBB206_18:
	v_dual_mov_b32 v2, s4 :: v_dual_mov_b32 v3, s5
	flat_load_b32 v10, v[2:3] offset:4
	v_cmp_ne_u32_e32 vcc_lo, 1, v1
	v_mov_b32_e32 v11, s2
	s_cbranch_vccnz .LBB206_3
.LBB206_19:
	v_dual_mov_b32 v2, s2 :: v_dual_mov_b32 v3, s3
	flat_load_b32 v11, v[2:3]
	v_cmp_ne_u32_e32 vcc_lo, 1, v1
	v_mov_b32_e32 v12, s3
	s_cbranch_vccz .LBB206_4
	s_branch .LBB206_5
.LBB206_20:
                                        ; implicit-def: $vgpr13
                                        ; implicit-def: $vgpr16
                                        ; implicit-def: $vgpr17
                                        ; implicit-def: $vgpr14
.LBB206_21:
	v_dual_mov_b32 v13, 0 :: v_dual_mov_b32 v16, 0
	v_dual_mov_b32 v17, 0 :: v_dual_mov_b32 v14, 0
	s_delay_alu instid0(VALU_DEP_3)
	s_and_saveexec_b32 s3, s2
	s_cbranch_execz .LBB206_27
; %bb.22:
	v_mul_lo_u32 v3, v3, 24
	v_mul_lo_u32 v5, v2, 24
	s_mul_i32 s2, s12, 24
	v_dual_mov_b32 v4, 0 :: v_dual_mov_b32 v13, 0
	v_dual_mov_b32 v16, 0 :: v_dual_mov_b32 v17, 0
	v_mov_b32_e32 v14, 0
	v_mad_u32_u24 v3, v0, 24, v3
	s_delay_alu instid0(VALU_DEP_1)
	v_subrev_nc_u32_e32 v6, s2, v3
	s_mov_b32 s2, 0
.LBB206_23:                             ; =>This Loop Header: Depth=1
                                        ;     Child Loop BB206_24 Depth 2
	v_ashrrev_i32_e32 v3, 31, v2
	s_mov_b32 s4, 0
	s_delay_alu instid0(VALU_DEP_1) | instskip(NEXT) | instid1(VALU_DEP_1)
	v_lshlrev_b64 v[7:8], 2, v[2:3]
	v_add_co_u32 v7, vcc_lo, s6, v7
	s_delay_alu instid0(VALU_DEP_2) | instskip(SKIP_3) | instid1(VALU_DEP_1)
	v_add_co_ci_u32_e32 v8, vcc_lo, s7, v8, vcc_lo
	global_load_b32 v3, v[7:8], off
	s_waitcnt vmcnt(0)
	v_subrev_nc_u32_e32 v3, s12, v3
	v_mul_lo_u32 v7, v3, 12
.LBB206_24:                             ;   Parent Loop BB206_23 Depth=1
                                        ; =>  This Inner Loop Header: Depth=2
	v_add_nc_u32_e32 v3, s4, v6
	s_delay_alu instid0(VALU_DEP_1) | instskip(NEXT) | instid1(VALU_DEP_3)
	v_lshlrev_b64 v[18:19], 3, v[3:4]
	v_add_nc_u32_e32 v3, s4, v7
	s_delay_alu instid0(VALU_DEP_1) | instskip(SKIP_1) | instid1(VALU_DEP_4)
	v_lshlrev_b64 v[22:23], 3, v[3:4]
	v_add3_u32 v3, v5, s4, 12
	v_add_co_u32 v24, vcc_lo, s8, v18
	v_add_co_ci_u32_e32 v25, vcc_lo, s9, v19, vcc_lo
	s_delay_alu instid0(VALU_DEP_3)
	v_lshlrev_b64 v[26:27], 3, v[3:4]
	v_add_co_u32 v30, vcc_lo, s10, v22
	v_add_co_ci_u32_e32 v31, vcc_lo, s11, v23, vcc_lo
	global_load_b128 v[18:21], v[24:25], off offset:16
	v_add_co_u32 v38, vcc_lo, s8, v26
	v_add_co_ci_u32_e32 v39, vcc_lo, s9, v27, vcc_lo
	global_load_b128 v[22:25], v[24:25], off
	s_clause 0x1
	global_load_b128 v[26:29], v[30:31], off
	global_load_b128 v[30:33], v[30:31], off offset:16
	s_clause 0x1
	global_load_b128 v[34:37], v[38:39], off
	global_load_b128 v[38:41], v[38:39], off offset:16
	s_add_i32 s4, s4, 4
	s_delay_alu instid0(SALU_CYCLE_1) | instskip(SKIP_4) | instid1(VALU_DEP_2)
	s_cmp_eq_u32 s4, 12
	s_waitcnt vmcnt(3)
	v_fmac_f32_e32 v16, v22, v26
	s_waitcnt vmcnt(1)
	v_fmac_f32_e32 v14, v35, v26
	v_fma_f32 v3, -v23, v27, v16
	s_delay_alu instid0(VALU_DEP_2) | instskip(NEXT) | instid1(VALU_DEP_1)
	v_fmac_f32_e32 v14, v34, v27
	v_dual_fmac_f32 v17, v34, v26 :: v_dual_fmac_f32 v14, v37, v28
	s_delay_alu instid0(VALU_DEP_1) | instskip(NEXT) | instid1(VALU_DEP_2)
	v_fma_f32 v8, -v35, v27, v17
	v_dual_fmac_f32 v13, v23, v26 :: v_dual_fmac_f32 v14, v36, v29
	s_delay_alu instid0(VALU_DEP_1) | instskip(SKIP_1) | instid1(VALU_DEP_2)
	v_dual_fmac_f32 v8, v36, v28 :: v_dual_fmac_f32 v13, v22, v27
	s_waitcnt vmcnt(0)
	v_fmac_f32_e32 v14, v39, v30
	s_delay_alu instid0(VALU_DEP_2) | instskip(SKIP_1) | instid1(VALU_DEP_3)
	v_fma_f32 v8, -v37, v29, v8
	v_fmac_f32_e32 v3, v24, v28
	v_dual_fmac_f32 v13, v25, v28 :: v_dual_fmac_f32 v14, v38, v31
	s_delay_alu instid0(VALU_DEP_3) | instskip(NEXT) | instid1(VALU_DEP_3)
	v_fmac_f32_e32 v8, v38, v30
	v_fma_f32 v3, -v25, v29, v3
	s_delay_alu instid0(VALU_DEP_3) | instskip(NEXT) | instid1(VALU_DEP_3)
	v_dual_fmac_f32 v13, v24, v29 :: v_dual_fmac_f32 v14, v41, v32
	v_fma_f32 v8, -v39, v31, v8
	s_delay_alu instid0(VALU_DEP_3) | instskip(NEXT) | instid1(VALU_DEP_3)
	v_fmac_f32_e32 v3, v18, v30
	v_dual_fmac_f32 v13, v19, v30 :: v_dual_fmac_f32 v14, v40, v33
	s_delay_alu instid0(VALU_DEP_3) | instskip(NEXT) | instid1(VALU_DEP_3)
	v_fmac_f32_e32 v8, v40, v32
	v_fma_f32 v3, -v19, v31, v3
	s_delay_alu instid0(VALU_DEP_3) | instskip(NEXT) | instid1(VALU_DEP_3)
	v_fmac_f32_e32 v13, v18, v31
	v_fma_f32 v17, -v41, v33, v8
	s_delay_alu instid0(VALU_DEP_3) | instskip(NEXT) | instid1(VALU_DEP_3)
	v_fmac_f32_e32 v3, v20, v32
	v_fmac_f32_e32 v13, v21, v32
	s_delay_alu instid0(VALU_DEP_2) | instskip(NEXT) | instid1(VALU_DEP_2)
	v_fma_f32 v16, -v21, v33, v3
	v_fmac_f32_e32 v13, v20, v33
	s_cbranch_scc0 .LBB206_24
; %bb.25:                               ;   in Loop: Header=BB206_23 Depth=1
	v_add_nc_u32_e32 v2, 64, v2
	v_add_nc_u32_e32 v5, 0x600, v5
	;; [unrolled: 1-line block ×3, first 2 shown]
	s_delay_alu instid0(VALU_DEP_3) | instskip(SKIP_1) | instid1(SALU_CYCLE_1)
	v_cmp_ge_i32_e32 vcc_lo, v2, v15
	s_or_b32 s2, vcc_lo, s2
	s_and_not1_b32 exec_lo, exec_lo, s2
	s_cbranch_execnz .LBB206_23
; %bb.26:
	s_or_b32 exec_lo, exec_lo, s2
.LBB206_27:
	s_delay_alu instid0(SALU_CYCLE_1)
	s_or_b32 exec_lo, exec_lo, s3
.LBB206_28:
	v_mbcnt_lo_u32_b32 v2, -1, 0
	s_delay_alu instid0(VALU_DEP_1) | instskip(SKIP_2) | instid1(VALU_DEP_3)
	v_or_b32_e32 v3, 32, v2
	v_xor_b32_e32 v7, 16, v2
	v_xor_b32_e32 v15, 8, v2
	v_cmp_gt_i32_e32 vcc_lo, 32, v3
	v_cndmask_b32_e32 v3, v2, v3, vcc_lo
	s_delay_alu instid0(VALU_DEP_4) | instskip(NEXT) | instid1(VALU_DEP_2)
	v_cmp_gt_i32_e32 vcc_lo, 32, v7
	v_lshlrev_b32_e32 v3, 2, v3
	ds_bpermute_b32 v6, v3, v17
	s_waitcnt lgkmcnt(0)
	v_add_f32_e32 v6, v17, v6
	ds_bpermute_b32 v4, v3, v16
	ds_bpermute_b32 v5, v3, v13
	;; [unrolled: 1-line block ×3, first 2 shown]
	s_waitcnt lgkmcnt(2)
	v_dual_add_f32 v4, v16, v4 :: v_dual_cndmask_b32 v7, v2, v7
	s_waitcnt lgkmcnt(0)
	v_add_f32_e32 v3, v14, v3
	v_cmp_gt_i32_e32 vcc_lo, 32, v15
	s_delay_alu instid0(VALU_DEP_3)
	v_lshlrev_b32_e32 v7, 2, v7
	v_cndmask_b32_e32 v15, v2, v15, vcc_lo
	ds_bpermute_b32 v14, v7, v6
	s_waitcnt lgkmcnt(0)
	v_add_f32_e32 v6, v6, v14
	ds_bpermute_b32 v8, v7, v4
	s_waitcnt lgkmcnt(0)
	v_dual_add_f32 v4, v4, v8 :: v_dual_lshlrev_b32 v15, 2, v15
	v_add_f32_e32 v5, v13, v5
	ds_bpermute_b32 v13, v7, v5
	ds_bpermute_b32 v7, v7, v3
	s_waitcnt lgkmcnt(0)
	v_add_f32_e32 v3, v3, v7
	ds_bpermute_b32 v7, v15, v4
	s_waitcnt lgkmcnt(0)
	v_dual_add_f32 v4, v4, v7 :: v_dual_add_f32 v5, v5, v13
	ds_bpermute_b32 v13, v15, v6
	s_waitcnt lgkmcnt(0)
	v_add_f32_e32 v6, v6, v13
	ds_bpermute_b32 v8, v15, v5
	ds_bpermute_b32 v14, v15, v3
	v_xor_b32_e32 v15, 4, v2
	s_delay_alu instid0(VALU_DEP_1) | instskip(SKIP_1) | instid1(VALU_DEP_1)
	v_cmp_gt_i32_e32 vcc_lo, 32, v15
	v_cndmask_b32_e32 v15, v2, v15, vcc_lo
	v_lshlrev_b32_e32 v15, 2, v15
	ds_bpermute_b32 v7, v15, v4
	ds_bpermute_b32 v13, v15, v6
	s_waitcnt lgkmcnt(1)
	v_dual_add_f32 v4, v4, v7 :: v_dual_add_f32 v5, v5, v8
	s_waitcnt lgkmcnt(0)
	v_dual_add_f32 v6, v6, v13 :: v_dual_add_f32 v3, v3, v14
	ds_bpermute_b32 v8, v15, v5
	ds_bpermute_b32 v14, v15, v3
	v_xor_b32_e32 v15, 2, v2
	s_delay_alu instid0(VALU_DEP_1) | instskip(SKIP_1) | instid1(VALU_DEP_1)
	v_cmp_gt_i32_e32 vcc_lo, 32, v15
	v_cndmask_b32_e32 v15, v2, v15, vcc_lo
	v_lshlrev_b32_e32 v15, 2, v15
	s_waitcnt lgkmcnt(1)
	v_add_f32_e32 v5, v5, v8
	ds_bpermute_b32 v7, v15, v4
	ds_bpermute_b32 v13, v15, v6
	;; [unrolled: 1-line block ×3, first 2 shown]
	s_waitcnt lgkmcnt(2)
	v_dual_add_f32 v4, v4, v7 :: v_dual_add_f32 v3, v3, v14
	s_waitcnt lgkmcnt(0)
	v_add_f32_e32 v5, v5, v8
	ds_bpermute_b32 v14, v15, v3
	v_xor_b32_e32 v15, 1, v2
	s_delay_alu instid0(VALU_DEP_1) | instskip(SKIP_2) | instid1(VALU_DEP_2)
	v_cmp_gt_i32_e32 vcc_lo, 32, v15
	v_cndmask_b32_e32 v2, v2, v15, vcc_lo
	v_cmp_eq_u32_e32 vcc_lo, 63, v0
	v_dual_add_f32 v2, v6, v13 :: v_dual_lshlrev_b32 v15, 2, v2
	s_waitcnt lgkmcnt(0)
	v_add_f32_e32 v3, v3, v14
	ds_bpermute_b32 v8, v15, v4
	ds_bpermute_b32 v13, v15, v5
	;; [unrolled: 1-line block ×4, first 2 shown]
	s_and_b32 exec_lo, exec_lo, vcc_lo
	s_cbranch_execz .LBB206_33
; %bb.29:
	s_load_b64 s[2:3], s[0:1], 0x38
	v_cmp_eq_f32_e32 vcc_lo, 0, v11
	v_cmp_eq_f32_e64 s0, 0, v12
	s_waitcnt lgkmcnt(0)
	v_dual_add_f32 v0, v4, v8 :: v_dual_add_f32 v3, v3, v7
	v_add_f32_e32 v4, v5, v13
	v_add_f32_e32 v2, v2, v6
	s_and_b32 s0, vcc_lo, s0
	s_delay_alu instid0(SALU_CYCLE_1) | instskip(NEXT) | instid1(SALU_CYCLE_1)
	s_and_saveexec_b32 s1, s0
	s_xor_b32 s0, exec_lo, s1
	s_cbranch_execz .LBB206_31
; %bb.30:
	v_mul_f32_e64 v5, v4, -v10
	v_mul_f32_e32 v6, v4, v9
	v_mul_f32_e64 v7, v3, -v10
	v_mul_f32_e32 v8, v3, v9
                                        ; implicit-def: $vgpr4
                                        ; implicit-def: $vgpr3
	s_delay_alu instid0(VALU_DEP_4) | instskip(NEXT) | instid1(VALU_DEP_4)
	v_fmac_f32_e32 v5, v9, v0
	v_dual_fmac_f32 v6, v10, v0 :: v_dual_lshlrev_b32 v11, 1, v1
	s_delay_alu instid0(VALU_DEP_4) | instskip(NEXT) | instid1(VALU_DEP_4)
	v_fmac_f32_e32 v7, v9, v2
	v_fmac_f32_e32 v8, v10, v2
                                        ; implicit-def: $vgpr9
                                        ; implicit-def: $vgpr10
                                        ; implicit-def: $vgpr2
	s_delay_alu instid0(VALU_DEP_3) | instskip(NEXT) | instid1(VALU_DEP_1)
	v_ashrrev_i32_e32 v12, 31, v11
	v_lshlrev_b64 v[11:12], 3, v[11:12]
	s_delay_alu instid0(VALU_DEP_1) | instskip(NEXT) | instid1(VALU_DEP_2)
	v_add_co_u32 v0, vcc_lo, s2, v11
	v_add_co_ci_u32_e32 v1, vcc_lo, s3, v12, vcc_lo
                                        ; implicit-def: $vgpr11
                                        ; implicit-def: $vgpr12
	global_store_b128 v[0:1], v[5:8], off
                                        ; implicit-def: $vgpr1
                                        ; implicit-def: $vgpr0
.LBB206_31:
	s_and_not1_saveexec_b32 s0, s0
	s_cbranch_execz .LBB206_33
; %bb.32:
	v_lshlrev_b32_e32 v5, 1, v1
	v_mul_f32_e64 v15, v4, -v10
	v_mul_f32_e32 v1, v4, v9
	v_mul_f32_e64 v4, v3, -v10
	v_mul_f32_e32 v3, v3, v9
	s_delay_alu instid0(VALU_DEP_4) | instskip(NEXT) | instid1(VALU_DEP_3)
	v_fmac_f32_e32 v15, v9, v0
	v_fmac_f32_e32 v4, v9, v2
	v_ashrrev_i32_e32 v6, 31, v5
	s_delay_alu instid0(VALU_DEP_4) | instskip(NEXT) | instid1(VALU_DEP_2)
	v_fmac_f32_e32 v3, v10, v2
	v_lshlrev_b64 v[5:6], 3, v[5:6]
	s_delay_alu instid0(VALU_DEP_1) | instskip(NEXT) | instid1(VALU_DEP_2)
	v_add_co_u32 v13, vcc_lo, s2, v5
	v_add_co_ci_u32_e32 v14, vcc_lo, s3, v6, vcc_lo
	global_load_b128 v[5:8], v[13:14], off
	s_waitcnt vmcnt(0)
	v_dual_fmac_f32 v4, v11, v7 :: v_dual_fmac_f32 v1, v10, v0
	v_fmac_f32_e32 v15, v11, v5
	v_fmac_f32_e32 v3, v12, v7
	s_delay_alu instid0(VALU_DEP_3) | instskip(NEXT) | instid1(VALU_DEP_4)
	v_fma_f32 v2, -v12, v8, v4
	v_fmac_f32_e32 v1, v12, v5
	s_delay_alu instid0(VALU_DEP_4) | instskip(NEXT) | instid1(VALU_DEP_4)
	v_fma_f32 v0, -v12, v6, v15
	v_fmac_f32_e32 v3, v11, v8
	s_delay_alu instid0(VALU_DEP_3)
	v_fmac_f32_e32 v1, v11, v6
	global_store_b128 v[13:14], v[0:3], off
.LBB206_33:
	s_nop 0
	s_sendmsg sendmsg(MSG_DEALLOC_VGPRS)
	s_endpgm
	.section	.rodata,"a",@progbits
	.p2align	6, 0x0
	.amdhsa_kernel _ZN9rocsparseL19gebsrmvn_2xn_kernelILj128ELj12ELj64E21rocsparse_complex_numIfEEEvi20rocsparse_direction_NS_24const_host_device_scalarIT2_EEPKiS8_PKS5_SA_S6_PS5_21rocsparse_index_base_b
		.amdhsa_group_segment_fixed_size 0
		.amdhsa_private_segment_fixed_size 0
		.amdhsa_kernarg_size 72
		.amdhsa_user_sgpr_count 15
		.amdhsa_user_sgpr_dispatch_ptr 0
		.amdhsa_user_sgpr_queue_ptr 0
		.amdhsa_user_sgpr_kernarg_segment_ptr 1
		.amdhsa_user_sgpr_dispatch_id 0
		.amdhsa_user_sgpr_private_segment_size 0
		.amdhsa_wavefront_size32 1
		.amdhsa_uses_dynamic_stack 0
		.amdhsa_enable_private_segment 0
		.amdhsa_system_sgpr_workgroup_id_x 1
		.amdhsa_system_sgpr_workgroup_id_y 0
		.amdhsa_system_sgpr_workgroup_id_z 0
		.amdhsa_system_sgpr_workgroup_info 0
		.amdhsa_system_vgpr_workitem_id 0
		.amdhsa_next_free_vgpr 44
		.amdhsa_next_free_sgpr 16
		.amdhsa_reserve_vcc 1
		.amdhsa_float_round_mode_32 0
		.amdhsa_float_round_mode_16_64 0
		.amdhsa_float_denorm_mode_32 3
		.amdhsa_float_denorm_mode_16_64 3
		.amdhsa_dx10_clamp 1
		.amdhsa_ieee_mode 1
		.amdhsa_fp16_overflow 0
		.amdhsa_workgroup_processor_mode 1
		.amdhsa_memory_ordered 1
		.amdhsa_forward_progress 0
		.amdhsa_shared_vgpr_count 0
		.amdhsa_exception_fp_ieee_invalid_op 0
		.amdhsa_exception_fp_denorm_src 0
		.amdhsa_exception_fp_ieee_div_zero 0
		.amdhsa_exception_fp_ieee_overflow 0
		.amdhsa_exception_fp_ieee_underflow 0
		.amdhsa_exception_fp_ieee_inexact 0
		.amdhsa_exception_int_div_zero 0
	.end_amdhsa_kernel
	.section	.text._ZN9rocsparseL19gebsrmvn_2xn_kernelILj128ELj12ELj64E21rocsparse_complex_numIfEEEvi20rocsparse_direction_NS_24const_host_device_scalarIT2_EEPKiS8_PKS5_SA_S6_PS5_21rocsparse_index_base_b,"axG",@progbits,_ZN9rocsparseL19gebsrmvn_2xn_kernelILj128ELj12ELj64E21rocsparse_complex_numIfEEEvi20rocsparse_direction_NS_24const_host_device_scalarIT2_EEPKiS8_PKS5_SA_S6_PS5_21rocsparse_index_base_b,comdat
.Lfunc_end206:
	.size	_ZN9rocsparseL19gebsrmvn_2xn_kernelILj128ELj12ELj64E21rocsparse_complex_numIfEEEvi20rocsparse_direction_NS_24const_host_device_scalarIT2_EEPKiS8_PKS5_SA_S6_PS5_21rocsparse_index_base_b, .Lfunc_end206-_ZN9rocsparseL19gebsrmvn_2xn_kernelILj128ELj12ELj64E21rocsparse_complex_numIfEEEvi20rocsparse_direction_NS_24const_host_device_scalarIT2_EEPKiS8_PKS5_SA_S6_PS5_21rocsparse_index_base_b
                                        ; -- End function
	.section	.AMDGPU.csdata,"",@progbits
; Kernel info:
; codeLenInByte = 2356
; NumSgprs: 18
; NumVgprs: 44
; ScratchSize: 0
; MemoryBound: 0
; FloatMode: 240
; IeeeMode: 1
; LDSByteSize: 0 bytes/workgroup (compile time only)
; SGPRBlocks: 2
; VGPRBlocks: 5
; NumSGPRsForWavesPerEU: 18
; NumVGPRsForWavesPerEU: 44
; Occupancy: 16
; WaveLimiterHint : 1
; COMPUTE_PGM_RSRC2:SCRATCH_EN: 0
; COMPUTE_PGM_RSRC2:USER_SGPR: 15
; COMPUTE_PGM_RSRC2:TRAP_HANDLER: 0
; COMPUTE_PGM_RSRC2:TGID_X_EN: 1
; COMPUTE_PGM_RSRC2:TGID_Y_EN: 0
; COMPUTE_PGM_RSRC2:TGID_Z_EN: 0
; COMPUTE_PGM_RSRC2:TIDIG_COMP_CNT: 0
	.section	.text._ZN9rocsparseL19gebsrmvn_2xn_kernelILj128ELj13ELj4E21rocsparse_complex_numIfEEEvi20rocsparse_direction_NS_24const_host_device_scalarIT2_EEPKiS8_PKS5_SA_S6_PS5_21rocsparse_index_base_b,"axG",@progbits,_ZN9rocsparseL19gebsrmvn_2xn_kernelILj128ELj13ELj4E21rocsparse_complex_numIfEEEvi20rocsparse_direction_NS_24const_host_device_scalarIT2_EEPKiS8_PKS5_SA_S6_PS5_21rocsparse_index_base_b,comdat
	.globl	_ZN9rocsparseL19gebsrmvn_2xn_kernelILj128ELj13ELj4E21rocsparse_complex_numIfEEEvi20rocsparse_direction_NS_24const_host_device_scalarIT2_EEPKiS8_PKS5_SA_S6_PS5_21rocsparse_index_base_b ; -- Begin function _ZN9rocsparseL19gebsrmvn_2xn_kernelILj128ELj13ELj4E21rocsparse_complex_numIfEEEvi20rocsparse_direction_NS_24const_host_device_scalarIT2_EEPKiS8_PKS5_SA_S6_PS5_21rocsparse_index_base_b
	.p2align	8
	.type	_ZN9rocsparseL19gebsrmvn_2xn_kernelILj128ELj13ELj4E21rocsparse_complex_numIfEEEvi20rocsparse_direction_NS_24const_host_device_scalarIT2_EEPKiS8_PKS5_SA_S6_PS5_21rocsparse_index_base_b,@function
_ZN9rocsparseL19gebsrmvn_2xn_kernelILj128ELj13ELj4E21rocsparse_complex_numIfEEEvi20rocsparse_direction_NS_24const_host_device_scalarIT2_EEPKiS8_PKS5_SA_S6_PS5_21rocsparse_index_base_b: ; @_ZN9rocsparseL19gebsrmvn_2xn_kernelILj128ELj13ELj4E21rocsparse_complex_numIfEEEvi20rocsparse_direction_NS_24const_host_device_scalarIT2_EEPKiS8_PKS5_SA_S6_PS5_21rocsparse_index_base_b
; %bb.0:
	s_clause 0x2
	s_load_b64 s[12:13], s[0:1], 0x40
	s_load_b64 s[4:5], s[0:1], 0x8
	;; [unrolled: 1-line block ×3, first 2 shown]
	s_waitcnt lgkmcnt(0)
	s_bitcmp1_b32 s13, 0
	v_mov_b32_e32 v9, s4
	s_cselect_b32 s6, -1, 0
	s_delay_alu instid0(SALU_CYCLE_1)
	s_and_b32 vcc_lo, exec_lo, s6
	s_xor_b32 s6, s6, -1
	s_cbranch_vccz .LBB207_17
; %bb.1:
	v_cndmask_b32_e64 v1, 0, 1, s6
	v_mov_b32_e32 v10, s5
	s_and_not1_b32 vcc_lo, exec_lo, s6
	s_cbranch_vccz .LBB207_18
.LBB207_2:
	s_delay_alu instid0(VALU_DEP_2)
	v_cmp_ne_u32_e32 vcc_lo, 1, v1
	v_mov_b32_e32 v11, s2
	s_cbranch_vccz .LBB207_19
.LBB207_3:
	v_cmp_ne_u32_e32 vcc_lo, 1, v1
	v_mov_b32_e32 v12, s3
	s_cbranch_vccnz .LBB207_5
.LBB207_4:
	v_dual_mov_b32 v1, s2 :: v_dual_mov_b32 v2, s3
	flat_load_b32 v12, v[1:2] offset:4
.LBB207_5:
	s_waitcnt vmcnt(0) lgkmcnt(0)
	v_cmp_eq_f32_e32 vcc_lo, 0, v9
	v_cmp_eq_f32_e64 s2, 0, v10
	s_delay_alu instid0(VALU_DEP_1)
	s_and_b32 s4, vcc_lo, s2
	s_mov_b32 s2, -1
	s_and_saveexec_b32 s3, s4
; %bb.6:
	v_cmp_neq_f32_e32 vcc_lo, 1.0, v11
	v_cmp_neq_f32_e64 s2, 0, v12
	s_delay_alu instid0(VALU_DEP_1) | instskip(NEXT) | instid1(SALU_CYCLE_1)
	s_or_b32 s2, vcc_lo, s2
	s_or_not1_b32 s2, s2, exec_lo
; %bb.7:
	s_or_b32 exec_lo, exec_lo, s3
	s_and_saveexec_b32 s3, s2
	s_cbranch_execz .LBB207_37
; %bb.8:
	s_load_b64 s[2:3], s[0:1], 0x0
	v_lshrrev_b32_e32 v1, 2, v0
	s_delay_alu instid0(VALU_DEP_1) | instskip(SKIP_1) | instid1(VALU_DEP_1)
	v_lshl_or_b32 v1, s15, 5, v1
	s_waitcnt lgkmcnt(0)
	v_cmp_gt_i32_e32 vcc_lo, s2, v1
	s_and_b32 exec_lo, exec_lo, vcc_lo
	s_cbranch_execz .LBB207_37
; %bb.9:
	s_load_b256 s[4:11], s[0:1], 0x10
	v_ashrrev_i32_e32 v2, 31, v1
	v_and_b32_e32 v0, 3, v0
	s_cmp_lg_u32 s3, 0
	s_delay_alu instid0(VALU_DEP_2) | instskip(SKIP_1) | instid1(VALU_DEP_1)
	v_lshlrev_b64 v[2:3], 2, v[1:2]
	s_waitcnt lgkmcnt(0)
	v_add_co_u32 v2, vcc_lo, s4, v2
	s_delay_alu instid0(VALU_DEP_2) | instskip(SKIP_4) | instid1(VALU_DEP_2)
	v_add_co_ci_u32_e32 v3, vcc_lo, s5, v3, vcc_lo
	global_load_b64 v[3:4], v[2:3], off
	s_waitcnt vmcnt(0)
	v_subrev_nc_u32_e32 v2, s12, v3
	v_subrev_nc_u32_e32 v13, s12, v4
	v_add_nc_u32_e32 v2, v2, v0
	s_delay_alu instid0(VALU_DEP_1)
	v_cmp_lt_i32_e64 s2, v2, v13
	s_cbranch_scc0 .LBB207_20
; %bb.10:
	v_dual_mov_b32 v8, 0 :: v_dual_mov_b32 v15, 0
	v_mov_b32_e32 v14, 0
	v_mov_b32_e32 v16, 0
	s_mov_b32 s3, 0
	s_and_saveexec_b32 s4, s2
	s_cbranch_execz .LBB207_22
; %bb.11:
	v_mul_lo_u32 v4, v3, 26
	v_mul_lo_u32 v17, v2, 26
	s_mul_i32 s5, s12, 26
	v_dual_mov_b32 v5, 0 :: v_dual_mov_b32 v6, v2
	v_dual_mov_b32 v8, 0 :: v_dual_mov_b32 v15, 0
	v_mov_b32_e32 v14, 0
	v_mad_u32_u24 v4, v0, 26, v4
	v_mov_b32_e32 v16, 0
	s_delay_alu instid0(VALU_DEP_2)
	v_subrev_nc_u32_e32 v18, s5, v4
	s_mov_b32 s5, 0
	s_branch .LBB207_13
.LBB207_12:                             ;   in Loop: Header=BB207_13 Depth=1
	v_add_nc_u32_e32 v6, 4, v6
	v_add_nc_u32_e32 v17, 0x68, v17
	;; [unrolled: 1-line block ×3, first 2 shown]
	s_delay_alu instid0(VALU_DEP_3) | instskip(SKIP_1) | instid1(SALU_CYCLE_1)
	v_cmp_ge_i32_e32 vcc_lo, v6, v13
	s_or_b32 s5, vcc_lo, s5
	s_and_not1_b32 exec_lo, exec_lo, s5
	s_cbranch_execz .LBB207_21
.LBB207_13:                             ; =>This Loop Header: Depth=1
                                        ;     Child Loop BB207_15 Depth 2
	v_ashrrev_i32_e32 v7, 31, v6
	v_dual_mov_b32 v21, v14 :: v_dual_mov_b32 v22, v16
	s_mov_b32 s13, 0
	s_delay_alu instid0(VALU_DEP_2) | instskip(NEXT) | instid1(VALU_DEP_1)
	v_lshlrev_b64 v[19:20], 2, v[6:7]
	v_add_co_u32 v19, vcc_lo, s6, v19
	s_delay_alu instid0(VALU_DEP_2) | instskip(SKIP_4) | instid1(VALU_DEP_1)
	v_add_co_ci_u32_e32 v20, vcc_lo, s7, v20, vcc_lo
	global_load_b32 v4, v[19:20], off
	v_dual_mov_b32 v19, v8 :: v_dual_mov_b32 v20, v15
	s_waitcnt vmcnt(0)
	v_subrev_nc_u32_e32 v4, s12, v4
	v_mul_lo_u32 v7, v4, 13
	s_branch .LBB207_15
.LBB207_14:                             ;   in Loop: Header=BB207_13 Depth=1
                                        ; implicit-def: $vgpr20
                                        ; implicit-def: $vgpr22
                                        ; implicit-def: $vgpr21
                                        ; implicit-def: $vgpr19
                                        ; implicit-def: $sgpr13
                                        ; implicit-def: $vgpr7
	s_branch .LBB207_12
.LBB207_15:                             ;   Parent Loop BB207_13 Depth=1
                                        ; =>  This Inner Loop Header: Depth=2
	v_add_nc_u32_e32 v4, s13, v18
	v_mov_b32_e32 v8, v5
	s_cmp_eq_u32 s13, 24
	s_delay_alu instid0(VALU_DEP_2) | instskip(NEXT) | instid1(VALU_DEP_2)
	v_lshlrev_b64 v[14:15], 3, v[4:5]
	v_lshlrev_b64 v[23:24], 3, v[7:8]
	s_delay_alu instid0(VALU_DEP_2) | instskip(NEXT) | instid1(VALU_DEP_3)
	v_add_co_u32 v14, vcc_lo, s8, v14
	v_add_co_ci_u32_e32 v15, vcc_lo, s9, v15, vcc_lo
	s_delay_alu instid0(VALU_DEP_3) | instskip(NEXT) | instid1(VALU_DEP_4)
	v_add_co_u32 v27, vcc_lo, s10, v23
	v_add_co_ci_u32_e32 v28, vcc_lo, s11, v24, vcc_lo
	global_load_b128 v[23:26], v[14:15], off
	global_load_b64 v[27:28], v[27:28], off
	s_waitcnt vmcnt(0)
	v_fmac_f32_e32 v21, v23, v27
	v_fmac_f32_e32 v19, v24, v27
	;; [unrolled: 1-line block ×4, first 2 shown]
	s_delay_alu instid0(VALU_DEP_4) | instskip(NEXT) | instid1(VALU_DEP_3)
	v_fma_f32 v14, -v24, v28, v21
	v_dual_mov_b32 v8, v19 :: v_dual_mov_b32 v15, v20
	s_delay_alu instid0(VALU_DEP_3) | instskip(NEXT) | instid1(VALU_DEP_2)
	v_fma_f32 v16, -v26, v28, v22
	v_fmac_f32_e32 v8, v23, v28
	s_delay_alu instid0(VALU_DEP_3)
	v_fmac_f32_e32 v15, v25, v28
	s_cbranch_scc1 .LBB207_14
; %bb.16:                               ;   in Loop: Header=BB207_15 Depth=2
	v_add_nc_u32_e32 v29, s13, v17
	s_add_i32 s13, s13, 8
	s_delay_alu instid0(VALU_DEP_1) | instskip(NEXT) | instid1(VALU_DEP_1)
	v_add_nc_u32_e32 v4, 2, v29
	v_lshlrev_b64 v[19:20], 3, v[4:5]
	v_add_nc_u32_e32 v4, 1, v7
	s_delay_alu instid0(VALU_DEP_1) | instskip(SKIP_1) | instid1(VALU_DEP_4)
	v_lshlrev_b64 v[21:22], 3, v[4:5]
	v_add_nc_u32_e32 v4, 4, v29
	v_add_co_u32 v19, vcc_lo, s8, v19
	v_add_co_ci_u32_e32 v20, vcc_lo, s9, v20, vcc_lo
	s_delay_alu instid0(VALU_DEP_3) | instskip(SKIP_3) | instid1(VALU_DEP_4)
	v_lshlrev_b64 v[25:26], 3, v[4:5]
	v_add_co_u32 v27, vcc_lo, s10, v21
	v_add_co_ci_u32_e32 v28, vcc_lo, s11, v22, vcc_lo
	v_add_nc_u32_e32 v4, 2, v7
	v_add_co_u32 v25, vcc_lo, s8, v25
	v_add_co_ci_u32_e32 v26, vcc_lo, s9, v26, vcc_lo
	global_load_b128 v[21:24], v[19:20], off
	global_load_b64 v[33:34], v[27:28], off
	global_load_b128 v[25:28], v[25:26], off
	v_lshlrev_b64 v[19:20], 3, v[4:5]
	s_delay_alu instid0(VALU_DEP_1) | instskip(NEXT) | instid1(VALU_DEP_2)
	v_add_co_u32 v19, vcc_lo, s10, v19
	v_add_co_ci_u32_e32 v20, vcc_lo, s11, v20, vcc_lo
	global_load_b64 v[35:36], v[19:20], off
	v_add_nc_u32_e32 v4, 6, v29
	s_delay_alu instid0(VALU_DEP_1) | instskip(SKIP_2) | instid1(VALU_DEP_2)
	v_lshlrev_b64 v[29:30], 3, v[4:5]
	v_add_nc_u32_e32 v4, 3, v7
	v_add_nc_u32_e32 v7, 4, v7
	v_lshlrev_b64 v[31:32], 3, v[4:5]
	s_delay_alu instid0(VALU_DEP_4) | instskip(SKIP_1) | instid1(VALU_DEP_3)
	v_add_co_u32 v19, vcc_lo, s8, v29
	v_add_co_ci_u32_e32 v20, vcc_lo, s9, v30, vcc_lo
	v_add_co_u32 v37, vcc_lo, s10, v31
	s_delay_alu instid0(VALU_DEP_4)
	v_add_co_ci_u32_e32 v38, vcc_lo, s11, v32, vcc_lo
	global_load_b128 v[29:32], v[19:20], off
	global_load_b64 v[37:38], v[37:38], off
	s_waitcnt vmcnt(4)
	v_fma_f32 v4, v21, v33, v14
	v_fma_f32 v19, v22, v33, v8
	v_fma_f32 v39, v23, v33, v16
	v_fma_f32 v20, v24, v33, v15
	s_delay_alu instid0(VALU_DEP_4) | instskip(NEXT) | instid1(VALU_DEP_4)
	v_fma_f32 v4, -v22, v34, v4
	v_fmac_f32_e32 v19, v21, v34
	s_delay_alu instid0(VALU_DEP_4) | instskip(NEXT) | instid1(VALU_DEP_4)
	v_fma_f32 v21, -v24, v34, v39
	v_fmac_f32_e32 v20, v23, v34
	s_waitcnt vmcnt(2)
	v_fmac_f32_e32 v4, v25, v35
	v_fmac_f32_e32 v19, v26, v35
	v_fmac_f32_e32 v21, v27, v35
	v_fmac_f32_e32 v20, v28, v35
	s_delay_alu instid0(VALU_DEP_4) | instskip(NEXT) | instid1(VALU_DEP_4)
	v_fma_f32 v4, -v26, v36, v4
	v_fmac_f32_e32 v19, v25, v36
	s_delay_alu instid0(VALU_DEP_4) | instskip(NEXT) | instid1(VALU_DEP_4)
	v_fma_f32 v22, -v28, v36, v21
	v_fmac_f32_e32 v20, v27, v36
	s_waitcnt vmcnt(0)
	v_fmac_f32_e32 v4, v29, v37
	v_fmac_f32_e32 v19, v30, v37
	;; [unrolled: 1-line block ×4, first 2 shown]
	s_delay_alu instid0(VALU_DEP_4) | instskip(NEXT) | instid1(VALU_DEP_4)
	v_fma_f32 v21, -v30, v38, v4
	v_fmac_f32_e32 v19, v29, v38
	s_delay_alu instid0(VALU_DEP_4) | instskip(NEXT) | instid1(VALU_DEP_4)
	v_fma_f32 v22, -v32, v38, v22
	v_fmac_f32_e32 v20, v31, v38
	s_cbranch_execnz .LBB207_15
	s_branch .LBB207_12
.LBB207_17:
	v_dual_mov_b32 v1, s4 :: v_dual_mov_b32 v2, s5
	flat_load_b32 v9, v[1:2]
	v_cndmask_b32_e64 v1, 0, 1, s6
	v_mov_b32_e32 v10, s5
	s_and_not1_b32 vcc_lo, exec_lo, s6
	s_cbranch_vccnz .LBB207_2
.LBB207_18:
	v_dual_mov_b32 v2, s4 :: v_dual_mov_b32 v3, s5
	flat_load_b32 v10, v[2:3] offset:4
	v_cmp_ne_u32_e32 vcc_lo, 1, v1
	v_mov_b32_e32 v11, s2
	s_cbranch_vccnz .LBB207_3
.LBB207_19:
	v_dual_mov_b32 v2, s2 :: v_dual_mov_b32 v3, s3
	flat_load_b32 v11, v[2:3]
	v_cmp_ne_u32_e32 vcc_lo, 1, v1
	v_mov_b32_e32 v12, s3
	s_cbranch_vccz .LBB207_4
	s_branch .LBB207_5
.LBB207_20:
                                        ; implicit-def: $vgpr8
                                        ; implicit-def: $vgpr14
                                        ; implicit-def: $vgpr16
                                        ; implicit-def: $vgpr15
	s_branch .LBB207_23
.LBB207_21:
	s_or_b32 exec_lo, exec_lo, s5
.LBB207_22:
	s_delay_alu instid0(SALU_CYCLE_1) | instskip(NEXT) | instid1(SALU_CYCLE_1)
	s_or_b32 exec_lo, exec_lo, s4
	s_and_not1_b32 vcc_lo, exec_lo, s3
	s_cbranch_vccnz .LBB207_32
.LBB207_23:
	v_dual_mov_b32 v8, 0 :: v_dual_mov_b32 v15, 0
	v_mov_b32_e32 v14, 0
	v_mov_b32_e32 v16, 0
	s_and_saveexec_b32 s3, s2
	s_cbranch_execz .LBB207_31
; %bb.24:
	v_mul_lo_u32 v3, v3, 26
	v_mul_lo_u32 v5, v2, 26
	s_mul_i32 s2, s12, 26
	v_dual_mov_b32 v4, 0 :: v_dual_mov_b32 v15, 0
	v_mov_b32_e32 v8, 0
	v_mov_b32_e32 v14, 0
	;; [unrolled: 1-line block ×3, first 2 shown]
	v_mad_u32_u24 v3, v0, 26, v3
	s_delay_alu instid0(VALU_DEP_1)
	v_subrev_nc_u32_e32 v6, s2, v3
	s_mov_b32 s2, 0
	s_branch .LBB207_26
.LBB207_25:                             ;   in Loop: Header=BB207_26 Depth=1
	v_add_nc_u32_e32 v2, 4, v2
	v_add_nc_u32_e32 v5, 0x68, v5
	;; [unrolled: 1-line block ×3, first 2 shown]
	s_delay_alu instid0(VALU_DEP_3) | instskip(SKIP_1) | instid1(SALU_CYCLE_1)
	v_cmp_ge_i32_e32 vcc_lo, v2, v13
	s_or_b32 s2, vcc_lo, s2
	s_and_not1_b32 exec_lo, exec_lo, s2
	s_cbranch_execz .LBB207_30
.LBB207_26:                             ; =>This Loop Header: Depth=1
                                        ;     Child Loop BB207_28 Depth 2
	v_ashrrev_i32_e32 v3, 31, v2
	v_dual_mov_b32 v20, v14 :: v_dual_mov_b32 v21, v16
	s_mov_b32 s4, 0
	v_mov_b32_e32 v19, v15
	s_delay_alu instid0(VALU_DEP_3) | instskip(NEXT) | instid1(VALU_DEP_1)
	v_lshlrev_b64 v[17:18], 2, v[2:3]
	v_add_co_u32 v17, vcc_lo, s6, v17
	s_delay_alu instid0(VALU_DEP_2) | instskip(SKIP_4) | instid1(VALU_DEP_1)
	v_add_co_ci_u32_e32 v18, vcc_lo, s7, v18, vcc_lo
	global_load_b32 v3, v[17:18], off
	v_mov_b32_e32 v18, v8
	s_waitcnt vmcnt(0)
	v_subrev_nc_u32_e32 v3, s12, v3
	v_mul_lo_u32 v7, v3, 13
	s_branch .LBB207_28
.LBB207_27:                             ;   in Loop: Header=BB207_26 Depth=1
                                        ; implicit-def: $vgpr19
                                        ; implicit-def: $vgpr21
                                        ; implicit-def: $vgpr20
                                        ; implicit-def: $vgpr18
                                        ; implicit-def: $sgpr4
	s_branch .LBB207_25
.LBB207_28:                             ;   Parent Loop BB207_26 Depth=1
                                        ; =>  This Inner Loop Header: Depth=2
	v_add_nc_u32_e32 v3, s4, v6
	v_add_nc_u32_e32 v17, s4, v5
	v_mov_b32_e32 v15, v4
	s_cmp_eq_u32 s4, 12
	s_delay_alu instid0(VALU_DEP_3) | instskip(NEXT) | instid1(VALU_DEP_3)
	v_lshlrev_b64 v[22:23], 3, v[3:4]
	v_add_nc_u32_e32 v14, 13, v17
	v_add_nc_u32_e32 v3, s4, v7
	s_delay_alu instid0(VALU_DEP_2) | instskip(NEXT) | instid1(VALU_DEP_2)
	v_lshlrev_b64 v[14:15], 3, v[14:15]
	v_lshlrev_b64 v[24:25], 3, v[3:4]
	v_add_co_u32 v22, vcc_lo, s8, v22
	v_add_co_ci_u32_e32 v23, vcc_lo, s9, v23, vcc_lo
	s_delay_alu instid0(VALU_DEP_3) | instskip(NEXT) | instid1(VALU_DEP_4)
	v_add_co_u32 v24, vcc_lo, s10, v24
	v_add_co_ci_u32_e32 v25, vcc_lo, s11, v25, vcc_lo
	v_add_co_u32 v14, vcc_lo, s8, v14
	v_add_co_ci_u32_e32 v15, vcc_lo, s9, v15, vcc_lo
	global_load_b64 v[22:23], v[22:23], off
	global_load_b64 v[24:25], v[24:25], off
	global_load_b64 v[26:27], v[14:15], off
	s_waitcnt vmcnt(1)
	v_fmac_f32_e32 v18, v23, v24
	v_fmac_f32_e32 v20, v22, v24
	s_waitcnt vmcnt(0)
	v_fmac_f32_e32 v21, v26, v24
	s_delay_alu instid0(VALU_DEP_3) | instskip(NEXT) | instid1(VALU_DEP_3)
	v_dual_mov_b32 v8, v18 :: v_dual_fmac_f32 v19, v27, v24
	v_fma_f32 v14, -v23, v25, v20
	s_delay_alu instid0(VALU_DEP_3) | instskip(NEXT) | instid1(VALU_DEP_3)
	v_fma_f32 v16, -v27, v25, v21
	v_dual_fmac_f32 v8, v22, v25 :: v_dual_mov_b32 v15, v19
	s_delay_alu instid0(VALU_DEP_1)
	v_fmac_f32_e32 v15, v26, v25
	s_cbranch_scc1 .LBB207_27
; %bb.29:                               ;   in Loop: Header=BB207_28 Depth=2
	v_dual_mov_b32 v19, v4 :: v_dual_add_nc_u32 v18, 1, v17
	v_dual_mov_b32 v21, v4 :: v_dual_add_nc_u32 v20, 1, v3
	;; [unrolled: 1-line block ×3, first 2 shown]
	s_delay_alu instid0(VALU_DEP_3) | instskip(SKIP_1) | instid1(VALU_DEP_4)
	v_lshlrev_b64 v[18:19], 3, v[18:19]
	v_dual_mov_b32 v25, v4 :: v_dual_add_nc_u32 v24, 2, v17
	v_lshlrev_b64 v[20:21], 3, v[20:21]
	s_add_i32 s4, s4, 4
	s_delay_alu instid0(VALU_DEP_3) | instskip(NEXT) | instid1(VALU_DEP_4)
	v_add_co_u32 v18, vcc_lo, s8, v18
	v_add_co_ci_u32_e32 v19, vcc_lo, s9, v19, vcc_lo
	s_delay_alu instid0(VALU_DEP_3) | instskip(NEXT) | instid1(VALU_DEP_4)
	v_add_co_u32 v20, vcc_lo, s10, v20
	v_add_co_ci_u32_e32 v21, vcc_lo, s11, v21, vcc_lo
	global_load_b64 v[28:29], v[18:19], off
	v_lshlrev_b64 v[18:19], 3, v[22:23]
	v_add_nc_u32_e32 v22, 2, v3
	global_load_b64 v[30:31], v[20:21], off
	v_lshlrev_b64 v[20:21], 3, v[24:25]
	v_add_co_u32 v18, vcc_lo, s8, v18
	v_lshlrev_b64 v[22:23], 3, v[22:23]
	v_add_co_ci_u32_e32 v19, vcc_lo, s9, v19, vcc_lo
	s_delay_alu instid0(VALU_DEP_4) | instskip(SKIP_1) | instid1(VALU_DEP_4)
	v_add_co_u32 v24, vcc_lo, s8, v20
	v_add_co_ci_u32_e32 v25, vcc_lo, s9, v21, vcc_lo
	v_add_co_u32 v32, vcc_lo, s10, v22
	v_add_co_ci_u32_e32 v33, vcc_lo, s11, v23, vcc_lo
	s_clause 0x1
	global_load_b128 v[20:23], v[18:19], off
	global_load_b128 v[24:27], v[24:25], off
	global_load_b64 v[32:33], v[32:33], off
	v_add_nc_u32_e32 v3, 3, v3
	s_delay_alu instid0(VALU_DEP_1) | instskip(SKIP_1) | instid1(VALU_DEP_1)
	v_lshlrev_b64 v[18:19], 3, v[3:4]
	v_add_nc_u32_e32 v3, 16, v17
	v_lshlrev_b64 v[34:35], 3, v[3:4]
	s_delay_alu instid0(VALU_DEP_3) | instskip(NEXT) | instid1(VALU_DEP_4)
	v_add_co_u32 v17, vcc_lo, s10, v18
	v_add_co_ci_u32_e32 v18, vcc_lo, s11, v19, vcc_lo
	s_delay_alu instid0(VALU_DEP_3) | instskip(NEXT) | instid1(VALU_DEP_4)
	v_add_co_u32 v34, vcc_lo, s8, v34
	v_add_co_ci_u32_e32 v35, vcc_lo, s9, v35, vcc_lo
	global_load_b64 v[36:37], v[17:18], off
	global_load_b64 v[34:35], v[34:35], off
	s_waitcnt vmcnt(5)
	v_fma_f32 v18, v29, v30, v8
	v_fma_f32 v3, v28, v30, v14
	s_delay_alu instid0(VALU_DEP_2) | instskip(NEXT) | instid1(VALU_DEP_2)
	v_fmac_f32_e32 v18, v28, v31
	v_fma_f32 v3, -v29, v31, v3
	s_waitcnt vmcnt(4)
	v_fma_f32 v17, v20, v30, v16
	v_fma_f32 v19, v21, v30, v15
	s_waitcnt vmcnt(2)
	v_fmac_f32_e32 v18, v25, v32
	v_fmac_f32_e32 v3, v24, v32
	v_fma_f32 v17, -v21, v31, v17
	s_delay_alu instid0(VALU_DEP_3) | instskip(SKIP_1) | instid1(VALU_DEP_4)
	v_fmac_f32_e32 v18, v24, v33
	v_fmac_f32_e32 v19, v20, v31
	v_fma_f32 v3, -v25, v33, v3
	s_delay_alu instid0(VALU_DEP_4) | instskip(NEXT) | instid1(VALU_DEP_1)
	v_fmac_f32_e32 v17, v22, v32
	v_fma_f32 v17, -v23, v33, v17
	s_waitcnt vmcnt(1)
	v_fmac_f32_e32 v18, v27, v36
	v_fmac_f32_e32 v19, v23, v32
	v_fmac_f32_e32 v3, v26, v36
	s_waitcnt vmcnt(0)
	v_fmac_f32_e32 v17, v34, v36
	v_fmac_f32_e32 v18, v26, v37
	;; [unrolled: 1-line block ×3, first 2 shown]
	v_fma_f32 v20, -v27, v37, v3
	s_delay_alu instid0(VALU_DEP_4) | instskip(NEXT) | instid1(VALU_DEP_3)
	v_fma_f32 v21, -v35, v37, v17
	v_fmac_f32_e32 v19, v35, v36
	s_delay_alu instid0(VALU_DEP_1)
	v_fmac_f32_e32 v19, v34, v37
	s_cbranch_execnz .LBB207_28
	s_branch .LBB207_25
.LBB207_30:
	s_or_b32 exec_lo, exec_lo, s2
.LBB207_31:
	s_delay_alu instid0(SALU_CYCLE_1)
	s_or_b32 exec_lo, exec_lo, s3
.LBB207_32:
	v_mbcnt_lo_u32_b32 v2, -1, 0
	s_delay_alu instid0(VALU_DEP_1) | instskip(SKIP_1) | instid1(VALU_DEP_2)
	v_xor_b32_e32 v3, 2, v2
	v_xor_b32_e32 v7, 1, v2
	v_cmp_gt_i32_e32 vcc_lo, 32, v3
	v_cndmask_b32_e32 v3, v2, v3, vcc_lo
	s_delay_alu instid0(VALU_DEP_3) | instskip(NEXT) | instid1(VALU_DEP_2)
	v_cmp_gt_i32_e32 vcc_lo, 32, v7
	v_lshlrev_b32_e32 v3, 2, v3
	ds_bpermute_b32 v4, v3, v14
	s_waitcnt lgkmcnt(0)
	v_add_f32_e32 v4, v14, v4
	ds_bpermute_b32 v5, v3, v8
	ds_bpermute_b32 v6, v3, v16
	;; [unrolled: 1-line block ×3, first 2 shown]
	v_cndmask_b32_e32 v2, v2, v7, vcc_lo
	v_cmp_eq_u32_e32 vcc_lo, 3, v0
	s_waitcnt lgkmcnt(2)
	v_add_f32_e32 v5, v8, v5
	s_delay_alu instid0(VALU_DEP_3)
	v_lshlrev_b32_e32 v7, 2, v2
	s_waitcnt lgkmcnt(0)
	v_dual_add_f32 v2, v16, v6 :: v_dual_add_f32 v3, v15, v3
	ds_bpermute_b32 v8, v7, v4
	ds_bpermute_b32 v13, v7, v5
	;; [unrolled: 1-line block ×4, first 2 shown]
	s_and_b32 exec_lo, exec_lo, vcc_lo
	s_cbranch_execz .LBB207_37
; %bb.33:
	s_load_b64 s[2:3], s[0:1], 0x38
	v_cmp_eq_f32_e32 vcc_lo, 0, v11
	v_cmp_eq_f32_e64 s0, 0, v12
	s_waitcnt lgkmcnt(0)
	v_dual_add_f32 v0, v4, v8 :: v_dual_add_f32 v3, v3, v7
	v_add_f32_e32 v4, v5, v13
	v_add_f32_e32 v2, v2, v6
	s_and_b32 s0, vcc_lo, s0
	s_delay_alu instid0(SALU_CYCLE_1) | instskip(NEXT) | instid1(SALU_CYCLE_1)
	s_and_saveexec_b32 s1, s0
	s_xor_b32 s0, exec_lo, s1
	s_cbranch_execz .LBB207_35
; %bb.34:
	v_mul_f32_e64 v5, v4, -v10
	v_mul_f32_e32 v6, v4, v9
	v_mul_f32_e64 v7, v3, -v10
	v_mul_f32_e32 v8, v3, v9
                                        ; implicit-def: $vgpr4
                                        ; implicit-def: $vgpr3
	s_delay_alu instid0(VALU_DEP_4) | instskip(NEXT) | instid1(VALU_DEP_4)
	v_fmac_f32_e32 v5, v9, v0
	v_dual_fmac_f32 v6, v10, v0 :: v_dual_lshlrev_b32 v11, 1, v1
	s_delay_alu instid0(VALU_DEP_4) | instskip(NEXT) | instid1(VALU_DEP_4)
	v_fmac_f32_e32 v7, v9, v2
	v_fmac_f32_e32 v8, v10, v2
                                        ; implicit-def: $vgpr9
                                        ; implicit-def: $vgpr10
                                        ; implicit-def: $vgpr2
	s_delay_alu instid0(VALU_DEP_3) | instskip(NEXT) | instid1(VALU_DEP_1)
	v_ashrrev_i32_e32 v12, 31, v11
	v_lshlrev_b64 v[11:12], 3, v[11:12]
	s_delay_alu instid0(VALU_DEP_1) | instskip(NEXT) | instid1(VALU_DEP_2)
	v_add_co_u32 v0, vcc_lo, s2, v11
	v_add_co_ci_u32_e32 v1, vcc_lo, s3, v12, vcc_lo
                                        ; implicit-def: $vgpr11
                                        ; implicit-def: $vgpr12
	global_store_b128 v[0:1], v[5:8], off
                                        ; implicit-def: $vgpr1
                                        ; implicit-def: $vgpr0
.LBB207_35:
	s_and_not1_saveexec_b32 s0, s0
	s_cbranch_execz .LBB207_37
; %bb.36:
	v_lshlrev_b32_e32 v5, 1, v1
	v_mul_f32_e64 v15, v4, -v10
	v_mul_f32_e32 v1, v4, v9
	v_mul_f32_e64 v4, v3, -v10
	v_mul_f32_e32 v3, v3, v9
	s_delay_alu instid0(VALU_DEP_4) | instskip(NEXT) | instid1(VALU_DEP_3)
	v_fmac_f32_e32 v15, v9, v0
	v_fmac_f32_e32 v4, v9, v2
	v_ashrrev_i32_e32 v6, 31, v5
	s_delay_alu instid0(VALU_DEP_4) | instskip(NEXT) | instid1(VALU_DEP_2)
	v_fmac_f32_e32 v3, v10, v2
	v_lshlrev_b64 v[5:6], 3, v[5:6]
	s_delay_alu instid0(VALU_DEP_1) | instskip(NEXT) | instid1(VALU_DEP_2)
	v_add_co_u32 v13, vcc_lo, s2, v5
	v_add_co_ci_u32_e32 v14, vcc_lo, s3, v6, vcc_lo
	global_load_b128 v[5:8], v[13:14], off
	s_waitcnt vmcnt(0)
	v_dual_fmac_f32 v4, v11, v7 :: v_dual_fmac_f32 v1, v10, v0
	v_fmac_f32_e32 v15, v11, v5
	v_fmac_f32_e32 v3, v12, v7
	s_delay_alu instid0(VALU_DEP_3) | instskip(NEXT) | instid1(VALU_DEP_4)
	v_fma_f32 v2, -v12, v8, v4
	v_fmac_f32_e32 v1, v12, v5
	s_delay_alu instid0(VALU_DEP_4) | instskip(NEXT) | instid1(VALU_DEP_4)
	v_fma_f32 v0, -v12, v6, v15
	v_fmac_f32_e32 v3, v11, v8
	s_delay_alu instid0(VALU_DEP_3)
	v_fmac_f32_e32 v1, v11, v6
	global_store_b128 v[13:14], v[0:3], off
.LBB207_37:
	s_nop 0
	s_sendmsg sendmsg(MSG_DEALLOC_VGPRS)
	s_endpgm
	.section	.rodata,"a",@progbits
	.p2align	6, 0x0
	.amdhsa_kernel _ZN9rocsparseL19gebsrmvn_2xn_kernelILj128ELj13ELj4E21rocsparse_complex_numIfEEEvi20rocsparse_direction_NS_24const_host_device_scalarIT2_EEPKiS8_PKS5_SA_S6_PS5_21rocsparse_index_base_b
		.amdhsa_group_segment_fixed_size 0
		.amdhsa_private_segment_fixed_size 0
		.amdhsa_kernarg_size 72
		.amdhsa_user_sgpr_count 15
		.amdhsa_user_sgpr_dispatch_ptr 0
		.amdhsa_user_sgpr_queue_ptr 0
		.amdhsa_user_sgpr_kernarg_segment_ptr 1
		.amdhsa_user_sgpr_dispatch_id 0
		.amdhsa_user_sgpr_private_segment_size 0
		.amdhsa_wavefront_size32 1
		.amdhsa_uses_dynamic_stack 0
		.amdhsa_enable_private_segment 0
		.amdhsa_system_sgpr_workgroup_id_x 1
		.amdhsa_system_sgpr_workgroup_id_y 0
		.amdhsa_system_sgpr_workgroup_id_z 0
		.amdhsa_system_sgpr_workgroup_info 0
		.amdhsa_system_vgpr_workitem_id 0
		.amdhsa_next_free_vgpr 40
		.amdhsa_next_free_sgpr 16
		.amdhsa_reserve_vcc 1
		.amdhsa_float_round_mode_32 0
		.amdhsa_float_round_mode_16_64 0
		.amdhsa_float_denorm_mode_32 3
		.amdhsa_float_denorm_mode_16_64 3
		.amdhsa_dx10_clamp 1
		.amdhsa_ieee_mode 1
		.amdhsa_fp16_overflow 0
		.amdhsa_workgroup_processor_mode 1
		.amdhsa_memory_ordered 1
		.amdhsa_forward_progress 0
		.amdhsa_shared_vgpr_count 0
		.amdhsa_exception_fp_ieee_invalid_op 0
		.amdhsa_exception_fp_denorm_src 0
		.amdhsa_exception_fp_ieee_div_zero 0
		.amdhsa_exception_fp_ieee_overflow 0
		.amdhsa_exception_fp_ieee_underflow 0
		.amdhsa_exception_fp_ieee_inexact 0
		.amdhsa_exception_int_div_zero 0
	.end_amdhsa_kernel
	.section	.text._ZN9rocsparseL19gebsrmvn_2xn_kernelILj128ELj13ELj4E21rocsparse_complex_numIfEEEvi20rocsparse_direction_NS_24const_host_device_scalarIT2_EEPKiS8_PKS5_SA_S6_PS5_21rocsparse_index_base_b,"axG",@progbits,_ZN9rocsparseL19gebsrmvn_2xn_kernelILj128ELj13ELj4E21rocsparse_complex_numIfEEEvi20rocsparse_direction_NS_24const_host_device_scalarIT2_EEPKiS8_PKS5_SA_S6_PS5_21rocsparse_index_base_b,comdat
.Lfunc_end207:
	.size	_ZN9rocsparseL19gebsrmvn_2xn_kernelILj128ELj13ELj4E21rocsparse_complex_numIfEEEvi20rocsparse_direction_NS_24const_host_device_scalarIT2_EEPKiS8_PKS5_SA_S6_PS5_21rocsparse_index_base_b, .Lfunc_end207-_ZN9rocsparseL19gebsrmvn_2xn_kernelILj128ELj13ELj4E21rocsparse_complex_numIfEEEvi20rocsparse_direction_NS_24const_host_device_scalarIT2_EEPKiS8_PKS5_SA_S6_PS5_21rocsparse_index_base_b
                                        ; -- End function
	.section	.AMDGPU.csdata,"",@progbits
; Kernel info:
; codeLenInByte = 2580
; NumSgprs: 18
; NumVgprs: 40
; ScratchSize: 0
; MemoryBound: 0
; FloatMode: 240
; IeeeMode: 1
; LDSByteSize: 0 bytes/workgroup (compile time only)
; SGPRBlocks: 2
; VGPRBlocks: 4
; NumSGPRsForWavesPerEU: 18
; NumVGPRsForWavesPerEU: 40
; Occupancy: 16
; WaveLimiterHint : 1
; COMPUTE_PGM_RSRC2:SCRATCH_EN: 0
; COMPUTE_PGM_RSRC2:USER_SGPR: 15
; COMPUTE_PGM_RSRC2:TRAP_HANDLER: 0
; COMPUTE_PGM_RSRC2:TGID_X_EN: 1
; COMPUTE_PGM_RSRC2:TGID_Y_EN: 0
; COMPUTE_PGM_RSRC2:TGID_Z_EN: 0
; COMPUTE_PGM_RSRC2:TIDIG_COMP_CNT: 0
	.section	.text._ZN9rocsparseL19gebsrmvn_2xn_kernelILj128ELj13ELj8E21rocsparse_complex_numIfEEEvi20rocsparse_direction_NS_24const_host_device_scalarIT2_EEPKiS8_PKS5_SA_S6_PS5_21rocsparse_index_base_b,"axG",@progbits,_ZN9rocsparseL19gebsrmvn_2xn_kernelILj128ELj13ELj8E21rocsparse_complex_numIfEEEvi20rocsparse_direction_NS_24const_host_device_scalarIT2_EEPKiS8_PKS5_SA_S6_PS5_21rocsparse_index_base_b,comdat
	.globl	_ZN9rocsparseL19gebsrmvn_2xn_kernelILj128ELj13ELj8E21rocsparse_complex_numIfEEEvi20rocsparse_direction_NS_24const_host_device_scalarIT2_EEPKiS8_PKS5_SA_S6_PS5_21rocsparse_index_base_b ; -- Begin function _ZN9rocsparseL19gebsrmvn_2xn_kernelILj128ELj13ELj8E21rocsparse_complex_numIfEEEvi20rocsparse_direction_NS_24const_host_device_scalarIT2_EEPKiS8_PKS5_SA_S6_PS5_21rocsparse_index_base_b
	.p2align	8
	.type	_ZN9rocsparseL19gebsrmvn_2xn_kernelILj128ELj13ELj8E21rocsparse_complex_numIfEEEvi20rocsparse_direction_NS_24const_host_device_scalarIT2_EEPKiS8_PKS5_SA_S6_PS5_21rocsparse_index_base_b,@function
_ZN9rocsparseL19gebsrmvn_2xn_kernelILj128ELj13ELj8E21rocsparse_complex_numIfEEEvi20rocsparse_direction_NS_24const_host_device_scalarIT2_EEPKiS8_PKS5_SA_S6_PS5_21rocsparse_index_base_b: ; @_ZN9rocsparseL19gebsrmvn_2xn_kernelILj128ELj13ELj8E21rocsparse_complex_numIfEEEvi20rocsparse_direction_NS_24const_host_device_scalarIT2_EEPKiS8_PKS5_SA_S6_PS5_21rocsparse_index_base_b
; %bb.0:
	s_clause 0x2
	s_load_b64 s[12:13], s[0:1], 0x40
	s_load_b64 s[4:5], s[0:1], 0x8
	;; [unrolled: 1-line block ×3, first 2 shown]
	s_waitcnt lgkmcnt(0)
	s_bitcmp1_b32 s13, 0
	v_mov_b32_e32 v9, s4
	s_cselect_b32 s6, -1, 0
	s_delay_alu instid0(SALU_CYCLE_1)
	s_and_b32 vcc_lo, exec_lo, s6
	s_xor_b32 s6, s6, -1
	s_cbranch_vccz .LBB208_17
; %bb.1:
	v_cndmask_b32_e64 v1, 0, 1, s6
	v_mov_b32_e32 v10, s5
	s_and_not1_b32 vcc_lo, exec_lo, s6
	s_cbranch_vccz .LBB208_18
.LBB208_2:
	s_delay_alu instid0(VALU_DEP_2)
	v_cmp_ne_u32_e32 vcc_lo, 1, v1
	v_mov_b32_e32 v11, s2
	s_cbranch_vccz .LBB208_19
.LBB208_3:
	v_cmp_ne_u32_e32 vcc_lo, 1, v1
	v_mov_b32_e32 v12, s3
	s_cbranch_vccnz .LBB208_5
.LBB208_4:
	v_dual_mov_b32 v1, s2 :: v_dual_mov_b32 v2, s3
	flat_load_b32 v12, v[1:2] offset:4
.LBB208_5:
	s_waitcnt vmcnt(0) lgkmcnt(0)
	v_cmp_eq_f32_e32 vcc_lo, 0, v9
	v_cmp_eq_f32_e64 s2, 0, v10
	s_delay_alu instid0(VALU_DEP_1)
	s_and_b32 s4, vcc_lo, s2
	s_mov_b32 s2, -1
	s_and_saveexec_b32 s3, s4
; %bb.6:
	v_cmp_neq_f32_e32 vcc_lo, 1.0, v11
	v_cmp_neq_f32_e64 s2, 0, v12
	s_delay_alu instid0(VALU_DEP_1) | instskip(NEXT) | instid1(SALU_CYCLE_1)
	s_or_b32 s2, vcc_lo, s2
	s_or_not1_b32 s2, s2, exec_lo
; %bb.7:
	s_or_b32 exec_lo, exec_lo, s3
	s_and_saveexec_b32 s3, s2
	s_cbranch_execz .LBB208_37
; %bb.8:
	s_load_b64 s[2:3], s[0:1], 0x0
	v_lshrrev_b32_e32 v1, 3, v0
	s_delay_alu instid0(VALU_DEP_1) | instskip(SKIP_1) | instid1(VALU_DEP_1)
	v_lshl_or_b32 v1, s15, 4, v1
	s_waitcnt lgkmcnt(0)
	v_cmp_gt_i32_e32 vcc_lo, s2, v1
	s_and_b32 exec_lo, exec_lo, vcc_lo
	s_cbranch_execz .LBB208_37
; %bb.9:
	s_load_b256 s[4:11], s[0:1], 0x10
	v_ashrrev_i32_e32 v2, 31, v1
	v_and_b32_e32 v0, 7, v0
	s_cmp_lg_u32 s3, 0
	s_delay_alu instid0(VALU_DEP_2) | instskip(SKIP_1) | instid1(VALU_DEP_1)
	v_lshlrev_b64 v[2:3], 2, v[1:2]
	s_waitcnt lgkmcnt(0)
	v_add_co_u32 v2, vcc_lo, s4, v2
	s_delay_alu instid0(VALU_DEP_2) | instskip(SKIP_4) | instid1(VALU_DEP_2)
	v_add_co_ci_u32_e32 v3, vcc_lo, s5, v3, vcc_lo
	global_load_b64 v[3:4], v[2:3], off
	s_waitcnt vmcnt(0)
	v_subrev_nc_u32_e32 v2, s12, v3
	v_subrev_nc_u32_e32 v13, s12, v4
	v_add_nc_u32_e32 v2, v2, v0
	s_delay_alu instid0(VALU_DEP_1)
	v_cmp_lt_i32_e64 s2, v2, v13
	s_cbranch_scc0 .LBB208_20
; %bb.10:
	v_dual_mov_b32 v8, 0 :: v_dual_mov_b32 v15, 0
	v_mov_b32_e32 v14, 0
	v_mov_b32_e32 v16, 0
	s_mov_b32 s3, 0
	s_and_saveexec_b32 s4, s2
	s_cbranch_execz .LBB208_22
; %bb.11:
	v_mul_lo_u32 v4, v3, 26
	v_mul_lo_u32 v17, v2, 26
	s_mul_i32 s5, s12, 26
	v_dual_mov_b32 v5, 0 :: v_dual_mov_b32 v6, v2
	v_dual_mov_b32 v8, 0 :: v_dual_mov_b32 v15, 0
	v_mov_b32_e32 v14, 0
	v_mad_u32_u24 v4, v0, 26, v4
	v_mov_b32_e32 v16, 0
	s_delay_alu instid0(VALU_DEP_2)
	v_subrev_nc_u32_e32 v18, s5, v4
	s_mov_b32 s5, 0
	s_branch .LBB208_13
.LBB208_12:                             ;   in Loop: Header=BB208_13 Depth=1
	v_add_nc_u32_e32 v6, 8, v6
	v_add_nc_u32_e32 v17, 0xd0, v17
	v_add_nc_u32_e32 v18, 0xd0, v18
	s_delay_alu instid0(VALU_DEP_3) | instskip(SKIP_1) | instid1(SALU_CYCLE_1)
	v_cmp_ge_i32_e32 vcc_lo, v6, v13
	s_or_b32 s5, vcc_lo, s5
	s_and_not1_b32 exec_lo, exec_lo, s5
	s_cbranch_execz .LBB208_21
.LBB208_13:                             ; =>This Loop Header: Depth=1
                                        ;     Child Loop BB208_15 Depth 2
	v_ashrrev_i32_e32 v7, 31, v6
	v_dual_mov_b32 v21, v14 :: v_dual_mov_b32 v22, v16
	s_mov_b32 s13, 0
	s_delay_alu instid0(VALU_DEP_2) | instskip(NEXT) | instid1(VALU_DEP_1)
	v_lshlrev_b64 v[19:20], 2, v[6:7]
	v_add_co_u32 v19, vcc_lo, s6, v19
	s_delay_alu instid0(VALU_DEP_2) | instskip(SKIP_4) | instid1(VALU_DEP_1)
	v_add_co_ci_u32_e32 v20, vcc_lo, s7, v20, vcc_lo
	global_load_b32 v4, v[19:20], off
	v_dual_mov_b32 v19, v8 :: v_dual_mov_b32 v20, v15
	s_waitcnt vmcnt(0)
	v_subrev_nc_u32_e32 v4, s12, v4
	v_mul_lo_u32 v7, v4, 13
	s_branch .LBB208_15
.LBB208_14:                             ;   in Loop: Header=BB208_13 Depth=1
                                        ; implicit-def: $vgpr20
                                        ; implicit-def: $vgpr22
                                        ; implicit-def: $vgpr21
                                        ; implicit-def: $vgpr19
                                        ; implicit-def: $sgpr13
                                        ; implicit-def: $vgpr7
	s_branch .LBB208_12
.LBB208_15:                             ;   Parent Loop BB208_13 Depth=1
                                        ; =>  This Inner Loop Header: Depth=2
	v_add_nc_u32_e32 v4, s13, v18
	v_mov_b32_e32 v8, v5
	s_cmp_eq_u32 s13, 24
	s_delay_alu instid0(VALU_DEP_2) | instskip(NEXT) | instid1(VALU_DEP_2)
	v_lshlrev_b64 v[14:15], 3, v[4:5]
	v_lshlrev_b64 v[23:24], 3, v[7:8]
	s_delay_alu instid0(VALU_DEP_2) | instskip(NEXT) | instid1(VALU_DEP_3)
	v_add_co_u32 v14, vcc_lo, s8, v14
	v_add_co_ci_u32_e32 v15, vcc_lo, s9, v15, vcc_lo
	s_delay_alu instid0(VALU_DEP_3) | instskip(NEXT) | instid1(VALU_DEP_4)
	v_add_co_u32 v27, vcc_lo, s10, v23
	v_add_co_ci_u32_e32 v28, vcc_lo, s11, v24, vcc_lo
	global_load_b128 v[23:26], v[14:15], off
	global_load_b64 v[27:28], v[27:28], off
	s_waitcnt vmcnt(0)
	v_fmac_f32_e32 v21, v23, v27
	v_fmac_f32_e32 v19, v24, v27
	;; [unrolled: 1-line block ×4, first 2 shown]
	s_delay_alu instid0(VALU_DEP_4) | instskip(NEXT) | instid1(VALU_DEP_3)
	v_fma_f32 v14, -v24, v28, v21
	v_dual_mov_b32 v8, v19 :: v_dual_mov_b32 v15, v20
	s_delay_alu instid0(VALU_DEP_3) | instskip(NEXT) | instid1(VALU_DEP_2)
	v_fma_f32 v16, -v26, v28, v22
	v_fmac_f32_e32 v8, v23, v28
	s_delay_alu instid0(VALU_DEP_3)
	v_fmac_f32_e32 v15, v25, v28
	s_cbranch_scc1 .LBB208_14
; %bb.16:                               ;   in Loop: Header=BB208_15 Depth=2
	v_add_nc_u32_e32 v29, s13, v17
	s_add_i32 s13, s13, 8
	s_delay_alu instid0(VALU_DEP_1) | instskip(NEXT) | instid1(VALU_DEP_1)
	v_add_nc_u32_e32 v4, 2, v29
	v_lshlrev_b64 v[19:20], 3, v[4:5]
	v_add_nc_u32_e32 v4, 1, v7
	s_delay_alu instid0(VALU_DEP_1) | instskip(SKIP_1) | instid1(VALU_DEP_4)
	v_lshlrev_b64 v[21:22], 3, v[4:5]
	v_add_nc_u32_e32 v4, 4, v29
	v_add_co_u32 v19, vcc_lo, s8, v19
	v_add_co_ci_u32_e32 v20, vcc_lo, s9, v20, vcc_lo
	s_delay_alu instid0(VALU_DEP_3) | instskip(SKIP_3) | instid1(VALU_DEP_4)
	v_lshlrev_b64 v[25:26], 3, v[4:5]
	v_add_co_u32 v27, vcc_lo, s10, v21
	v_add_co_ci_u32_e32 v28, vcc_lo, s11, v22, vcc_lo
	v_add_nc_u32_e32 v4, 2, v7
	v_add_co_u32 v25, vcc_lo, s8, v25
	v_add_co_ci_u32_e32 v26, vcc_lo, s9, v26, vcc_lo
	global_load_b128 v[21:24], v[19:20], off
	global_load_b64 v[33:34], v[27:28], off
	global_load_b128 v[25:28], v[25:26], off
	v_lshlrev_b64 v[19:20], 3, v[4:5]
	s_delay_alu instid0(VALU_DEP_1) | instskip(NEXT) | instid1(VALU_DEP_2)
	v_add_co_u32 v19, vcc_lo, s10, v19
	v_add_co_ci_u32_e32 v20, vcc_lo, s11, v20, vcc_lo
	global_load_b64 v[35:36], v[19:20], off
	v_add_nc_u32_e32 v4, 6, v29
	s_delay_alu instid0(VALU_DEP_1) | instskip(SKIP_2) | instid1(VALU_DEP_2)
	v_lshlrev_b64 v[29:30], 3, v[4:5]
	v_add_nc_u32_e32 v4, 3, v7
	v_add_nc_u32_e32 v7, 4, v7
	v_lshlrev_b64 v[31:32], 3, v[4:5]
	s_delay_alu instid0(VALU_DEP_4) | instskip(SKIP_1) | instid1(VALU_DEP_3)
	v_add_co_u32 v19, vcc_lo, s8, v29
	v_add_co_ci_u32_e32 v20, vcc_lo, s9, v30, vcc_lo
	v_add_co_u32 v37, vcc_lo, s10, v31
	s_delay_alu instid0(VALU_DEP_4)
	v_add_co_ci_u32_e32 v38, vcc_lo, s11, v32, vcc_lo
	global_load_b128 v[29:32], v[19:20], off
	global_load_b64 v[37:38], v[37:38], off
	s_waitcnt vmcnt(4)
	v_fma_f32 v4, v21, v33, v14
	v_fma_f32 v19, v22, v33, v8
	;; [unrolled: 1-line block ×4, first 2 shown]
	s_delay_alu instid0(VALU_DEP_4) | instskip(NEXT) | instid1(VALU_DEP_4)
	v_fma_f32 v4, -v22, v34, v4
	v_fmac_f32_e32 v19, v21, v34
	s_delay_alu instid0(VALU_DEP_4) | instskip(NEXT) | instid1(VALU_DEP_4)
	v_fma_f32 v21, -v24, v34, v39
	v_fmac_f32_e32 v20, v23, v34
	s_waitcnt vmcnt(2)
	v_fmac_f32_e32 v4, v25, v35
	v_fmac_f32_e32 v19, v26, v35
	;; [unrolled: 1-line block ×4, first 2 shown]
	s_delay_alu instid0(VALU_DEP_4) | instskip(NEXT) | instid1(VALU_DEP_4)
	v_fma_f32 v4, -v26, v36, v4
	v_fmac_f32_e32 v19, v25, v36
	s_delay_alu instid0(VALU_DEP_4) | instskip(NEXT) | instid1(VALU_DEP_4)
	v_fma_f32 v22, -v28, v36, v21
	v_fmac_f32_e32 v20, v27, v36
	s_waitcnt vmcnt(0)
	v_fmac_f32_e32 v4, v29, v37
	v_fmac_f32_e32 v19, v30, v37
	;; [unrolled: 1-line block ×4, first 2 shown]
	s_delay_alu instid0(VALU_DEP_4) | instskip(NEXT) | instid1(VALU_DEP_4)
	v_fma_f32 v21, -v30, v38, v4
	v_fmac_f32_e32 v19, v29, v38
	s_delay_alu instid0(VALU_DEP_4) | instskip(NEXT) | instid1(VALU_DEP_4)
	v_fma_f32 v22, -v32, v38, v22
	v_fmac_f32_e32 v20, v31, v38
	s_cbranch_execnz .LBB208_15
	s_branch .LBB208_12
.LBB208_17:
	v_dual_mov_b32 v1, s4 :: v_dual_mov_b32 v2, s5
	flat_load_b32 v9, v[1:2]
	v_cndmask_b32_e64 v1, 0, 1, s6
	v_mov_b32_e32 v10, s5
	s_and_not1_b32 vcc_lo, exec_lo, s6
	s_cbranch_vccnz .LBB208_2
.LBB208_18:
	v_dual_mov_b32 v2, s4 :: v_dual_mov_b32 v3, s5
	flat_load_b32 v10, v[2:3] offset:4
	v_cmp_ne_u32_e32 vcc_lo, 1, v1
	v_mov_b32_e32 v11, s2
	s_cbranch_vccnz .LBB208_3
.LBB208_19:
	v_dual_mov_b32 v2, s2 :: v_dual_mov_b32 v3, s3
	flat_load_b32 v11, v[2:3]
	v_cmp_ne_u32_e32 vcc_lo, 1, v1
	v_mov_b32_e32 v12, s3
	s_cbranch_vccz .LBB208_4
	s_branch .LBB208_5
.LBB208_20:
                                        ; implicit-def: $vgpr8
                                        ; implicit-def: $vgpr14
                                        ; implicit-def: $vgpr16
                                        ; implicit-def: $vgpr15
	s_branch .LBB208_23
.LBB208_21:
	s_or_b32 exec_lo, exec_lo, s5
.LBB208_22:
	s_delay_alu instid0(SALU_CYCLE_1) | instskip(NEXT) | instid1(SALU_CYCLE_1)
	s_or_b32 exec_lo, exec_lo, s4
	s_and_not1_b32 vcc_lo, exec_lo, s3
	s_cbranch_vccnz .LBB208_32
.LBB208_23:
	v_dual_mov_b32 v8, 0 :: v_dual_mov_b32 v15, 0
	v_mov_b32_e32 v14, 0
	v_mov_b32_e32 v16, 0
	s_and_saveexec_b32 s3, s2
	s_cbranch_execz .LBB208_31
; %bb.24:
	v_mul_lo_u32 v3, v3, 26
	v_mul_lo_u32 v5, v2, 26
	s_mul_i32 s2, s12, 26
	v_dual_mov_b32 v4, 0 :: v_dual_mov_b32 v15, 0
	v_mov_b32_e32 v8, 0
	v_mov_b32_e32 v14, 0
	;; [unrolled: 1-line block ×3, first 2 shown]
	v_mad_u32_u24 v3, v0, 26, v3
	s_delay_alu instid0(VALU_DEP_1)
	v_subrev_nc_u32_e32 v6, s2, v3
	s_mov_b32 s2, 0
	s_branch .LBB208_26
.LBB208_25:                             ;   in Loop: Header=BB208_26 Depth=1
	v_add_nc_u32_e32 v2, 8, v2
	v_add_nc_u32_e32 v5, 0xd0, v5
	;; [unrolled: 1-line block ×3, first 2 shown]
	s_delay_alu instid0(VALU_DEP_3) | instskip(SKIP_1) | instid1(SALU_CYCLE_1)
	v_cmp_ge_i32_e32 vcc_lo, v2, v13
	s_or_b32 s2, vcc_lo, s2
	s_and_not1_b32 exec_lo, exec_lo, s2
	s_cbranch_execz .LBB208_30
.LBB208_26:                             ; =>This Loop Header: Depth=1
                                        ;     Child Loop BB208_28 Depth 2
	v_ashrrev_i32_e32 v3, 31, v2
	v_dual_mov_b32 v20, v14 :: v_dual_mov_b32 v21, v16
	s_mov_b32 s4, 0
	v_mov_b32_e32 v19, v15
	s_delay_alu instid0(VALU_DEP_3) | instskip(NEXT) | instid1(VALU_DEP_1)
	v_lshlrev_b64 v[17:18], 2, v[2:3]
	v_add_co_u32 v17, vcc_lo, s6, v17
	s_delay_alu instid0(VALU_DEP_2) | instskip(SKIP_4) | instid1(VALU_DEP_1)
	v_add_co_ci_u32_e32 v18, vcc_lo, s7, v18, vcc_lo
	global_load_b32 v3, v[17:18], off
	v_mov_b32_e32 v18, v8
	s_waitcnt vmcnt(0)
	v_subrev_nc_u32_e32 v3, s12, v3
	v_mul_lo_u32 v7, v3, 13
	s_branch .LBB208_28
.LBB208_27:                             ;   in Loop: Header=BB208_26 Depth=1
                                        ; implicit-def: $vgpr19
                                        ; implicit-def: $vgpr21
                                        ; implicit-def: $vgpr20
                                        ; implicit-def: $vgpr18
                                        ; implicit-def: $sgpr4
	s_branch .LBB208_25
.LBB208_28:                             ;   Parent Loop BB208_26 Depth=1
                                        ; =>  This Inner Loop Header: Depth=2
	v_add_nc_u32_e32 v3, s4, v6
	v_add_nc_u32_e32 v17, s4, v5
	v_mov_b32_e32 v15, v4
	s_cmp_eq_u32 s4, 12
	s_delay_alu instid0(VALU_DEP_3) | instskip(NEXT) | instid1(VALU_DEP_3)
	v_lshlrev_b64 v[22:23], 3, v[3:4]
	v_add_nc_u32_e32 v14, 13, v17
	v_add_nc_u32_e32 v3, s4, v7
	s_delay_alu instid0(VALU_DEP_2) | instskip(NEXT) | instid1(VALU_DEP_2)
	v_lshlrev_b64 v[14:15], 3, v[14:15]
	v_lshlrev_b64 v[24:25], 3, v[3:4]
	v_add_co_u32 v22, vcc_lo, s8, v22
	v_add_co_ci_u32_e32 v23, vcc_lo, s9, v23, vcc_lo
	s_delay_alu instid0(VALU_DEP_3) | instskip(NEXT) | instid1(VALU_DEP_4)
	v_add_co_u32 v24, vcc_lo, s10, v24
	v_add_co_ci_u32_e32 v25, vcc_lo, s11, v25, vcc_lo
	v_add_co_u32 v14, vcc_lo, s8, v14
	v_add_co_ci_u32_e32 v15, vcc_lo, s9, v15, vcc_lo
	global_load_b64 v[22:23], v[22:23], off
	global_load_b64 v[24:25], v[24:25], off
	;; [unrolled: 1-line block ×3, first 2 shown]
	s_waitcnt vmcnt(1)
	v_fmac_f32_e32 v18, v23, v24
	v_fmac_f32_e32 v20, v22, v24
	s_waitcnt vmcnt(0)
	v_fmac_f32_e32 v21, v26, v24
	s_delay_alu instid0(VALU_DEP_3) | instskip(NEXT) | instid1(VALU_DEP_3)
	v_dual_mov_b32 v8, v18 :: v_dual_fmac_f32 v19, v27, v24
	v_fma_f32 v14, -v23, v25, v20
	s_delay_alu instid0(VALU_DEP_3) | instskip(NEXT) | instid1(VALU_DEP_3)
	v_fma_f32 v16, -v27, v25, v21
	v_dual_fmac_f32 v8, v22, v25 :: v_dual_mov_b32 v15, v19
	s_delay_alu instid0(VALU_DEP_1)
	v_fmac_f32_e32 v15, v26, v25
	s_cbranch_scc1 .LBB208_27
; %bb.29:                               ;   in Loop: Header=BB208_28 Depth=2
	v_dual_mov_b32 v19, v4 :: v_dual_add_nc_u32 v18, 1, v17
	v_dual_mov_b32 v21, v4 :: v_dual_add_nc_u32 v20, 1, v3
	;; [unrolled: 1-line block ×3, first 2 shown]
	s_delay_alu instid0(VALU_DEP_3) | instskip(SKIP_1) | instid1(VALU_DEP_4)
	v_lshlrev_b64 v[18:19], 3, v[18:19]
	v_dual_mov_b32 v25, v4 :: v_dual_add_nc_u32 v24, 2, v17
	v_lshlrev_b64 v[20:21], 3, v[20:21]
	s_add_i32 s4, s4, 4
	s_delay_alu instid0(VALU_DEP_3) | instskip(NEXT) | instid1(VALU_DEP_4)
	v_add_co_u32 v18, vcc_lo, s8, v18
	v_add_co_ci_u32_e32 v19, vcc_lo, s9, v19, vcc_lo
	s_delay_alu instid0(VALU_DEP_3) | instskip(NEXT) | instid1(VALU_DEP_4)
	v_add_co_u32 v20, vcc_lo, s10, v20
	v_add_co_ci_u32_e32 v21, vcc_lo, s11, v21, vcc_lo
	global_load_b64 v[28:29], v[18:19], off
	v_lshlrev_b64 v[18:19], 3, v[22:23]
	v_add_nc_u32_e32 v22, 2, v3
	global_load_b64 v[30:31], v[20:21], off
	v_lshlrev_b64 v[20:21], 3, v[24:25]
	v_add_co_u32 v18, vcc_lo, s8, v18
	v_lshlrev_b64 v[22:23], 3, v[22:23]
	v_add_co_ci_u32_e32 v19, vcc_lo, s9, v19, vcc_lo
	s_delay_alu instid0(VALU_DEP_4) | instskip(SKIP_1) | instid1(VALU_DEP_4)
	v_add_co_u32 v24, vcc_lo, s8, v20
	v_add_co_ci_u32_e32 v25, vcc_lo, s9, v21, vcc_lo
	v_add_co_u32 v32, vcc_lo, s10, v22
	v_add_co_ci_u32_e32 v33, vcc_lo, s11, v23, vcc_lo
	s_clause 0x1
	global_load_b128 v[20:23], v[18:19], off
	global_load_b128 v[24:27], v[24:25], off
	global_load_b64 v[32:33], v[32:33], off
	v_add_nc_u32_e32 v3, 3, v3
	s_delay_alu instid0(VALU_DEP_1) | instskip(SKIP_1) | instid1(VALU_DEP_1)
	v_lshlrev_b64 v[18:19], 3, v[3:4]
	v_add_nc_u32_e32 v3, 16, v17
	v_lshlrev_b64 v[34:35], 3, v[3:4]
	s_delay_alu instid0(VALU_DEP_3) | instskip(NEXT) | instid1(VALU_DEP_4)
	v_add_co_u32 v17, vcc_lo, s10, v18
	v_add_co_ci_u32_e32 v18, vcc_lo, s11, v19, vcc_lo
	s_delay_alu instid0(VALU_DEP_3) | instskip(NEXT) | instid1(VALU_DEP_4)
	v_add_co_u32 v34, vcc_lo, s8, v34
	v_add_co_ci_u32_e32 v35, vcc_lo, s9, v35, vcc_lo
	global_load_b64 v[36:37], v[17:18], off
	global_load_b64 v[34:35], v[34:35], off
	s_waitcnt vmcnt(5)
	v_fma_f32 v18, v29, v30, v8
	v_fma_f32 v3, v28, v30, v14
	s_delay_alu instid0(VALU_DEP_2) | instskip(NEXT) | instid1(VALU_DEP_2)
	v_fmac_f32_e32 v18, v28, v31
	v_fma_f32 v3, -v29, v31, v3
	s_waitcnt vmcnt(4)
	v_fma_f32 v17, v20, v30, v16
	v_fma_f32 v19, v21, v30, v15
	s_waitcnt vmcnt(2)
	v_fmac_f32_e32 v18, v25, v32
	v_fmac_f32_e32 v3, v24, v32
	v_fma_f32 v17, -v21, v31, v17
	s_delay_alu instid0(VALU_DEP_3) | instskip(SKIP_1) | instid1(VALU_DEP_4)
	v_fmac_f32_e32 v18, v24, v33
	v_fmac_f32_e32 v19, v20, v31
	v_fma_f32 v3, -v25, v33, v3
	s_delay_alu instid0(VALU_DEP_4) | instskip(NEXT) | instid1(VALU_DEP_1)
	v_fmac_f32_e32 v17, v22, v32
	v_fma_f32 v17, -v23, v33, v17
	s_waitcnt vmcnt(1)
	v_fmac_f32_e32 v18, v27, v36
	v_fmac_f32_e32 v19, v23, v32
	;; [unrolled: 1-line block ×3, first 2 shown]
	s_waitcnt vmcnt(0)
	v_fmac_f32_e32 v17, v34, v36
	v_fmac_f32_e32 v18, v26, v37
	;; [unrolled: 1-line block ×3, first 2 shown]
	v_fma_f32 v20, -v27, v37, v3
	s_delay_alu instid0(VALU_DEP_4) | instskip(NEXT) | instid1(VALU_DEP_3)
	v_fma_f32 v21, -v35, v37, v17
	v_fmac_f32_e32 v19, v35, v36
	s_delay_alu instid0(VALU_DEP_1)
	v_fmac_f32_e32 v19, v34, v37
	s_cbranch_execnz .LBB208_28
	s_branch .LBB208_25
.LBB208_30:
	s_or_b32 exec_lo, exec_lo, s2
.LBB208_31:
	s_delay_alu instid0(SALU_CYCLE_1)
	s_or_b32 exec_lo, exec_lo, s3
.LBB208_32:
	v_mbcnt_lo_u32_b32 v2, -1, 0
	s_delay_alu instid0(VALU_DEP_1) | instskip(SKIP_1) | instid1(VALU_DEP_2)
	v_xor_b32_e32 v3, 4, v2
	v_xor_b32_e32 v7, 2, v2
	v_cmp_gt_i32_e32 vcc_lo, 32, v3
	v_cndmask_b32_e32 v3, v2, v3, vcc_lo
	s_delay_alu instid0(VALU_DEP_3) | instskip(NEXT) | instid1(VALU_DEP_2)
	v_cmp_gt_i32_e32 vcc_lo, 32, v7
	v_lshlrev_b32_e32 v3, 2, v3
	ds_bpermute_b32 v4, v3, v14
	s_waitcnt lgkmcnt(0)
	v_add_f32_e32 v4, v14, v4
	ds_bpermute_b32 v6, v3, v16
	ds_bpermute_b32 v5, v3, v8
	;; [unrolled: 1-line block ×3, first 2 shown]
	s_waitcnt lgkmcnt(2)
	v_dual_cndmask_b32 v7, v2, v7 :: v_dual_add_f32 v6, v16, v6
	s_delay_alu instid0(VALU_DEP_1)
	v_lshlrev_b32_e32 v7, 2, v7
	s_waitcnt lgkmcnt(0)
	v_add_f32_e32 v3, v15, v3
	v_xor_b32_e32 v15, 1, v2
	ds_bpermute_b32 v14, v7, v6
	v_cmp_gt_i32_e32 vcc_lo, 32, v15
	v_dual_add_f32 v5, v8, v5 :: v_dual_cndmask_b32 v2, v2, v15
	v_cmp_eq_u32_e32 vcc_lo, 7, v0
	s_delay_alu instid0(VALU_DEP_2)
	v_lshlrev_b32_e32 v15, 2, v2
	s_waitcnt lgkmcnt(0)
	v_add_f32_e32 v2, v6, v14
	ds_bpermute_b32 v8, v7, v4
	ds_bpermute_b32 v13, v7, v5
	;; [unrolled: 1-line block ×4, first 2 shown]
	s_waitcnt lgkmcnt(2)
	v_dual_add_f32 v4, v4, v8 :: v_dual_add_f32 v5, v5, v13
	s_waitcnt lgkmcnt(1)
	v_add_f32_e32 v3, v3, v7
	ds_bpermute_b32 v8, v15, v4
	ds_bpermute_b32 v13, v15, v5
	;; [unrolled: 1-line block ×3, first 2 shown]
	s_and_b32 exec_lo, exec_lo, vcc_lo
	s_cbranch_execz .LBB208_37
; %bb.33:
	s_load_b64 s[2:3], s[0:1], 0x38
	v_cmp_eq_f32_e32 vcc_lo, 0, v11
	v_cmp_eq_f32_e64 s0, 0, v12
	s_waitcnt lgkmcnt(0)
	v_dual_add_f32 v0, v4, v8 :: v_dual_add_f32 v3, v3, v7
	v_add_f32_e32 v4, v5, v13
	v_add_f32_e32 v2, v2, v6
	s_and_b32 s0, vcc_lo, s0
	s_delay_alu instid0(SALU_CYCLE_1) | instskip(NEXT) | instid1(SALU_CYCLE_1)
	s_and_saveexec_b32 s1, s0
	s_xor_b32 s0, exec_lo, s1
	s_cbranch_execz .LBB208_35
; %bb.34:
	v_mul_f32_e64 v5, v4, -v10
	v_mul_f32_e32 v6, v4, v9
	v_mul_f32_e64 v7, v3, -v10
	v_mul_f32_e32 v8, v3, v9
                                        ; implicit-def: $vgpr4
                                        ; implicit-def: $vgpr3
	s_delay_alu instid0(VALU_DEP_4) | instskip(NEXT) | instid1(VALU_DEP_4)
	v_fmac_f32_e32 v5, v9, v0
	v_dual_fmac_f32 v6, v10, v0 :: v_dual_lshlrev_b32 v11, 1, v1
	s_delay_alu instid0(VALU_DEP_4) | instskip(NEXT) | instid1(VALU_DEP_4)
	v_fmac_f32_e32 v7, v9, v2
	v_fmac_f32_e32 v8, v10, v2
                                        ; implicit-def: $vgpr9
                                        ; implicit-def: $vgpr10
                                        ; implicit-def: $vgpr2
	s_delay_alu instid0(VALU_DEP_3) | instskip(NEXT) | instid1(VALU_DEP_1)
	v_ashrrev_i32_e32 v12, 31, v11
	v_lshlrev_b64 v[11:12], 3, v[11:12]
	s_delay_alu instid0(VALU_DEP_1) | instskip(NEXT) | instid1(VALU_DEP_2)
	v_add_co_u32 v0, vcc_lo, s2, v11
	v_add_co_ci_u32_e32 v1, vcc_lo, s3, v12, vcc_lo
                                        ; implicit-def: $vgpr11
                                        ; implicit-def: $vgpr12
	global_store_b128 v[0:1], v[5:8], off
                                        ; implicit-def: $vgpr1
                                        ; implicit-def: $vgpr0
.LBB208_35:
	s_and_not1_saveexec_b32 s0, s0
	s_cbranch_execz .LBB208_37
; %bb.36:
	v_lshlrev_b32_e32 v5, 1, v1
	v_mul_f32_e64 v15, v4, -v10
	v_mul_f32_e32 v1, v4, v9
	v_mul_f32_e64 v4, v3, -v10
	v_mul_f32_e32 v3, v3, v9
	s_delay_alu instid0(VALU_DEP_4) | instskip(NEXT) | instid1(VALU_DEP_3)
	v_fmac_f32_e32 v15, v9, v0
	v_fmac_f32_e32 v4, v9, v2
	v_ashrrev_i32_e32 v6, 31, v5
	s_delay_alu instid0(VALU_DEP_4) | instskip(NEXT) | instid1(VALU_DEP_2)
	v_fmac_f32_e32 v3, v10, v2
	v_lshlrev_b64 v[5:6], 3, v[5:6]
	s_delay_alu instid0(VALU_DEP_1) | instskip(NEXT) | instid1(VALU_DEP_2)
	v_add_co_u32 v13, vcc_lo, s2, v5
	v_add_co_ci_u32_e32 v14, vcc_lo, s3, v6, vcc_lo
	global_load_b128 v[5:8], v[13:14], off
	s_waitcnt vmcnt(0)
	v_dual_fmac_f32 v4, v11, v7 :: v_dual_fmac_f32 v1, v10, v0
	v_fmac_f32_e32 v15, v11, v5
	v_fmac_f32_e32 v3, v12, v7
	s_delay_alu instid0(VALU_DEP_3) | instskip(NEXT) | instid1(VALU_DEP_4)
	v_fma_f32 v2, -v12, v8, v4
	v_fmac_f32_e32 v1, v12, v5
	s_delay_alu instid0(VALU_DEP_4) | instskip(NEXT) | instid1(VALU_DEP_4)
	v_fma_f32 v0, -v12, v6, v15
	v_fmac_f32_e32 v3, v11, v8
	s_delay_alu instid0(VALU_DEP_3)
	v_fmac_f32_e32 v1, v11, v6
	global_store_b128 v[13:14], v[0:3], off
.LBB208_37:
	s_nop 0
	s_sendmsg sendmsg(MSG_DEALLOC_VGPRS)
	s_endpgm
	.section	.rodata,"a",@progbits
	.p2align	6, 0x0
	.amdhsa_kernel _ZN9rocsparseL19gebsrmvn_2xn_kernelILj128ELj13ELj8E21rocsparse_complex_numIfEEEvi20rocsparse_direction_NS_24const_host_device_scalarIT2_EEPKiS8_PKS5_SA_S6_PS5_21rocsparse_index_base_b
		.amdhsa_group_segment_fixed_size 0
		.amdhsa_private_segment_fixed_size 0
		.amdhsa_kernarg_size 72
		.amdhsa_user_sgpr_count 15
		.amdhsa_user_sgpr_dispatch_ptr 0
		.amdhsa_user_sgpr_queue_ptr 0
		.amdhsa_user_sgpr_kernarg_segment_ptr 1
		.amdhsa_user_sgpr_dispatch_id 0
		.amdhsa_user_sgpr_private_segment_size 0
		.amdhsa_wavefront_size32 1
		.amdhsa_uses_dynamic_stack 0
		.amdhsa_enable_private_segment 0
		.amdhsa_system_sgpr_workgroup_id_x 1
		.amdhsa_system_sgpr_workgroup_id_y 0
		.amdhsa_system_sgpr_workgroup_id_z 0
		.amdhsa_system_sgpr_workgroup_info 0
		.amdhsa_system_vgpr_workitem_id 0
		.amdhsa_next_free_vgpr 40
		.amdhsa_next_free_sgpr 16
		.amdhsa_reserve_vcc 1
		.amdhsa_float_round_mode_32 0
		.amdhsa_float_round_mode_16_64 0
		.amdhsa_float_denorm_mode_32 3
		.amdhsa_float_denorm_mode_16_64 3
		.amdhsa_dx10_clamp 1
		.amdhsa_ieee_mode 1
		.amdhsa_fp16_overflow 0
		.amdhsa_workgroup_processor_mode 1
		.amdhsa_memory_ordered 1
		.amdhsa_forward_progress 0
		.amdhsa_shared_vgpr_count 0
		.amdhsa_exception_fp_ieee_invalid_op 0
		.amdhsa_exception_fp_denorm_src 0
		.amdhsa_exception_fp_ieee_div_zero 0
		.amdhsa_exception_fp_ieee_overflow 0
		.amdhsa_exception_fp_ieee_underflow 0
		.amdhsa_exception_fp_ieee_inexact 0
		.amdhsa_exception_int_div_zero 0
	.end_amdhsa_kernel
	.section	.text._ZN9rocsparseL19gebsrmvn_2xn_kernelILj128ELj13ELj8E21rocsparse_complex_numIfEEEvi20rocsparse_direction_NS_24const_host_device_scalarIT2_EEPKiS8_PKS5_SA_S6_PS5_21rocsparse_index_base_b,"axG",@progbits,_ZN9rocsparseL19gebsrmvn_2xn_kernelILj128ELj13ELj8E21rocsparse_complex_numIfEEEvi20rocsparse_direction_NS_24const_host_device_scalarIT2_EEPKiS8_PKS5_SA_S6_PS5_21rocsparse_index_base_b,comdat
.Lfunc_end208:
	.size	_ZN9rocsparseL19gebsrmvn_2xn_kernelILj128ELj13ELj8E21rocsparse_complex_numIfEEEvi20rocsparse_direction_NS_24const_host_device_scalarIT2_EEPKiS8_PKS5_SA_S6_PS5_21rocsparse_index_base_b, .Lfunc_end208-_ZN9rocsparseL19gebsrmvn_2xn_kernelILj128ELj13ELj8E21rocsparse_complex_numIfEEEvi20rocsparse_direction_NS_24const_host_device_scalarIT2_EEPKiS8_PKS5_SA_S6_PS5_21rocsparse_index_base_b
                                        ; -- End function
	.section	.AMDGPU.csdata,"",@progbits
; Kernel info:
; codeLenInByte = 2660
; NumSgprs: 18
; NumVgprs: 40
; ScratchSize: 0
; MemoryBound: 0
; FloatMode: 240
; IeeeMode: 1
; LDSByteSize: 0 bytes/workgroup (compile time only)
; SGPRBlocks: 2
; VGPRBlocks: 4
; NumSGPRsForWavesPerEU: 18
; NumVGPRsForWavesPerEU: 40
; Occupancy: 16
; WaveLimiterHint : 1
; COMPUTE_PGM_RSRC2:SCRATCH_EN: 0
; COMPUTE_PGM_RSRC2:USER_SGPR: 15
; COMPUTE_PGM_RSRC2:TRAP_HANDLER: 0
; COMPUTE_PGM_RSRC2:TGID_X_EN: 1
; COMPUTE_PGM_RSRC2:TGID_Y_EN: 0
; COMPUTE_PGM_RSRC2:TGID_Z_EN: 0
; COMPUTE_PGM_RSRC2:TIDIG_COMP_CNT: 0
	.section	.text._ZN9rocsparseL19gebsrmvn_2xn_kernelILj128ELj13ELj16E21rocsparse_complex_numIfEEEvi20rocsparse_direction_NS_24const_host_device_scalarIT2_EEPKiS8_PKS5_SA_S6_PS5_21rocsparse_index_base_b,"axG",@progbits,_ZN9rocsparseL19gebsrmvn_2xn_kernelILj128ELj13ELj16E21rocsparse_complex_numIfEEEvi20rocsparse_direction_NS_24const_host_device_scalarIT2_EEPKiS8_PKS5_SA_S6_PS5_21rocsparse_index_base_b,comdat
	.globl	_ZN9rocsparseL19gebsrmvn_2xn_kernelILj128ELj13ELj16E21rocsparse_complex_numIfEEEvi20rocsparse_direction_NS_24const_host_device_scalarIT2_EEPKiS8_PKS5_SA_S6_PS5_21rocsparse_index_base_b ; -- Begin function _ZN9rocsparseL19gebsrmvn_2xn_kernelILj128ELj13ELj16E21rocsparse_complex_numIfEEEvi20rocsparse_direction_NS_24const_host_device_scalarIT2_EEPKiS8_PKS5_SA_S6_PS5_21rocsparse_index_base_b
	.p2align	8
	.type	_ZN9rocsparseL19gebsrmvn_2xn_kernelILj128ELj13ELj16E21rocsparse_complex_numIfEEEvi20rocsparse_direction_NS_24const_host_device_scalarIT2_EEPKiS8_PKS5_SA_S6_PS5_21rocsparse_index_base_b,@function
_ZN9rocsparseL19gebsrmvn_2xn_kernelILj128ELj13ELj16E21rocsparse_complex_numIfEEEvi20rocsparse_direction_NS_24const_host_device_scalarIT2_EEPKiS8_PKS5_SA_S6_PS5_21rocsparse_index_base_b: ; @_ZN9rocsparseL19gebsrmvn_2xn_kernelILj128ELj13ELj16E21rocsparse_complex_numIfEEEvi20rocsparse_direction_NS_24const_host_device_scalarIT2_EEPKiS8_PKS5_SA_S6_PS5_21rocsparse_index_base_b
; %bb.0:
	s_clause 0x2
	s_load_b64 s[12:13], s[0:1], 0x40
	s_load_b64 s[4:5], s[0:1], 0x8
	;; [unrolled: 1-line block ×3, first 2 shown]
	s_waitcnt lgkmcnt(0)
	s_bitcmp1_b32 s13, 0
	v_mov_b32_e32 v9, s4
	s_cselect_b32 s6, -1, 0
	s_delay_alu instid0(SALU_CYCLE_1)
	s_and_b32 vcc_lo, exec_lo, s6
	s_xor_b32 s6, s6, -1
	s_cbranch_vccz .LBB209_17
; %bb.1:
	v_cndmask_b32_e64 v1, 0, 1, s6
	v_mov_b32_e32 v10, s5
	s_and_not1_b32 vcc_lo, exec_lo, s6
	s_cbranch_vccz .LBB209_18
.LBB209_2:
	s_delay_alu instid0(VALU_DEP_2)
	v_cmp_ne_u32_e32 vcc_lo, 1, v1
	v_mov_b32_e32 v11, s2
	s_cbranch_vccz .LBB209_19
.LBB209_3:
	v_cmp_ne_u32_e32 vcc_lo, 1, v1
	v_mov_b32_e32 v12, s3
	s_cbranch_vccnz .LBB209_5
.LBB209_4:
	v_dual_mov_b32 v1, s2 :: v_dual_mov_b32 v2, s3
	flat_load_b32 v12, v[1:2] offset:4
.LBB209_5:
	s_waitcnt vmcnt(0) lgkmcnt(0)
	v_cmp_eq_f32_e32 vcc_lo, 0, v9
	v_cmp_eq_f32_e64 s2, 0, v10
	s_delay_alu instid0(VALU_DEP_1)
	s_and_b32 s4, vcc_lo, s2
	s_mov_b32 s2, -1
	s_and_saveexec_b32 s3, s4
; %bb.6:
	v_cmp_neq_f32_e32 vcc_lo, 1.0, v11
	v_cmp_neq_f32_e64 s2, 0, v12
	s_delay_alu instid0(VALU_DEP_1) | instskip(NEXT) | instid1(SALU_CYCLE_1)
	s_or_b32 s2, vcc_lo, s2
	s_or_not1_b32 s2, s2, exec_lo
; %bb.7:
	s_or_b32 exec_lo, exec_lo, s3
	s_and_saveexec_b32 s3, s2
	s_cbranch_execz .LBB209_37
; %bb.8:
	s_load_b64 s[2:3], s[0:1], 0x0
	v_lshrrev_b32_e32 v1, 4, v0
	s_delay_alu instid0(VALU_DEP_1) | instskip(SKIP_1) | instid1(VALU_DEP_1)
	v_lshl_or_b32 v1, s15, 3, v1
	s_waitcnt lgkmcnt(0)
	v_cmp_gt_i32_e32 vcc_lo, s2, v1
	s_and_b32 exec_lo, exec_lo, vcc_lo
	s_cbranch_execz .LBB209_37
; %bb.9:
	s_load_b256 s[4:11], s[0:1], 0x10
	v_ashrrev_i32_e32 v2, 31, v1
	v_and_b32_e32 v0, 15, v0
	s_cmp_lg_u32 s3, 0
	s_delay_alu instid0(VALU_DEP_2) | instskip(SKIP_1) | instid1(VALU_DEP_1)
	v_lshlrev_b64 v[2:3], 2, v[1:2]
	s_waitcnt lgkmcnt(0)
	v_add_co_u32 v2, vcc_lo, s4, v2
	s_delay_alu instid0(VALU_DEP_2) | instskip(SKIP_4) | instid1(VALU_DEP_2)
	v_add_co_ci_u32_e32 v3, vcc_lo, s5, v3, vcc_lo
	global_load_b64 v[3:4], v[2:3], off
	s_waitcnt vmcnt(0)
	v_subrev_nc_u32_e32 v2, s12, v3
	v_subrev_nc_u32_e32 v13, s12, v4
	v_add_nc_u32_e32 v2, v2, v0
	s_delay_alu instid0(VALU_DEP_1)
	v_cmp_lt_i32_e64 s2, v2, v13
	s_cbranch_scc0 .LBB209_20
; %bb.10:
	v_dual_mov_b32 v8, 0 :: v_dual_mov_b32 v15, 0
	v_mov_b32_e32 v14, 0
	v_mov_b32_e32 v16, 0
	s_mov_b32 s3, 0
	s_and_saveexec_b32 s4, s2
	s_cbranch_execz .LBB209_22
; %bb.11:
	v_mul_lo_u32 v4, v3, 26
	v_mul_lo_u32 v17, v2, 26
	s_mul_i32 s5, s12, 26
	v_dual_mov_b32 v5, 0 :: v_dual_mov_b32 v6, v2
	v_dual_mov_b32 v8, 0 :: v_dual_mov_b32 v15, 0
	v_mov_b32_e32 v14, 0
	v_mad_u32_u24 v4, v0, 26, v4
	v_mov_b32_e32 v16, 0
	s_delay_alu instid0(VALU_DEP_2)
	v_subrev_nc_u32_e32 v18, s5, v4
	s_mov_b32 s5, 0
	s_branch .LBB209_13
.LBB209_12:                             ;   in Loop: Header=BB209_13 Depth=1
	v_add_nc_u32_e32 v6, 16, v6
	v_add_nc_u32_e32 v17, 0x1a0, v17
	;; [unrolled: 1-line block ×3, first 2 shown]
	s_delay_alu instid0(VALU_DEP_3) | instskip(SKIP_1) | instid1(SALU_CYCLE_1)
	v_cmp_ge_i32_e32 vcc_lo, v6, v13
	s_or_b32 s5, vcc_lo, s5
	s_and_not1_b32 exec_lo, exec_lo, s5
	s_cbranch_execz .LBB209_21
.LBB209_13:                             ; =>This Loop Header: Depth=1
                                        ;     Child Loop BB209_15 Depth 2
	v_ashrrev_i32_e32 v7, 31, v6
	v_dual_mov_b32 v21, v14 :: v_dual_mov_b32 v22, v16
	s_mov_b32 s13, 0
	s_delay_alu instid0(VALU_DEP_2) | instskip(NEXT) | instid1(VALU_DEP_1)
	v_lshlrev_b64 v[19:20], 2, v[6:7]
	v_add_co_u32 v19, vcc_lo, s6, v19
	s_delay_alu instid0(VALU_DEP_2) | instskip(SKIP_4) | instid1(VALU_DEP_1)
	v_add_co_ci_u32_e32 v20, vcc_lo, s7, v20, vcc_lo
	global_load_b32 v4, v[19:20], off
	v_dual_mov_b32 v19, v8 :: v_dual_mov_b32 v20, v15
	s_waitcnt vmcnt(0)
	v_subrev_nc_u32_e32 v4, s12, v4
	v_mul_lo_u32 v7, v4, 13
	s_branch .LBB209_15
.LBB209_14:                             ;   in Loop: Header=BB209_13 Depth=1
                                        ; implicit-def: $vgpr20
                                        ; implicit-def: $vgpr22
                                        ; implicit-def: $vgpr21
                                        ; implicit-def: $vgpr19
                                        ; implicit-def: $sgpr13
                                        ; implicit-def: $vgpr7
	s_branch .LBB209_12
.LBB209_15:                             ;   Parent Loop BB209_13 Depth=1
                                        ; =>  This Inner Loop Header: Depth=2
	v_add_nc_u32_e32 v4, s13, v18
	v_mov_b32_e32 v8, v5
	s_cmp_eq_u32 s13, 24
	s_delay_alu instid0(VALU_DEP_2) | instskip(NEXT) | instid1(VALU_DEP_2)
	v_lshlrev_b64 v[14:15], 3, v[4:5]
	v_lshlrev_b64 v[23:24], 3, v[7:8]
	s_delay_alu instid0(VALU_DEP_2) | instskip(NEXT) | instid1(VALU_DEP_3)
	v_add_co_u32 v14, vcc_lo, s8, v14
	v_add_co_ci_u32_e32 v15, vcc_lo, s9, v15, vcc_lo
	s_delay_alu instid0(VALU_DEP_3) | instskip(NEXT) | instid1(VALU_DEP_4)
	v_add_co_u32 v27, vcc_lo, s10, v23
	v_add_co_ci_u32_e32 v28, vcc_lo, s11, v24, vcc_lo
	global_load_b128 v[23:26], v[14:15], off
	global_load_b64 v[27:28], v[27:28], off
	s_waitcnt vmcnt(0)
	v_fmac_f32_e32 v21, v23, v27
	v_fmac_f32_e32 v19, v24, v27
	v_fmac_f32_e32 v20, v26, v27
	v_fmac_f32_e32 v22, v25, v27
	s_delay_alu instid0(VALU_DEP_4) | instskip(NEXT) | instid1(VALU_DEP_3)
	v_fma_f32 v14, -v24, v28, v21
	v_dual_mov_b32 v8, v19 :: v_dual_mov_b32 v15, v20
	s_delay_alu instid0(VALU_DEP_3) | instskip(NEXT) | instid1(VALU_DEP_2)
	v_fma_f32 v16, -v26, v28, v22
	v_fmac_f32_e32 v8, v23, v28
	s_delay_alu instid0(VALU_DEP_3)
	v_fmac_f32_e32 v15, v25, v28
	s_cbranch_scc1 .LBB209_14
; %bb.16:                               ;   in Loop: Header=BB209_15 Depth=2
	v_add_nc_u32_e32 v29, s13, v17
	s_add_i32 s13, s13, 8
	s_delay_alu instid0(VALU_DEP_1) | instskip(NEXT) | instid1(VALU_DEP_1)
	v_add_nc_u32_e32 v4, 2, v29
	v_lshlrev_b64 v[19:20], 3, v[4:5]
	v_add_nc_u32_e32 v4, 1, v7
	s_delay_alu instid0(VALU_DEP_1) | instskip(SKIP_1) | instid1(VALU_DEP_4)
	v_lshlrev_b64 v[21:22], 3, v[4:5]
	v_add_nc_u32_e32 v4, 4, v29
	v_add_co_u32 v19, vcc_lo, s8, v19
	v_add_co_ci_u32_e32 v20, vcc_lo, s9, v20, vcc_lo
	s_delay_alu instid0(VALU_DEP_3) | instskip(SKIP_3) | instid1(VALU_DEP_4)
	v_lshlrev_b64 v[25:26], 3, v[4:5]
	v_add_co_u32 v27, vcc_lo, s10, v21
	v_add_co_ci_u32_e32 v28, vcc_lo, s11, v22, vcc_lo
	v_add_nc_u32_e32 v4, 2, v7
	v_add_co_u32 v25, vcc_lo, s8, v25
	v_add_co_ci_u32_e32 v26, vcc_lo, s9, v26, vcc_lo
	global_load_b128 v[21:24], v[19:20], off
	global_load_b64 v[33:34], v[27:28], off
	global_load_b128 v[25:28], v[25:26], off
	v_lshlrev_b64 v[19:20], 3, v[4:5]
	s_delay_alu instid0(VALU_DEP_1) | instskip(NEXT) | instid1(VALU_DEP_2)
	v_add_co_u32 v19, vcc_lo, s10, v19
	v_add_co_ci_u32_e32 v20, vcc_lo, s11, v20, vcc_lo
	global_load_b64 v[35:36], v[19:20], off
	v_add_nc_u32_e32 v4, 6, v29
	s_delay_alu instid0(VALU_DEP_1) | instskip(SKIP_2) | instid1(VALU_DEP_2)
	v_lshlrev_b64 v[29:30], 3, v[4:5]
	v_add_nc_u32_e32 v4, 3, v7
	v_add_nc_u32_e32 v7, 4, v7
	v_lshlrev_b64 v[31:32], 3, v[4:5]
	s_delay_alu instid0(VALU_DEP_4) | instskip(SKIP_1) | instid1(VALU_DEP_3)
	v_add_co_u32 v19, vcc_lo, s8, v29
	v_add_co_ci_u32_e32 v20, vcc_lo, s9, v30, vcc_lo
	v_add_co_u32 v37, vcc_lo, s10, v31
	s_delay_alu instid0(VALU_DEP_4)
	v_add_co_ci_u32_e32 v38, vcc_lo, s11, v32, vcc_lo
	global_load_b128 v[29:32], v[19:20], off
	global_load_b64 v[37:38], v[37:38], off
	s_waitcnt vmcnt(4)
	v_fma_f32 v4, v21, v33, v14
	v_fma_f32 v19, v22, v33, v8
	;; [unrolled: 1-line block ×4, first 2 shown]
	s_delay_alu instid0(VALU_DEP_4) | instskip(NEXT) | instid1(VALU_DEP_4)
	v_fma_f32 v4, -v22, v34, v4
	v_fmac_f32_e32 v19, v21, v34
	s_delay_alu instid0(VALU_DEP_4) | instskip(NEXT) | instid1(VALU_DEP_4)
	v_fma_f32 v21, -v24, v34, v39
	v_fmac_f32_e32 v20, v23, v34
	s_waitcnt vmcnt(2)
	v_fmac_f32_e32 v4, v25, v35
	v_fmac_f32_e32 v19, v26, v35
	;; [unrolled: 1-line block ×4, first 2 shown]
	s_delay_alu instid0(VALU_DEP_4) | instskip(NEXT) | instid1(VALU_DEP_4)
	v_fma_f32 v4, -v26, v36, v4
	v_fmac_f32_e32 v19, v25, v36
	s_delay_alu instid0(VALU_DEP_4) | instskip(NEXT) | instid1(VALU_DEP_4)
	v_fma_f32 v22, -v28, v36, v21
	v_fmac_f32_e32 v20, v27, v36
	s_waitcnt vmcnt(0)
	v_fmac_f32_e32 v4, v29, v37
	v_fmac_f32_e32 v19, v30, v37
	;; [unrolled: 1-line block ×4, first 2 shown]
	s_delay_alu instid0(VALU_DEP_4) | instskip(NEXT) | instid1(VALU_DEP_4)
	v_fma_f32 v21, -v30, v38, v4
	v_fmac_f32_e32 v19, v29, v38
	s_delay_alu instid0(VALU_DEP_4) | instskip(NEXT) | instid1(VALU_DEP_4)
	v_fma_f32 v22, -v32, v38, v22
	v_fmac_f32_e32 v20, v31, v38
	s_cbranch_execnz .LBB209_15
	s_branch .LBB209_12
.LBB209_17:
	v_dual_mov_b32 v1, s4 :: v_dual_mov_b32 v2, s5
	flat_load_b32 v9, v[1:2]
	v_cndmask_b32_e64 v1, 0, 1, s6
	v_mov_b32_e32 v10, s5
	s_and_not1_b32 vcc_lo, exec_lo, s6
	s_cbranch_vccnz .LBB209_2
.LBB209_18:
	v_dual_mov_b32 v2, s4 :: v_dual_mov_b32 v3, s5
	flat_load_b32 v10, v[2:3] offset:4
	v_cmp_ne_u32_e32 vcc_lo, 1, v1
	v_mov_b32_e32 v11, s2
	s_cbranch_vccnz .LBB209_3
.LBB209_19:
	v_dual_mov_b32 v2, s2 :: v_dual_mov_b32 v3, s3
	flat_load_b32 v11, v[2:3]
	v_cmp_ne_u32_e32 vcc_lo, 1, v1
	v_mov_b32_e32 v12, s3
	s_cbranch_vccz .LBB209_4
	s_branch .LBB209_5
.LBB209_20:
                                        ; implicit-def: $vgpr8
                                        ; implicit-def: $vgpr14
                                        ; implicit-def: $vgpr16
                                        ; implicit-def: $vgpr15
	s_branch .LBB209_23
.LBB209_21:
	s_or_b32 exec_lo, exec_lo, s5
.LBB209_22:
	s_delay_alu instid0(SALU_CYCLE_1) | instskip(NEXT) | instid1(SALU_CYCLE_1)
	s_or_b32 exec_lo, exec_lo, s4
	s_and_not1_b32 vcc_lo, exec_lo, s3
	s_cbranch_vccnz .LBB209_32
.LBB209_23:
	v_dual_mov_b32 v8, 0 :: v_dual_mov_b32 v15, 0
	v_mov_b32_e32 v14, 0
	v_mov_b32_e32 v16, 0
	s_and_saveexec_b32 s3, s2
	s_cbranch_execz .LBB209_31
; %bb.24:
	v_mul_lo_u32 v3, v3, 26
	v_mul_lo_u32 v5, v2, 26
	s_mul_i32 s2, s12, 26
	v_dual_mov_b32 v4, 0 :: v_dual_mov_b32 v15, 0
	v_mov_b32_e32 v8, 0
	v_mov_b32_e32 v14, 0
	;; [unrolled: 1-line block ×3, first 2 shown]
	v_mad_u32_u24 v3, v0, 26, v3
	s_delay_alu instid0(VALU_DEP_1)
	v_subrev_nc_u32_e32 v6, s2, v3
	s_mov_b32 s2, 0
	s_branch .LBB209_26
.LBB209_25:                             ;   in Loop: Header=BB209_26 Depth=1
	v_add_nc_u32_e32 v2, 16, v2
	v_add_nc_u32_e32 v5, 0x1a0, v5
	;; [unrolled: 1-line block ×3, first 2 shown]
	s_delay_alu instid0(VALU_DEP_3) | instskip(SKIP_1) | instid1(SALU_CYCLE_1)
	v_cmp_ge_i32_e32 vcc_lo, v2, v13
	s_or_b32 s2, vcc_lo, s2
	s_and_not1_b32 exec_lo, exec_lo, s2
	s_cbranch_execz .LBB209_30
.LBB209_26:                             ; =>This Loop Header: Depth=1
                                        ;     Child Loop BB209_28 Depth 2
	v_ashrrev_i32_e32 v3, 31, v2
	v_dual_mov_b32 v20, v14 :: v_dual_mov_b32 v21, v16
	s_mov_b32 s4, 0
	v_mov_b32_e32 v19, v15
	s_delay_alu instid0(VALU_DEP_3) | instskip(NEXT) | instid1(VALU_DEP_1)
	v_lshlrev_b64 v[17:18], 2, v[2:3]
	v_add_co_u32 v17, vcc_lo, s6, v17
	s_delay_alu instid0(VALU_DEP_2) | instskip(SKIP_4) | instid1(VALU_DEP_1)
	v_add_co_ci_u32_e32 v18, vcc_lo, s7, v18, vcc_lo
	global_load_b32 v3, v[17:18], off
	v_mov_b32_e32 v18, v8
	s_waitcnt vmcnt(0)
	v_subrev_nc_u32_e32 v3, s12, v3
	v_mul_lo_u32 v7, v3, 13
	s_branch .LBB209_28
.LBB209_27:                             ;   in Loop: Header=BB209_26 Depth=1
                                        ; implicit-def: $vgpr19
                                        ; implicit-def: $vgpr21
                                        ; implicit-def: $vgpr20
                                        ; implicit-def: $vgpr18
                                        ; implicit-def: $sgpr4
	s_branch .LBB209_25
.LBB209_28:                             ;   Parent Loop BB209_26 Depth=1
                                        ; =>  This Inner Loop Header: Depth=2
	v_add_nc_u32_e32 v3, s4, v6
	v_add_nc_u32_e32 v17, s4, v5
	v_mov_b32_e32 v15, v4
	s_cmp_eq_u32 s4, 12
	s_delay_alu instid0(VALU_DEP_3) | instskip(NEXT) | instid1(VALU_DEP_3)
	v_lshlrev_b64 v[22:23], 3, v[3:4]
	v_add_nc_u32_e32 v14, 13, v17
	v_add_nc_u32_e32 v3, s4, v7
	s_delay_alu instid0(VALU_DEP_2) | instskip(NEXT) | instid1(VALU_DEP_2)
	v_lshlrev_b64 v[14:15], 3, v[14:15]
	v_lshlrev_b64 v[24:25], 3, v[3:4]
	v_add_co_u32 v22, vcc_lo, s8, v22
	v_add_co_ci_u32_e32 v23, vcc_lo, s9, v23, vcc_lo
	s_delay_alu instid0(VALU_DEP_3) | instskip(NEXT) | instid1(VALU_DEP_4)
	v_add_co_u32 v24, vcc_lo, s10, v24
	v_add_co_ci_u32_e32 v25, vcc_lo, s11, v25, vcc_lo
	v_add_co_u32 v14, vcc_lo, s8, v14
	v_add_co_ci_u32_e32 v15, vcc_lo, s9, v15, vcc_lo
	global_load_b64 v[22:23], v[22:23], off
	global_load_b64 v[24:25], v[24:25], off
	;; [unrolled: 1-line block ×3, first 2 shown]
	s_waitcnt vmcnt(1)
	v_fmac_f32_e32 v18, v23, v24
	v_fmac_f32_e32 v20, v22, v24
	s_waitcnt vmcnt(0)
	v_fmac_f32_e32 v21, v26, v24
	s_delay_alu instid0(VALU_DEP_3) | instskip(NEXT) | instid1(VALU_DEP_3)
	v_dual_mov_b32 v8, v18 :: v_dual_fmac_f32 v19, v27, v24
	v_fma_f32 v14, -v23, v25, v20
	s_delay_alu instid0(VALU_DEP_3) | instskip(NEXT) | instid1(VALU_DEP_3)
	v_fma_f32 v16, -v27, v25, v21
	v_dual_fmac_f32 v8, v22, v25 :: v_dual_mov_b32 v15, v19
	s_delay_alu instid0(VALU_DEP_1)
	v_fmac_f32_e32 v15, v26, v25
	s_cbranch_scc1 .LBB209_27
; %bb.29:                               ;   in Loop: Header=BB209_28 Depth=2
	v_dual_mov_b32 v19, v4 :: v_dual_add_nc_u32 v18, 1, v17
	v_dual_mov_b32 v21, v4 :: v_dual_add_nc_u32 v20, 1, v3
	;; [unrolled: 1-line block ×3, first 2 shown]
	s_delay_alu instid0(VALU_DEP_3) | instskip(SKIP_1) | instid1(VALU_DEP_4)
	v_lshlrev_b64 v[18:19], 3, v[18:19]
	v_dual_mov_b32 v25, v4 :: v_dual_add_nc_u32 v24, 2, v17
	v_lshlrev_b64 v[20:21], 3, v[20:21]
	s_add_i32 s4, s4, 4
	s_delay_alu instid0(VALU_DEP_3) | instskip(NEXT) | instid1(VALU_DEP_4)
	v_add_co_u32 v18, vcc_lo, s8, v18
	v_add_co_ci_u32_e32 v19, vcc_lo, s9, v19, vcc_lo
	s_delay_alu instid0(VALU_DEP_3) | instskip(NEXT) | instid1(VALU_DEP_4)
	v_add_co_u32 v20, vcc_lo, s10, v20
	v_add_co_ci_u32_e32 v21, vcc_lo, s11, v21, vcc_lo
	global_load_b64 v[28:29], v[18:19], off
	v_lshlrev_b64 v[18:19], 3, v[22:23]
	v_add_nc_u32_e32 v22, 2, v3
	global_load_b64 v[30:31], v[20:21], off
	v_lshlrev_b64 v[20:21], 3, v[24:25]
	v_add_co_u32 v18, vcc_lo, s8, v18
	v_lshlrev_b64 v[22:23], 3, v[22:23]
	v_add_co_ci_u32_e32 v19, vcc_lo, s9, v19, vcc_lo
	s_delay_alu instid0(VALU_DEP_4) | instskip(SKIP_1) | instid1(VALU_DEP_4)
	v_add_co_u32 v24, vcc_lo, s8, v20
	v_add_co_ci_u32_e32 v25, vcc_lo, s9, v21, vcc_lo
	v_add_co_u32 v32, vcc_lo, s10, v22
	v_add_co_ci_u32_e32 v33, vcc_lo, s11, v23, vcc_lo
	s_clause 0x1
	global_load_b128 v[20:23], v[18:19], off
	global_load_b128 v[24:27], v[24:25], off
	global_load_b64 v[32:33], v[32:33], off
	v_add_nc_u32_e32 v3, 3, v3
	s_delay_alu instid0(VALU_DEP_1) | instskip(SKIP_1) | instid1(VALU_DEP_1)
	v_lshlrev_b64 v[18:19], 3, v[3:4]
	v_add_nc_u32_e32 v3, 16, v17
	v_lshlrev_b64 v[34:35], 3, v[3:4]
	s_delay_alu instid0(VALU_DEP_3) | instskip(NEXT) | instid1(VALU_DEP_4)
	v_add_co_u32 v17, vcc_lo, s10, v18
	v_add_co_ci_u32_e32 v18, vcc_lo, s11, v19, vcc_lo
	s_delay_alu instid0(VALU_DEP_3) | instskip(NEXT) | instid1(VALU_DEP_4)
	v_add_co_u32 v34, vcc_lo, s8, v34
	v_add_co_ci_u32_e32 v35, vcc_lo, s9, v35, vcc_lo
	global_load_b64 v[36:37], v[17:18], off
	global_load_b64 v[34:35], v[34:35], off
	s_waitcnt vmcnt(5)
	v_fma_f32 v18, v29, v30, v8
	v_fma_f32 v3, v28, v30, v14
	s_delay_alu instid0(VALU_DEP_2) | instskip(NEXT) | instid1(VALU_DEP_2)
	v_fmac_f32_e32 v18, v28, v31
	v_fma_f32 v3, -v29, v31, v3
	s_waitcnt vmcnt(4)
	v_fma_f32 v17, v20, v30, v16
	v_fma_f32 v19, v21, v30, v15
	s_waitcnt vmcnt(2)
	v_fmac_f32_e32 v18, v25, v32
	v_fmac_f32_e32 v3, v24, v32
	v_fma_f32 v17, -v21, v31, v17
	s_delay_alu instid0(VALU_DEP_3) | instskip(SKIP_1) | instid1(VALU_DEP_4)
	v_fmac_f32_e32 v18, v24, v33
	v_fmac_f32_e32 v19, v20, v31
	v_fma_f32 v3, -v25, v33, v3
	s_delay_alu instid0(VALU_DEP_4) | instskip(NEXT) | instid1(VALU_DEP_1)
	v_fmac_f32_e32 v17, v22, v32
	v_fma_f32 v17, -v23, v33, v17
	s_waitcnt vmcnt(1)
	v_fmac_f32_e32 v18, v27, v36
	v_fmac_f32_e32 v19, v23, v32
	;; [unrolled: 1-line block ×3, first 2 shown]
	s_waitcnt vmcnt(0)
	v_fmac_f32_e32 v17, v34, v36
	v_fmac_f32_e32 v18, v26, v37
	;; [unrolled: 1-line block ×3, first 2 shown]
	v_fma_f32 v20, -v27, v37, v3
	s_delay_alu instid0(VALU_DEP_4) | instskip(NEXT) | instid1(VALU_DEP_3)
	v_fma_f32 v21, -v35, v37, v17
	v_fmac_f32_e32 v19, v35, v36
	s_delay_alu instid0(VALU_DEP_1)
	v_fmac_f32_e32 v19, v34, v37
	s_cbranch_execnz .LBB209_28
	s_branch .LBB209_25
.LBB209_30:
	s_or_b32 exec_lo, exec_lo, s2
.LBB209_31:
	s_delay_alu instid0(SALU_CYCLE_1)
	s_or_b32 exec_lo, exec_lo, s3
.LBB209_32:
	v_mbcnt_lo_u32_b32 v2, -1, 0
	s_delay_alu instid0(VALU_DEP_1) | instskip(SKIP_1) | instid1(VALU_DEP_2)
	v_xor_b32_e32 v3, 8, v2
	v_xor_b32_e32 v7, 4, v2
	v_cmp_gt_i32_e32 vcc_lo, 32, v3
	v_cndmask_b32_e32 v3, v2, v3, vcc_lo
	s_delay_alu instid0(VALU_DEP_3) | instskip(NEXT) | instid1(VALU_DEP_2)
	v_cmp_gt_i32_e32 vcc_lo, 32, v7
	v_lshlrev_b32_e32 v3, 2, v3
	ds_bpermute_b32 v4, v3, v14
	s_waitcnt lgkmcnt(0)
	v_add_f32_e32 v4, v14, v4
	ds_bpermute_b32 v6, v3, v16
	v_cndmask_b32_e32 v7, v2, v7, vcc_lo
	ds_bpermute_b32 v5, v3, v8
	ds_bpermute_b32 v3, v3, v15
	s_waitcnt lgkmcnt(2)
	v_dual_add_f32 v6, v16, v6 :: v_dual_lshlrev_b32 v7, 2, v7
	s_waitcnt lgkmcnt(1)
	v_add_f32_e32 v5, v8, v5
	ds_bpermute_b32 v14, v7, v6
	s_waitcnt lgkmcnt(0)
	v_dual_add_f32 v6, v6, v14 :: v_dual_add_f32 v3, v15, v3
	ds_bpermute_b32 v8, v7, v4
	ds_bpermute_b32 v13, v7, v5
	v_xor_b32_e32 v15, 2, v2
	ds_bpermute_b32 v7, v7, v3
	v_cmp_gt_i32_e32 vcc_lo, 32, v15
	v_cndmask_b32_e32 v15, v2, v15, vcc_lo
	s_waitcnt lgkmcnt(2)
	s_delay_alu instid0(VALU_DEP_1)
	v_dual_add_f32 v4, v4, v8 :: v_dual_lshlrev_b32 v15, 2, v15
	s_waitcnt lgkmcnt(0)
	v_add_f32_e32 v3, v3, v7
	ds_bpermute_b32 v7, v15, v4
	v_add_f32_e32 v5, v5, v13
	ds_bpermute_b32 v13, v15, v6
	ds_bpermute_b32 v14, v15, v3
	s_waitcnt lgkmcnt(2)
	v_add_f32_e32 v4, v4, v7
	ds_bpermute_b32 v8, v15, v5
	v_xor_b32_e32 v15, 1, v2
	s_waitcnt lgkmcnt(1)
	v_add_f32_e32 v3, v3, v14
	s_delay_alu instid0(VALU_DEP_2) | instskip(SKIP_2) | instid1(VALU_DEP_2)
	v_cmp_gt_i32_e32 vcc_lo, 32, v15
	v_cndmask_b32_e32 v2, v2, v15, vcc_lo
	v_cmp_eq_u32_e32 vcc_lo, 15, v0
	v_dual_add_f32 v2, v6, v13 :: v_dual_lshlrev_b32 v15, 2, v2
	s_waitcnt lgkmcnt(0)
	v_add_f32_e32 v5, v5, v8
	ds_bpermute_b32 v8, v15, v4
	ds_bpermute_b32 v6, v15, v2
	;; [unrolled: 1-line block ×4, first 2 shown]
	s_and_b32 exec_lo, exec_lo, vcc_lo
	s_cbranch_execz .LBB209_37
; %bb.33:
	s_load_b64 s[2:3], s[0:1], 0x38
	v_cmp_eq_f32_e32 vcc_lo, 0, v11
	v_cmp_eq_f32_e64 s0, 0, v12
	s_waitcnt lgkmcnt(0)
	v_dual_add_f32 v0, v4, v8 :: v_dual_add_f32 v3, v3, v7
	v_add_f32_e32 v4, v5, v13
	v_add_f32_e32 v2, v2, v6
	s_and_b32 s0, vcc_lo, s0
	s_delay_alu instid0(SALU_CYCLE_1) | instskip(NEXT) | instid1(SALU_CYCLE_1)
	s_and_saveexec_b32 s1, s0
	s_xor_b32 s0, exec_lo, s1
	s_cbranch_execz .LBB209_35
; %bb.34:
	v_mul_f32_e64 v5, v4, -v10
	v_mul_f32_e32 v6, v4, v9
	v_mul_f32_e64 v7, v3, -v10
	v_mul_f32_e32 v8, v3, v9
                                        ; implicit-def: $vgpr4
                                        ; implicit-def: $vgpr3
	s_delay_alu instid0(VALU_DEP_4) | instskip(NEXT) | instid1(VALU_DEP_4)
	v_fmac_f32_e32 v5, v9, v0
	v_dual_fmac_f32 v6, v10, v0 :: v_dual_lshlrev_b32 v11, 1, v1
	s_delay_alu instid0(VALU_DEP_4) | instskip(NEXT) | instid1(VALU_DEP_4)
	v_fmac_f32_e32 v7, v9, v2
	v_fmac_f32_e32 v8, v10, v2
                                        ; implicit-def: $vgpr9
                                        ; implicit-def: $vgpr10
                                        ; implicit-def: $vgpr2
	s_delay_alu instid0(VALU_DEP_3) | instskip(NEXT) | instid1(VALU_DEP_1)
	v_ashrrev_i32_e32 v12, 31, v11
	v_lshlrev_b64 v[11:12], 3, v[11:12]
	s_delay_alu instid0(VALU_DEP_1) | instskip(NEXT) | instid1(VALU_DEP_2)
	v_add_co_u32 v0, vcc_lo, s2, v11
	v_add_co_ci_u32_e32 v1, vcc_lo, s3, v12, vcc_lo
                                        ; implicit-def: $vgpr11
                                        ; implicit-def: $vgpr12
	global_store_b128 v[0:1], v[5:8], off
                                        ; implicit-def: $vgpr1
                                        ; implicit-def: $vgpr0
.LBB209_35:
	s_and_not1_saveexec_b32 s0, s0
	s_cbranch_execz .LBB209_37
; %bb.36:
	v_lshlrev_b32_e32 v5, 1, v1
	v_mul_f32_e64 v15, v4, -v10
	v_mul_f32_e32 v1, v4, v9
	v_mul_f32_e64 v4, v3, -v10
	v_mul_f32_e32 v3, v3, v9
	s_delay_alu instid0(VALU_DEP_4) | instskip(NEXT) | instid1(VALU_DEP_3)
	v_fmac_f32_e32 v15, v9, v0
	v_fmac_f32_e32 v4, v9, v2
	v_ashrrev_i32_e32 v6, 31, v5
	s_delay_alu instid0(VALU_DEP_4) | instskip(NEXT) | instid1(VALU_DEP_2)
	v_fmac_f32_e32 v3, v10, v2
	v_lshlrev_b64 v[5:6], 3, v[5:6]
	s_delay_alu instid0(VALU_DEP_1) | instskip(NEXT) | instid1(VALU_DEP_2)
	v_add_co_u32 v13, vcc_lo, s2, v5
	v_add_co_ci_u32_e32 v14, vcc_lo, s3, v6, vcc_lo
	global_load_b128 v[5:8], v[13:14], off
	s_waitcnt vmcnt(0)
	v_dual_fmac_f32 v4, v11, v7 :: v_dual_fmac_f32 v1, v10, v0
	v_fmac_f32_e32 v15, v11, v5
	v_fmac_f32_e32 v3, v12, v7
	s_delay_alu instid0(VALU_DEP_3) | instskip(NEXT) | instid1(VALU_DEP_4)
	v_fma_f32 v2, -v12, v8, v4
	v_fmac_f32_e32 v1, v12, v5
	s_delay_alu instid0(VALU_DEP_4) | instskip(NEXT) | instid1(VALU_DEP_4)
	v_fma_f32 v0, -v12, v6, v15
	v_fmac_f32_e32 v3, v11, v8
	s_delay_alu instid0(VALU_DEP_3)
	v_fmac_f32_e32 v1, v11, v6
	global_store_b128 v[13:14], v[0:3], off
.LBB209_37:
	s_nop 0
	s_sendmsg sendmsg(MSG_DEALLOC_VGPRS)
	s_endpgm
	.section	.rodata,"a",@progbits
	.p2align	6, 0x0
	.amdhsa_kernel _ZN9rocsparseL19gebsrmvn_2xn_kernelILj128ELj13ELj16E21rocsparse_complex_numIfEEEvi20rocsparse_direction_NS_24const_host_device_scalarIT2_EEPKiS8_PKS5_SA_S6_PS5_21rocsparse_index_base_b
		.amdhsa_group_segment_fixed_size 0
		.amdhsa_private_segment_fixed_size 0
		.amdhsa_kernarg_size 72
		.amdhsa_user_sgpr_count 15
		.amdhsa_user_sgpr_dispatch_ptr 0
		.amdhsa_user_sgpr_queue_ptr 0
		.amdhsa_user_sgpr_kernarg_segment_ptr 1
		.amdhsa_user_sgpr_dispatch_id 0
		.amdhsa_user_sgpr_private_segment_size 0
		.amdhsa_wavefront_size32 1
		.amdhsa_uses_dynamic_stack 0
		.amdhsa_enable_private_segment 0
		.amdhsa_system_sgpr_workgroup_id_x 1
		.amdhsa_system_sgpr_workgroup_id_y 0
		.amdhsa_system_sgpr_workgroup_id_z 0
		.amdhsa_system_sgpr_workgroup_info 0
		.amdhsa_system_vgpr_workitem_id 0
		.amdhsa_next_free_vgpr 40
		.amdhsa_next_free_sgpr 16
		.amdhsa_reserve_vcc 1
		.amdhsa_float_round_mode_32 0
		.amdhsa_float_round_mode_16_64 0
		.amdhsa_float_denorm_mode_32 3
		.amdhsa_float_denorm_mode_16_64 3
		.amdhsa_dx10_clamp 1
		.amdhsa_ieee_mode 1
		.amdhsa_fp16_overflow 0
		.amdhsa_workgroup_processor_mode 1
		.amdhsa_memory_ordered 1
		.amdhsa_forward_progress 0
		.amdhsa_shared_vgpr_count 0
		.amdhsa_exception_fp_ieee_invalid_op 0
		.amdhsa_exception_fp_denorm_src 0
		.amdhsa_exception_fp_ieee_div_zero 0
		.amdhsa_exception_fp_ieee_overflow 0
		.amdhsa_exception_fp_ieee_underflow 0
		.amdhsa_exception_fp_ieee_inexact 0
		.amdhsa_exception_int_div_zero 0
	.end_amdhsa_kernel
	.section	.text._ZN9rocsparseL19gebsrmvn_2xn_kernelILj128ELj13ELj16E21rocsparse_complex_numIfEEEvi20rocsparse_direction_NS_24const_host_device_scalarIT2_EEPKiS8_PKS5_SA_S6_PS5_21rocsparse_index_base_b,"axG",@progbits,_ZN9rocsparseL19gebsrmvn_2xn_kernelILj128ELj13ELj16E21rocsparse_complex_numIfEEEvi20rocsparse_direction_NS_24const_host_device_scalarIT2_EEPKiS8_PKS5_SA_S6_PS5_21rocsparse_index_base_b,comdat
.Lfunc_end209:
	.size	_ZN9rocsparseL19gebsrmvn_2xn_kernelILj128ELj13ELj16E21rocsparse_complex_numIfEEEvi20rocsparse_direction_NS_24const_host_device_scalarIT2_EEPKiS8_PKS5_SA_S6_PS5_21rocsparse_index_base_b, .Lfunc_end209-_ZN9rocsparseL19gebsrmvn_2xn_kernelILj128ELj13ELj16E21rocsparse_complex_numIfEEEvi20rocsparse_direction_NS_24const_host_device_scalarIT2_EEPKiS8_PKS5_SA_S6_PS5_21rocsparse_index_base_b
                                        ; -- End function
	.section	.AMDGPU.csdata,"",@progbits
; Kernel info:
; codeLenInByte = 2736
; NumSgprs: 18
; NumVgprs: 40
; ScratchSize: 0
; MemoryBound: 0
; FloatMode: 240
; IeeeMode: 1
; LDSByteSize: 0 bytes/workgroup (compile time only)
; SGPRBlocks: 2
; VGPRBlocks: 4
; NumSGPRsForWavesPerEU: 18
; NumVGPRsForWavesPerEU: 40
; Occupancy: 16
; WaveLimiterHint : 1
; COMPUTE_PGM_RSRC2:SCRATCH_EN: 0
; COMPUTE_PGM_RSRC2:USER_SGPR: 15
; COMPUTE_PGM_RSRC2:TRAP_HANDLER: 0
; COMPUTE_PGM_RSRC2:TGID_X_EN: 1
; COMPUTE_PGM_RSRC2:TGID_Y_EN: 0
; COMPUTE_PGM_RSRC2:TGID_Z_EN: 0
; COMPUTE_PGM_RSRC2:TIDIG_COMP_CNT: 0
	.section	.text._ZN9rocsparseL19gebsrmvn_2xn_kernelILj128ELj13ELj32E21rocsparse_complex_numIfEEEvi20rocsparse_direction_NS_24const_host_device_scalarIT2_EEPKiS8_PKS5_SA_S6_PS5_21rocsparse_index_base_b,"axG",@progbits,_ZN9rocsparseL19gebsrmvn_2xn_kernelILj128ELj13ELj32E21rocsparse_complex_numIfEEEvi20rocsparse_direction_NS_24const_host_device_scalarIT2_EEPKiS8_PKS5_SA_S6_PS5_21rocsparse_index_base_b,comdat
	.globl	_ZN9rocsparseL19gebsrmvn_2xn_kernelILj128ELj13ELj32E21rocsparse_complex_numIfEEEvi20rocsparse_direction_NS_24const_host_device_scalarIT2_EEPKiS8_PKS5_SA_S6_PS5_21rocsparse_index_base_b ; -- Begin function _ZN9rocsparseL19gebsrmvn_2xn_kernelILj128ELj13ELj32E21rocsparse_complex_numIfEEEvi20rocsparse_direction_NS_24const_host_device_scalarIT2_EEPKiS8_PKS5_SA_S6_PS5_21rocsparse_index_base_b
	.p2align	8
	.type	_ZN9rocsparseL19gebsrmvn_2xn_kernelILj128ELj13ELj32E21rocsparse_complex_numIfEEEvi20rocsparse_direction_NS_24const_host_device_scalarIT2_EEPKiS8_PKS5_SA_S6_PS5_21rocsparse_index_base_b,@function
_ZN9rocsparseL19gebsrmvn_2xn_kernelILj128ELj13ELj32E21rocsparse_complex_numIfEEEvi20rocsparse_direction_NS_24const_host_device_scalarIT2_EEPKiS8_PKS5_SA_S6_PS5_21rocsparse_index_base_b: ; @_ZN9rocsparseL19gebsrmvn_2xn_kernelILj128ELj13ELj32E21rocsparse_complex_numIfEEEvi20rocsparse_direction_NS_24const_host_device_scalarIT2_EEPKiS8_PKS5_SA_S6_PS5_21rocsparse_index_base_b
; %bb.0:
	s_clause 0x2
	s_load_b64 s[12:13], s[0:1], 0x40
	s_load_b64 s[4:5], s[0:1], 0x8
	;; [unrolled: 1-line block ×3, first 2 shown]
	s_waitcnt lgkmcnt(0)
	s_bitcmp1_b32 s13, 0
	v_mov_b32_e32 v9, s4
	s_cselect_b32 s6, -1, 0
	s_delay_alu instid0(SALU_CYCLE_1)
	s_and_b32 vcc_lo, exec_lo, s6
	s_xor_b32 s6, s6, -1
	s_cbranch_vccz .LBB210_17
; %bb.1:
	v_cndmask_b32_e64 v1, 0, 1, s6
	v_mov_b32_e32 v10, s5
	s_and_not1_b32 vcc_lo, exec_lo, s6
	s_cbranch_vccz .LBB210_18
.LBB210_2:
	s_delay_alu instid0(VALU_DEP_2)
	v_cmp_ne_u32_e32 vcc_lo, 1, v1
	v_mov_b32_e32 v11, s2
	s_cbranch_vccz .LBB210_19
.LBB210_3:
	v_cmp_ne_u32_e32 vcc_lo, 1, v1
	v_mov_b32_e32 v12, s3
	s_cbranch_vccnz .LBB210_5
.LBB210_4:
	v_dual_mov_b32 v1, s2 :: v_dual_mov_b32 v2, s3
	flat_load_b32 v12, v[1:2] offset:4
.LBB210_5:
	s_waitcnt vmcnt(0) lgkmcnt(0)
	v_cmp_eq_f32_e32 vcc_lo, 0, v9
	v_cmp_eq_f32_e64 s2, 0, v10
	s_delay_alu instid0(VALU_DEP_1)
	s_and_b32 s4, vcc_lo, s2
	s_mov_b32 s2, -1
	s_and_saveexec_b32 s3, s4
; %bb.6:
	v_cmp_neq_f32_e32 vcc_lo, 1.0, v11
	v_cmp_neq_f32_e64 s2, 0, v12
	s_delay_alu instid0(VALU_DEP_1) | instskip(NEXT) | instid1(SALU_CYCLE_1)
	s_or_b32 s2, vcc_lo, s2
	s_or_not1_b32 s2, s2, exec_lo
; %bb.7:
	s_or_b32 exec_lo, exec_lo, s3
	s_and_saveexec_b32 s3, s2
	s_cbranch_execz .LBB210_37
; %bb.8:
	s_load_b64 s[2:3], s[0:1], 0x0
	v_lshrrev_b32_e32 v1, 5, v0
	s_delay_alu instid0(VALU_DEP_1) | instskip(SKIP_1) | instid1(VALU_DEP_1)
	v_lshl_or_b32 v1, s15, 2, v1
	s_waitcnt lgkmcnt(0)
	v_cmp_gt_i32_e32 vcc_lo, s2, v1
	s_and_b32 exec_lo, exec_lo, vcc_lo
	s_cbranch_execz .LBB210_37
; %bb.9:
	s_load_b256 s[4:11], s[0:1], 0x10
	v_ashrrev_i32_e32 v2, 31, v1
	v_and_b32_e32 v0, 31, v0
	s_cmp_lg_u32 s3, 0
	s_delay_alu instid0(VALU_DEP_2) | instskip(SKIP_1) | instid1(VALU_DEP_1)
	v_lshlrev_b64 v[2:3], 2, v[1:2]
	s_waitcnt lgkmcnt(0)
	v_add_co_u32 v2, vcc_lo, s4, v2
	s_delay_alu instid0(VALU_DEP_2) | instskip(SKIP_4) | instid1(VALU_DEP_2)
	v_add_co_ci_u32_e32 v3, vcc_lo, s5, v3, vcc_lo
	global_load_b64 v[3:4], v[2:3], off
	s_waitcnt vmcnt(0)
	v_subrev_nc_u32_e32 v2, s12, v3
	v_subrev_nc_u32_e32 v13, s12, v4
	v_add_nc_u32_e32 v2, v2, v0
	s_delay_alu instid0(VALU_DEP_1)
	v_cmp_lt_i32_e64 s2, v2, v13
	s_cbranch_scc0 .LBB210_20
; %bb.10:
	v_dual_mov_b32 v8, 0 :: v_dual_mov_b32 v15, 0
	v_mov_b32_e32 v14, 0
	v_mov_b32_e32 v16, 0
	s_mov_b32 s3, 0
	s_and_saveexec_b32 s4, s2
	s_cbranch_execz .LBB210_22
; %bb.11:
	v_mul_lo_u32 v4, v3, 26
	v_mul_lo_u32 v17, v2, 26
	s_mul_i32 s5, s12, 26
	v_dual_mov_b32 v5, 0 :: v_dual_mov_b32 v6, v2
	v_dual_mov_b32 v8, 0 :: v_dual_mov_b32 v15, 0
	v_mov_b32_e32 v14, 0
	v_mad_u32_u24 v4, v0, 26, v4
	v_mov_b32_e32 v16, 0
	s_delay_alu instid0(VALU_DEP_2)
	v_subrev_nc_u32_e32 v18, s5, v4
	s_mov_b32 s5, 0
	s_branch .LBB210_13
.LBB210_12:                             ;   in Loop: Header=BB210_13 Depth=1
	v_add_nc_u32_e32 v6, 32, v6
	v_add_nc_u32_e32 v17, 0x340, v17
	;; [unrolled: 1-line block ×3, first 2 shown]
	s_delay_alu instid0(VALU_DEP_3) | instskip(SKIP_1) | instid1(SALU_CYCLE_1)
	v_cmp_ge_i32_e32 vcc_lo, v6, v13
	s_or_b32 s5, vcc_lo, s5
	s_and_not1_b32 exec_lo, exec_lo, s5
	s_cbranch_execz .LBB210_21
.LBB210_13:                             ; =>This Loop Header: Depth=1
                                        ;     Child Loop BB210_15 Depth 2
	v_ashrrev_i32_e32 v7, 31, v6
	v_dual_mov_b32 v21, v14 :: v_dual_mov_b32 v22, v16
	s_mov_b32 s13, 0
	s_delay_alu instid0(VALU_DEP_2) | instskip(NEXT) | instid1(VALU_DEP_1)
	v_lshlrev_b64 v[19:20], 2, v[6:7]
	v_add_co_u32 v19, vcc_lo, s6, v19
	s_delay_alu instid0(VALU_DEP_2) | instskip(SKIP_4) | instid1(VALU_DEP_1)
	v_add_co_ci_u32_e32 v20, vcc_lo, s7, v20, vcc_lo
	global_load_b32 v4, v[19:20], off
	v_dual_mov_b32 v19, v8 :: v_dual_mov_b32 v20, v15
	s_waitcnt vmcnt(0)
	v_subrev_nc_u32_e32 v4, s12, v4
	v_mul_lo_u32 v7, v4, 13
	s_branch .LBB210_15
.LBB210_14:                             ;   in Loop: Header=BB210_13 Depth=1
                                        ; implicit-def: $vgpr20
                                        ; implicit-def: $vgpr22
                                        ; implicit-def: $vgpr21
                                        ; implicit-def: $vgpr19
                                        ; implicit-def: $sgpr13
                                        ; implicit-def: $vgpr7
	s_branch .LBB210_12
.LBB210_15:                             ;   Parent Loop BB210_13 Depth=1
                                        ; =>  This Inner Loop Header: Depth=2
	v_add_nc_u32_e32 v4, s13, v18
	v_mov_b32_e32 v8, v5
	s_cmp_eq_u32 s13, 24
	s_delay_alu instid0(VALU_DEP_2) | instskip(NEXT) | instid1(VALU_DEP_2)
	v_lshlrev_b64 v[14:15], 3, v[4:5]
	v_lshlrev_b64 v[23:24], 3, v[7:8]
	s_delay_alu instid0(VALU_DEP_2) | instskip(NEXT) | instid1(VALU_DEP_3)
	v_add_co_u32 v14, vcc_lo, s8, v14
	v_add_co_ci_u32_e32 v15, vcc_lo, s9, v15, vcc_lo
	s_delay_alu instid0(VALU_DEP_3) | instskip(NEXT) | instid1(VALU_DEP_4)
	v_add_co_u32 v27, vcc_lo, s10, v23
	v_add_co_ci_u32_e32 v28, vcc_lo, s11, v24, vcc_lo
	global_load_b128 v[23:26], v[14:15], off
	global_load_b64 v[27:28], v[27:28], off
	s_waitcnt vmcnt(0)
	v_fmac_f32_e32 v21, v23, v27
	v_fmac_f32_e32 v19, v24, v27
	;; [unrolled: 1-line block ×4, first 2 shown]
	s_delay_alu instid0(VALU_DEP_4) | instskip(NEXT) | instid1(VALU_DEP_3)
	v_fma_f32 v14, -v24, v28, v21
	v_dual_mov_b32 v8, v19 :: v_dual_mov_b32 v15, v20
	s_delay_alu instid0(VALU_DEP_3) | instskip(NEXT) | instid1(VALU_DEP_2)
	v_fma_f32 v16, -v26, v28, v22
	v_fmac_f32_e32 v8, v23, v28
	s_delay_alu instid0(VALU_DEP_3)
	v_fmac_f32_e32 v15, v25, v28
	s_cbranch_scc1 .LBB210_14
; %bb.16:                               ;   in Loop: Header=BB210_15 Depth=2
	v_add_nc_u32_e32 v29, s13, v17
	s_add_i32 s13, s13, 8
	s_delay_alu instid0(VALU_DEP_1) | instskip(NEXT) | instid1(VALU_DEP_1)
	v_add_nc_u32_e32 v4, 2, v29
	v_lshlrev_b64 v[19:20], 3, v[4:5]
	v_add_nc_u32_e32 v4, 1, v7
	s_delay_alu instid0(VALU_DEP_1) | instskip(SKIP_1) | instid1(VALU_DEP_4)
	v_lshlrev_b64 v[21:22], 3, v[4:5]
	v_add_nc_u32_e32 v4, 4, v29
	v_add_co_u32 v19, vcc_lo, s8, v19
	v_add_co_ci_u32_e32 v20, vcc_lo, s9, v20, vcc_lo
	s_delay_alu instid0(VALU_DEP_3) | instskip(SKIP_3) | instid1(VALU_DEP_4)
	v_lshlrev_b64 v[25:26], 3, v[4:5]
	v_add_co_u32 v27, vcc_lo, s10, v21
	v_add_co_ci_u32_e32 v28, vcc_lo, s11, v22, vcc_lo
	v_add_nc_u32_e32 v4, 2, v7
	v_add_co_u32 v25, vcc_lo, s8, v25
	v_add_co_ci_u32_e32 v26, vcc_lo, s9, v26, vcc_lo
	global_load_b128 v[21:24], v[19:20], off
	global_load_b64 v[33:34], v[27:28], off
	global_load_b128 v[25:28], v[25:26], off
	v_lshlrev_b64 v[19:20], 3, v[4:5]
	s_delay_alu instid0(VALU_DEP_1) | instskip(NEXT) | instid1(VALU_DEP_2)
	v_add_co_u32 v19, vcc_lo, s10, v19
	v_add_co_ci_u32_e32 v20, vcc_lo, s11, v20, vcc_lo
	global_load_b64 v[35:36], v[19:20], off
	v_add_nc_u32_e32 v4, 6, v29
	s_delay_alu instid0(VALU_DEP_1) | instskip(SKIP_2) | instid1(VALU_DEP_2)
	v_lshlrev_b64 v[29:30], 3, v[4:5]
	v_add_nc_u32_e32 v4, 3, v7
	v_add_nc_u32_e32 v7, 4, v7
	v_lshlrev_b64 v[31:32], 3, v[4:5]
	s_delay_alu instid0(VALU_DEP_4) | instskip(SKIP_1) | instid1(VALU_DEP_3)
	v_add_co_u32 v19, vcc_lo, s8, v29
	v_add_co_ci_u32_e32 v20, vcc_lo, s9, v30, vcc_lo
	v_add_co_u32 v37, vcc_lo, s10, v31
	s_delay_alu instid0(VALU_DEP_4)
	v_add_co_ci_u32_e32 v38, vcc_lo, s11, v32, vcc_lo
	global_load_b128 v[29:32], v[19:20], off
	global_load_b64 v[37:38], v[37:38], off
	s_waitcnt vmcnt(4)
	v_fma_f32 v4, v21, v33, v14
	v_fma_f32 v19, v22, v33, v8
	;; [unrolled: 1-line block ×4, first 2 shown]
	s_delay_alu instid0(VALU_DEP_4) | instskip(NEXT) | instid1(VALU_DEP_4)
	v_fma_f32 v4, -v22, v34, v4
	v_fmac_f32_e32 v19, v21, v34
	s_delay_alu instid0(VALU_DEP_4) | instskip(NEXT) | instid1(VALU_DEP_4)
	v_fma_f32 v21, -v24, v34, v39
	v_fmac_f32_e32 v20, v23, v34
	s_waitcnt vmcnt(2)
	v_fmac_f32_e32 v4, v25, v35
	v_fmac_f32_e32 v19, v26, v35
	;; [unrolled: 1-line block ×4, first 2 shown]
	s_delay_alu instid0(VALU_DEP_4) | instskip(NEXT) | instid1(VALU_DEP_4)
	v_fma_f32 v4, -v26, v36, v4
	v_fmac_f32_e32 v19, v25, v36
	s_delay_alu instid0(VALU_DEP_4) | instskip(NEXT) | instid1(VALU_DEP_4)
	v_fma_f32 v22, -v28, v36, v21
	v_fmac_f32_e32 v20, v27, v36
	s_waitcnt vmcnt(0)
	v_fmac_f32_e32 v4, v29, v37
	v_fmac_f32_e32 v19, v30, v37
	;; [unrolled: 1-line block ×4, first 2 shown]
	s_delay_alu instid0(VALU_DEP_4) | instskip(NEXT) | instid1(VALU_DEP_4)
	v_fma_f32 v21, -v30, v38, v4
	v_fmac_f32_e32 v19, v29, v38
	s_delay_alu instid0(VALU_DEP_4) | instskip(NEXT) | instid1(VALU_DEP_4)
	v_fma_f32 v22, -v32, v38, v22
	v_fmac_f32_e32 v20, v31, v38
	s_cbranch_execnz .LBB210_15
	s_branch .LBB210_12
.LBB210_17:
	v_dual_mov_b32 v1, s4 :: v_dual_mov_b32 v2, s5
	flat_load_b32 v9, v[1:2]
	v_cndmask_b32_e64 v1, 0, 1, s6
	v_mov_b32_e32 v10, s5
	s_and_not1_b32 vcc_lo, exec_lo, s6
	s_cbranch_vccnz .LBB210_2
.LBB210_18:
	v_dual_mov_b32 v2, s4 :: v_dual_mov_b32 v3, s5
	flat_load_b32 v10, v[2:3] offset:4
	v_cmp_ne_u32_e32 vcc_lo, 1, v1
	v_mov_b32_e32 v11, s2
	s_cbranch_vccnz .LBB210_3
.LBB210_19:
	v_dual_mov_b32 v2, s2 :: v_dual_mov_b32 v3, s3
	flat_load_b32 v11, v[2:3]
	v_cmp_ne_u32_e32 vcc_lo, 1, v1
	v_mov_b32_e32 v12, s3
	s_cbranch_vccz .LBB210_4
	s_branch .LBB210_5
.LBB210_20:
                                        ; implicit-def: $vgpr8
                                        ; implicit-def: $vgpr14
                                        ; implicit-def: $vgpr16
                                        ; implicit-def: $vgpr15
	s_branch .LBB210_23
.LBB210_21:
	s_or_b32 exec_lo, exec_lo, s5
.LBB210_22:
	s_delay_alu instid0(SALU_CYCLE_1) | instskip(NEXT) | instid1(SALU_CYCLE_1)
	s_or_b32 exec_lo, exec_lo, s4
	s_and_not1_b32 vcc_lo, exec_lo, s3
	s_cbranch_vccnz .LBB210_32
.LBB210_23:
	v_dual_mov_b32 v8, 0 :: v_dual_mov_b32 v15, 0
	v_mov_b32_e32 v14, 0
	v_mov_b32_e32 v16, 0
	s_and_saveexec_b32 s3, s2
	s_cbranch_execz .LBB210_31
; %bb.24:
	v_mul_lo_u32 v3, v3, 26
	v_mul_lo_u32 v5, v2, 26
	s_mul_i32 s2, s12, 26
	v_dual_mov_b32 v4, 0 :: v_dual_mov_b32 v15, 0
	v_mov_b32_e32 v8, 0
	v_mov_b32_e32 v14, 0
	;; [unrolled: 1-line block ×3, first 2 shown]
	v_mad_u32_u24 v3, v0, 26, v3
	s_delay_alu instid0(VALU_DEP_1)
	v_subrev_nc_u32_e32 v6, s2, v3
	s_mov_b32 s2, 0
	s_branch .LBB210_26
.LBB210_25:                             ;   in Loop: Header=BB210_26 Depth=1
	v_add_nc_u32_e32 v2, 32, v2
	v_add_nc_u32_e32 v5, 0x340, v5
	;; [unrolled: 1-line block ×3, first 2 shown]
	s_delay_alu instid0(VALU_DEP_3) | instskip(SKIP_1) | instid1(SALU_CYCLE_1)
	v_cmp_ge_i32_e32 vcc_lo, v2, v13
	s_or_b32 s2, vcc_lo, s2
	s_and_not1_b32 exec_lo, exec_lo, s2
	s_cbranch_execz .LBB210_30
.LBB210_26:                             ; =>This Loop Header: Depth=1
                                        ;     Child Loop BB210_28 Depth 2
	v_ashrrev_i32_e32 v3, 31, v2
	v_dual_mov_b32 v20, v14 :: v_dual_mov_b32 v21, v16
	s_mov_b32 s4, 0
	v_mov_b32_e32 v19, v15
	s_delay_alu instid0(VALU_DEP_3) | instskip(NEXT) | instid1(VALU_DEP_1)
	v_lshlrev_b64 v[17:18], 2, v[2:3]
	v_add_co_u32 v17, vcc_lo, s6, v17
	s_delay_alu instid0(VALU_DEP_2) | instskip(SKIP_4) | instid1(VALU_DEP_1)
	v_add_co_ci_u32_e32 v18, vcc_lo, s7, v18, vcc_lo
	global_load_b32 v3, v[17:18], off
	v_mov_b32_e32 v18, v8
	s_waitcnt vmcnt(0)
	v_subrev_nc_u32_e32 v3, s12, v3
	v_mul_lo_u32 v7, v3, 13
	s_branch .LBB210_28
.LBB210_27:                             ;   in Loop: Header=BB210_26 Depth=1
                                        ; implicit-def: $vgpr19
                                        ; implicit-def: $vgpr21
                                        ; implicit-def: $vgpr20
                                        ; implicit-def: $vgpr18
                                        ; implicit-def: $sgpr4
	s_branch .LBB210_25
.LBB210_28:                             ;   Parent Loop BB210_26 Depth=1
                                        ; =>  This Inner Loop Header: Depth=2
	v_add_nc_u32_e32 v3, s4, v6
	v_add_nc_u32_e32 v17, s4, v5
	v_mov_b32_e32 v15, v4
	s_cmp_eq_u32 s4, 12
	s_delay_alu instid0(VALU_DEP_3) | instskip(NEXT) | instid1(VALU_DEP_3)
	v_lshlrev_b64 v[22:23], 3, v[3:4]
	v_add_nc_u32_e32 v14, 13, v17
	v_add_nc_u32_e32 v3, s4, v7
	s_delay_alu instid0(VALU_DEP_2) | instskip(NEXT) | instid1(VALU_DEP_2)
	v_lshlrev_b64 v[14:15], 3, v[14:15]
	v_lshlrev_b64 v[24:25], 3, v[3:4]
	v_add_co_u32 v22, vcc_lo, s8, v22
	v_add_co_ci_u32_e32 v23, vcc_lo, s9, v23, vcc_lo
	s_delay_alu instid0(VALU_DEP_3) | instskip(NEXT) | instid1(VALU_DEP_4)
	v_add_co_u32 v24, vcc_lo, s10, v24
	v_add_co_ci_u32_e32 v25, vcc_lo, s11, v25, vcc_lo
	v_add_co_u32 v14, vcc_lo, s8, v14
	v_add_co_ci_u32_e32 v15, vcc_lo, s9, v15, vcc_lo
	global_load_b64 v[22:23], v[22:23], off
	global_load_b64 v[24:25], v[24:25], off
	;; [unrolled: 1-line block ×3, first 2 shown]
	s_waitcnt vmcnt(1)
	v_fmac_f32_e32 v18, v23, v24
	v_fmac_f32_e32 v20, v22, v24
	s_waitcnt vmcnt(0)
	v_fmac_f32_e32 v21, v26, v24
	s_delay_alu instid0(VALU_DEP_3) | instskip(NEXT) | instid1(VALU_DEP_3)
	v_dual_mov_b32 v8, v18 :: v_dual_fmac_f32 v19, v27, v24
	v_fma_f32 v14, -v23, v25, v20
	s_delay_alu instid0(VALU_DEP_3) | instskip(NEXT) | instid1(VALU_DEP_3)
	v_fma_f32 v16, -v27, v25, v21
	v_dual_fmac_f32 v8, v22, v25 :: v_dual_mov_b32 v15, v19
	s_delay_alu instid0(VALU_DEP_1)
	v_fmac_f32_e32 v15, v26, v25
	s_cbranch_scc1 .LBB210_27
; %bb.29:                               ;   in Loop: Header=BB210_28 Depth=2
	v_dual_mov_b32 v19, v4 :: v_dual_add_nc_u32 v18, 1, v17
	v_dual_mov_b32 v21, v4 :: v_dual_add_nc_u32 v20, 1, v3
	;; [unrolled: 1-line block ×3, first 2 shown]
	s_delay_alu instid0(VALU_DEP_3) | instskip(SKIP_1) | instid1(VALU_DEP_4)
	v_lshlrev_b64 v[18:19], 3, v[18:19]
	v_dual_mov_b32 v25, v4 :: v_dual_add_nc_u32 v24, 2, v17
	v_lshlrev_b64 v[20:21], 3, v[20:21]
	s_add_i32 s4, s4, 4
	s_delay_alu instid0(VALU_DEP_3) | instskip(NEXT) | instid1(VALU_DEP_4)
	v_add_co_u32 v18, vcc_lo, s8, v18
	v_add_co_ci_u32_e32 v19, vcc_lo, s9, v19, vcc_lo
	s_delay_alu instid0(VALU_DEP_3) | instskip(NEXT) | instid1(VALU_DEP_4)
	v_add_co_u32 v20, vcc_lo, s10, v20
	v_add_co_ci_u32_e32 v21, vcc_lo, s11, v21, vcc_lo
	global_load_b64 v[28:29], v[18:19], off
	v_lshlrev_b64 v[18:19], 3, v[22:23]
	v_add_nc_u32_e32 v22, 2, v3
	global_load_b64 v[30:31], v[20:21], off
	v_lshlrev_b64 v[20:21], 3, v[24:25]
	v_add_co_u32 v18, vcc_lo, s8, v18
	v_lshlrev_b64 v[22:23], 3, v[22:23]
	v_add_co_ci_u32_e32 v19, vcc_lo, s9, v19, vcc_lo
	s_delay_alu instid0(VALU_DEP_4) | instskip(SKIP_1) | instid1(VALU_DEP_4)
	v_add_co_u32 v24, vcc_lo, s8, v20
	v_add_co_ci_u32_e32 v25, vcc_lo, s9, v21, vcc_lo
	v_add_co_u32 v32, vcc_lo, s10, v22
	v_add_co_ci_u32_e32 v33, vcc_lo, s11, v23, vcc_lo
	s_clause 0x1
	global_load_b128 v[20:23], v[18:19], off
	global_load_b128 v[24:27], v[24:25], off
	global_load_b64 v[32:33], v[32:33], off
	v_add_nc_u32_e32 v3, 3, v3
	s_delay_alu instid0(VALU_DEP_1) | instskip(SKIP_1) | instid1(VALU_DEP_1)
	v_lshlrev_b64 v[18:19], 3, v[3:4]
	v_add_nc_u32_e32 v3, 16, v17
	v_lshlrev_b64 v[34:35], 3, v[3:4]
	s_delay_alu instid0(VALU_DEP_3) | instskip(NEXT) | instid1(VALU_DEP_4)
	v_add_co_u32 v17, vcc_lo, s10, v18
	v_add_co_ci_u32_e32 v18, vcc_lo, s11, v19, vcc_lo
	s_delay_alu instid0(VALU_DEP_3) | instskip(NEXT) | instid1(VALU_DEP_4)
	v_add_co_u32 v34, vcc_lo, s8, v34
	v_add_co_ci_u32_e32 v35, vcc_lo, s9, v35, vcc_lo
	global_load_b64 v[36:37], v[17:18], off
	global_load_b64 v[34:35], v[34:35], off
	s_waitcnt vmcnt(5)
	v_fma_f32 v18, v29, v30, v8
	v_fma_f32 v3, v28, v30, v14
	s_delay_alu instid0(VALU_DEP_2) | instskip(NEXT) | instid1(VALU_DEP_2)
	v_fmac_f32_e32 v18, v28, v31
	v_fma_f32 v3, -v29, v31, v3
	s_waitcnt vmcnt(4)
	v_fma_f32 v17, v20, v30, v16
	v_fma_f32 v19, v21, v30, v15
	s_waitcnt vmcnt(2)
	v_fmac_f32_e32 v18, v25, v32
	v_fmac_f32_e32 v3, v24, v32
	v_fma_f32 v17, -v21, v31, v17
	s_delay_alu instid0(VALU_DEP_3) | instskip(SKIP_1) | instid1(VALU_DEP_4)
	v_fmac_f32_e32 v18, v24, v33
	v_fmac_f32_e32 v19, v20, v31
	v_fma_f32 v3, -v25, v33, v3
	s_delay_alu instid0(VALU_DEP_4) | instskip(NEXT) | instid1(VALU_DEP_1)
	v_fmac_f32_e32 v17, v22, v32
	v_fma_f32 v17, -v23, v33, v17
	s_waitcnt vmcnt(1)
	v_fmac_f32_e32 v18, v27, v36
	v_fmac_f32_e32 v19, v23, v32
	;; [unrolled: 1-line block ×3, first 2 shown]
	s_waitcnt vmcnt(0)
	v_fmac_f32_e32 v17, v34, v36
	v_fmac_f32_e32 v18, v26, v37
	;; [unrolled: 1-line block ×3, first 2 shown]
	v_fma_f32 v20, -v27, v37, v3
	s_delay_alu instid0(VALU_DEP_4) | instskip(NEXT) | instid1(VALU_DEP_3)
	v_fma_f32 v21, -v35, v37, v17
	v_fmac_f32_e32 v19, v35, v36
	s_delay_alu instid0(VALU_DEP_1)
	v_fmac_f32_e32 v19, v34, v37
	s_cbranch_execnz .LBB210_28
	s_branch .LBB210_25
.LBB210_30:
	s_or_b32 exec_lo, exec_lo, s2
.LBB210_31:
	s_delay_alu instid0(SALU_CYCLE_1)
	s_or_b32 exec_lo, exec_lo, s3
.LBB210_32:
	v_mbcnt_lo_u32_b32 v2, -1, 0
	s_delay_alu instid0(VALU_DEP_1) | instskip(SKIP_1) | instid1(VALU_DEP_2)
	v_xor_b32_e32 v3, 16, v2
	v_xor_b32_e32 v7, 8, v2
	v_cmp_gt_i32_e32 vcc_lo, 32, v3
	v_cndmask_b32_e32 v3, v2, v3, vcc_lo
	s_delay_alu instid0(VALU_DEP_3) | instskip(NEXT) | instid1(VALU_DEP_2)
	v_cmp_gt_i32_e32 vcc_lo, 32, v7
	v_lshlrev_b32_e32 v3, 2, v3
	ds_bpermute_b32 v4, v3, v14
	s_waitcnt lgkmcnt(0)
	v_add_f32_e32 v4, v14, v4
	ds_bpermute_b32 v6, v3, v16
	v_cndmask_b32_e32 v7, v2, v7, vcc_lo
	ds_bpermute_b32 v5, v3, v8
	ds_bpermute_b32 v3, v3, v15
	s_waitcnt lgkmcnt(2)
	v_dual_add_f32 v6, v16, v6 :: v_dual_lshlrev_b32 v7, 2, v7
	s_waitcnt lgkmcnt(1)
	v_add_f32_e32 v5, v8, v5
	ds_bpermute_b32 v14, v7, v6
	s_waitcnt lgkmcnt(0)
	v_dual_add_f32 v6, v6, v14 :: v_dual_add_f32 v3, v15, v3
	ds_bpermute_b32 v8, v7, v4
	ds_bpermute_b32 v13, v7, v5
	v_xor_b32_e32 v15, 4, v2
	s_delay_alu instid0(VALU_DEP_1) | instskip(SKIP_2) | instid1(VALU_DEP_1)
	v_cmp_gt_i32_e32 vcc_lo, 32, v15
	v_cndmask_b32_e32 v15, v2, v15, vcc_lo
	s_waitcnt lgkmcnt(1)
	v_dual_add_f32 v4, v4, v8 :: v_dual_lshlrev_b32 v15, 2, v15
	s_waitcnt lgkmcnt(0)
	v_add_f32_e32 v5, v5, v13
	ds_bpermute_b32 v13, v15, v6
	s_waitcnt lgkmcnt(0)
	v_add_f32_e32 v6, v6, v13
	ds_bpermute_b32 v7, v7, v3
	;; [unrolled: 3-line block ×3, first 2 shown]
	ds_bpermute_b32 v14, v15, v3
	s_waitcnt lgkmcnt(1)
	v_add_f32_e32 v4, v4, v7
	ds_bpermute_b32 v8, v15, v5
	v_xor_b32_e32 v15, 2, v2
	s_waitcnt lgkmcnt(1)
	v_add_f32_e32 v3, v3, v14
	s_delay_alu instid0(VALU_DEP_2) | instskip(SKIP_1) | instid1(VALU_DEP_1)
	v_cmp_gt_i32_e32 vcc_lo, 32, v15
	v_cndmask_b32_e32 v15, v2, v15, vcc_lo
	v_lshlrev_b32_e32 v15, 2, v15
	ds_bpermute_b32 v7, v15, v4
	s_waitcnt lgkmcnt(1)
	v_add_f32_e32 v5, v5, v8
	ds_bpermute_b32 v13, v15, v6
	ds_bpermute_b32 v14, v15, v3
	s_waitcnt lgkmcnt(2)
	v_add_f32_e32 v4, v4, v7
	ds_bpermute_b32 v8, v15, v5
	v_xor_b32_e32 v15, 1, v2
	s_waitcnt lgkmcnt(1)
	v_add_f32_e32 v3, v3, v14
	s_delay_alu instid0(VALU_DEP_2) | instskip(SKIP_2) | instid1(VALU_DEP_2)
	v_cmp_gt_i32_e32 vcc_lo, 32, v15
	v_cndmask_b32_e32 v2, v2, v15, vcc_lo
	v_cmp_eq_u32_e32 vcc_lo, 31, v0
	v_dual_add_f32 v2, v6, v13 :: v_dual_lshlrev_b32 v15, 2, v2
	s_waitcnt lgkmcnt(0)
	v_add_f32_e32 v5, v5, v8
	ds_bpermute_b32 v8, v15, v4
	ds_bpermute_b32 v6, v15, v2
	ds_bpermute_b32 v7, v15, v3
	ds_bpermute_b32 v13, v15, v5
	s_and_b32 exec_lo, exec_lo, vcc_lo
	s_cbranch_execz .LBB210_37
; %bb.33:
	s_load_b64 s[2:3], s[0:1], 0x38
	v_cmp_eq_f32_e32 vcc_lo, 0, v11
	v_cmp_eq_f32_e64 s0, 0, v12
	s_waitcnt lgkmcnt(0)
	v_dual_add_f32 v0, v4, v8 :: v_dual_add_f32 v3, v3, v7
	v_add_f32_e32 v4, v5, v13
	v_add_f32_e32 v2, v2, v6
	s_and_b32 s0, vcc_lo, s0
	s_delay_alu instid0(SALU_CYCLE_1) | instskip(NEXT) | instid1(SALU_CYCLE_1)
	s_and_saveexec_b32 s1, s0
	s_xor_b32 s0, exec_lo, s1
	s_cbranch_execz .LBB210_35
; %bb.34:
	v_mul_f32_e64 v5, v4, -v10
	v_mul_f32_e32 v6, v4, v9
	v_mul_f32_e64 v7, v3, -v10
	v_mul_f32_e32 v8, v3, v9
                                        ; implicit-def: $vgpr4
                                        ; implicit-def: $vgpr3
	s_delay_alu instid0(VALU_DEP_4) | instskip(NEXT) | instid1(VALU_DEP_4)
	v_fmac_f32_e32 v5, v9, v0
	v_dual_fmac_f32 v6, v10, v0 :: v_dual_lshlrev_b32 v11, 1, v1
	s_delay_alu instid0(VALU_DEP_4) | instskip(NEXT) | instid1(VALU_DEP_4)
	v_fmac_f32_e32 v7, v9, v2
	v_fmac_f32_e32 v8, v10, v2
                                        ; implicit-def: $vgpr9
                                        ; implicit-def: $vgpr10
                                        ; implicit-def: $vgpr2
	s_delay_alu instid0(VALU_DEP_3) | instskip(NEXT) | instid1(VALU_DEP_1)
	v_ashrrev_i32_e32 v12, 31, v11
	v_lshlrev_b64 v[11:12], 3, v[11:12]
	s_delay_alu instid0(VALU_DEP_1) | instskip(NEXT) | instid1(VALU_DEP_2)
	v_add_co_u32 v0, vcc_lo, s2, v11
	v_add_co_ci_u32_e32 v1, vcc_lo, s3, v12, vcc_lo
                                        ; implicit-def: $vgpr11
                                        ; implicit-def: $vgpr12
	global_store_b128 v[0:1], v[5:8], off
                                        ; implicit-def: $vgpr1
                                        ; implicit-def: $vgpr0
.LBB210_35:
	s_and_not1_saveexec_b32 s0, s0
	s_cbranch_execz .LBB210_37
; %bb.36:
	v_lshlrev_b32_e32 v5, 1, v1
	v_mul_f32_e64 v15, v4, -v10
	v_mul_f32_e32 v1, v4, v9
	v_mul_f32_e64 v4, v3, -v10
	v_mul_f32_e32 v3, v3, v9
	s_delay_alu instid0(VALU_DEP_4) | instskip(NEXT) | instid1(VALU_DEP_3)
	v_fmac_f32_e32 v15, v9, v0
	v_fmac_f32_e32 v4, v9, v2
	v_ashrrev_i32_e32 v6, 31, v5
	s_delay_alu instid0(VALU_DEP_4) | instskip(NEXT) | instid1(VALU_DEP_2)
	v_fmac_f32_e32 v3, v10, v2
	v_lshlrev_b64 v[5:6], 3, v[5:6]
	s_delay_alu instid0(VALU_DEP_1) | instskip(NEXT) | instid1(VALU_DEP_2)
	v_add_co_u32 v13, vcc_lo, s2, v5
	v_add_co_ci_u32_e32 v14, vcc_lo, s3, v6, vcc_lo
	global_load_b128 v[5:8], v[13:14], off
	s_waitcnt vmcnt(0)
	v_dual_fmac_f32 v4, v11, v7 :: v_dual_fmac_f32 v1, v10, v0
	v_fmac_f32_e32 v15, v11, v5
	v_fmac_f32_e32 v3, v12, v7
	s_delay_alu instid0(VALU_DEP_3) | instskip(NEXT) | instid1(VALU_DEP_4)
	v_fma_f32 v2, -v12, v8, v4
	v_fmac_f32_e32 v1, v12, v5
	s_delay_alu instid0(VALU_DEP_4) | instskip(NEXT) | instid1(VALU_DEP_4)
	v_fma_f32 v0, -v12, v6, v15
	v_fmac_f32_e32 v3, v11, v8
	s_delay_alu instid0(VALU_DEP_3)
	v_fmac_f32_e32 v1, v11, v6
	global_store_b128 v[13:14], v[0:3], off
.LBB210_37:
	s_nop 0
	s_sendmsg sendmsg(MSG_DEALLOC_VGPRS)
	s_endpgm
	.section	.rodata,"a",@progbits
	.p2align	6, 0x0
	.amdhsa_kernel _ZN9rocsparseL19gebsrmvn_2xn_kernelILj128ELj13ELj32E21rocsparse_complex_numIfEEEvi20rocsparse_direction_NS_24const_host_device_scalarIT2_EEPKiS8_PKS5_SA_S6_PS5_21rocsparse_index_base_b
		.amdhsa_group_segment_fixed_size 0
		.amdhsa_private_segment_fixed_size 0
		.amdhsa_kernarg_size 72
		.amdhsa_user_sgpr_count 15
		.amdhsa_user_sgpr_dispatch_ptr 0
		.amdhsa_user_sgpr_queue_ptr 0
		.amdhsa_user_sgpr_kernarg_segment_ptr 1
		.amdhsa_user_sgpr_dispatch_id 0
		.amdhsa_user_sgpr_private_segment_size 0
		.amdhsa_wavefront_size32 1
		.amdhsa_uses_dynamic_stack 0
		.amdhsa_enable_private_segment 0
		.amdhsa_system_sgpr_workgroup_id_x 1
		.amdhsa_system_sgpr_workgroup_id_y 0
		.amdhsa_system_sgpr_workgroup_id_z 0
		.amdhsa_system_sgpr_workgroup_info 0
		.amdhsa_system_vgpr_workitem_id 0
		.amdhsa_next_free_vgpr 40
		.amdhsa_next_free_sgpr 16
		.amdhsa_reserve_vcc 1
		.amdhsa_float_round_mode_32 0
		.amdhsa_float_round_mode_16_64 0
		.amdhsa_float_denorm_mode_32 3
		.amdhsa_float_denorm_mode_16_64 3
		.amdhsa_dx10_clamp 1
		.amdhsa_ieee_mode 1
		.amdhsa_fp16_overflow 0
		.amdhsa_workgroup_processor_mode 1
		.amdhsa_memory_ordered 1
		.amdhsa_forward_progress 0
		.amdhsa_shared_vgpr_count 0
		.amdhsa_exception_fp_ieee_invalid_op 0
		.amdhsa_exception_fp_denorm_src 0
		.amdhsa_exception_fp_ieee_div_zero 0
		.amdhsa_exception_fp_ieee_overflow 0
		.amdhsa_exception_fp_ieee_underflow 0
		.amdhsa_exception_fp_ieee_inexact 0
		.amdhsa_exception_int_div_zero 0
	.end_amdhsa_kernel
	.section	.text._ZN9rocsparseL19gebsrmvn_2xn_kernelILj128ELj13ELj32E21rocsparse_complex_numIfEEEvi20rocsparse_direction_NS_24const_host_device_scalarIT2_EEPKiS8_PKS5_SA_S6_PS5_21rocsparse_index_base_b,"axG",@progbits,_ZN9rocsparseL19gebsrmvn_2xn_kernelILj128ELj13ELj32E21rocsparse_complex_numIfEEEvi20rocsparse_direction_NS_24const_host_device_scalarIT2_EEPKiS8_PKS5_SA_S6_PS5_21rocsparse_index_base_b,comdat
.Lfunc_end210:
	.size	_ZN9rocsparseL19gebsrmvn_2xn_kernelILj128ELj13ELj32E21rocsparse_complex_numIfEEEvi20rocsparse_direction_NS_24const_host_device_scalarIT2_EEPKiS8_PKS5_SA_S6_PS5_21rocsparse_index_base_b, .Lfunc_end210-_ZN9rocsparseL19gebsrmvn_2xn_kernelILj128ELj13ELj32E21rocsparse_complex_numIfEEEvi20rocsparse_direction_NS_24const_host_device_scalarIT2_EEPKiS8_PKS5_SA_S6_PS5_21rocsparse_index_base_b
                                        ; -- End function
	.section	.AMDGPU.csdata,"",@progbits
; Kernel info:
; codeLenInByte = 2824
; NumSgprs: 18
; NumVgprs: 40
; ScratchSize: 0
; MemoryBound: 0
; FloatMode: 240
; IeeeMode: 1
; LDSByteSize: 0 bytes/workgroup (compile time only)
; SGPRBlocks: 2
; VGPRBlocks: 4
; NumSGPRsForWavesPerEU: 18
; NumVGPRsForWavesPerEU: 40
; Occupancy: 16
; WaveLimiterHint : 1
; COMPUTE_PGM_RSRC2:SCRATCH_EN: 0
; COMPUTE_PGM_RSRC2:USER_SGPR: 15
; COMPUTE_PGM_RSRC2:TRAP_HANDLER: 0
; COMPUTE_PGM_RSRC2:TGID_X_EN: 1
; COMPUTE_PGM_RSRC2:TGID_Y_EN: 0
; COMPUTE_PGM_RSRC2:TGID_Z_EN: 0
; COMPUTE_PGM_RSRC2:TIDIG_COMP_CNT: 0
	.section	.text._ZN9rocsparseL19gebsrmvn_2xn_kernelILj128ELj13ELj64E21rocsparse_complex_numIfEEEvi20rocsparse_direction_NS_24const_host_device_scalarIT2_EEPKiS8_PKS5_SA_S6_PS5_21rocsparse_index_base_b,"axG",@progbits,_ZN9rocsparseL19gebsrmvn_2xn_kernelILj128ELj13ELj64E21rocsparse_complex_numIfEEEvi20rocsparse_direction_NS_24const_host_device_scalarIT2_EEPKiS8_PKS5_SA_S6_PS5_21rocsparse_index_base_b,comdat
	.globl	_ZN9rocsparseL19gebsrmvn_2xn_kernelILj128ELj13ELj64E21rocsparse_complex_numIfEEEvi20rocsparse_direction_NS_24const_host_device_scalarIT2_EEPKiS8_PKS5_SA_S6_PS5_21rocsparse_index_base_b ; -- Begin function _ZN9rocsparseL19gebsrmvn_2xn_kernelILj128ELj13ELj64E21rocsparse_complex_numIfEEEvi20rocsparse_direction_NS_24const_host_device_scalarIT2_EEPKiS8_PKS5_SA_S6_PS5_21rocsparse_index_base_b
	.p2align	8
	.type	_ZN9rocsparseL19gebsrmvn_2xn_kernelILj128ELj13ELj64E21rocsparse_complex_numIfEEEvi20rocsparse_direction_NS_24const_host_device_scalarIT2_EEPKiS8_PKS5_SA_S6_PS5_21rocsparse_index_base_b,@function
_ZN9rocsparseL19gebsrmvn_2xn_kernelILj128ELj13ELj64E21rocsparse_complex_numIfEEEvi20rocsparse_direction_NS_24const_host_device_scalarIT2_EEPKiS8_PKS5_SA_S6_PS5_21rocsparse_index_base_b: ; @_ZN9rocsparseL19gebsrmvn_2xn_kernelILj128ELj13ELj64E21rocsparse_complex_numIfEEEvi20rocsparse_direction_NS_24const_host_device_scalarIT2_EEPKiS8_PKS5_SA_S6_PS5_21rocsparse_index_base_b
; %bb.0:
	s_clause 0x2
	s_load_b64 s[12:13], s[0:1], 0x40
	s_load_b64 s[4:5], s[0:1], 0x8
	;; [unrolled: 1-line block ×3, first 2 shown]
	s_waitcnt lgkmcnt(0)
	s_bitcmp1_b32 s13, 0
	v_mov_b32_e32 v9, s4
	s_cselect_b32 s6, -1, 0
	s_delay_alu instid0(SALU_CYCLE_1)
	s_and_b32 vcc_lo, exec_lo, s6
	s_xor_b32 s6, s6, -1
	s_cbranch_vccz .LBB211_17
; %bb.1:
	v_cndmask_b32_e64 v1, 0, 1, s6
	v_mov_b32_e32 v10, s5
	s_and_not1_b32 vcc_lo, exec_lo, s6
	s_cbranch_vccz .LBB211_18
.LBB211_2:
	s_delay_alu instid0(VALU_DEP_2)
	v_cmp_ne_u32_e32 vcc_lo, 1, v1
	v_mov_b32_e32 v11, s2
	s_cbranch_vccz .LBB211_19
.LBB211_3:
	v_cmp_ne_u32_e32 vcc_lo, 1, v1
	v_mov_b32_e32 v12, s3
	s_cbranch_vccnz .LBB211_5
.LBB211_4:
	v_dual_mov_b32 v1, s2 :: v_dual_mov_b32 v2, s3
	flat_load_b32 v12, v[1:2] offset:4
.LBB211_5:
	s_waitcnt vmcnt(0) lgkmcnt(0)
	v_cmp_eq_f32_e32 vcc_lo, 0, v9
	v_cmp_eq_f32_e64 s2, 0, v10
	s_delay_alu instid0(VALU_DEP_1)
	s_and_b32 s4, vcc_lo, s2
	s_mov_b32 s2, -1
	s_and_saveexec_b32 s3, s4
; %bb.6:
	v_cmp_neq_f32_e32 vcc_lo, 1.0, v11
	v_cmp_neq_f32_e64 s2, 0, v12
	s_delay_alu instid0(VALU_DEP_1) | instskip(NEXT) | instid1(SALU_CYCLE_1)
	s_or_b32 s2, vcc_lo, s2
	s_or_not1_b32 s2, s2, exec_lo
; %bb.7:
	s_or_b32 exec_lo, exec_lo, s3
	s_and_saveexec_b32 s3, s2
	s_cbranch_execz .LBB211_37
; %bb.8:
	s_load_b64 s[2:3], s[0:1], 0x0
	v_lshrrev_b32_e32 v1, 6, v0
	s_delay_alu instid0(VALU_DEP_1) | instskip(SKIP_1) | instid1(VALU_DEP_1)
	v_lshl_or_b32 v1, s15, 1, v1
	s_waitcnt lgkmcnt(0)
	v_cmp_gt_i32_e32 vcc_lo, s2, v1
	s_and_b32 exec_lo, exec_lo, vcc_lo
	s_cbranch_execz .LBB211_37
; %bb.9:
	s_load_b256 s[4:11], s[0:1], 0x10
	v_ashrrev_i32_e32 v2, 31, v1
	v_and_b32_e32 v0, 63, v0
	s_cmp_lg_u32 s3, 0
	s_delay_alu instid0(VALU_DEP_2) | instskip(SKIP_1) | instid1(VALU_DEP_1)
	v_lshlrev_b64 v[2:3], 2, v[1:2]
	s_waitcnt lgkmcnt(0)
	v_add_co_u32 v2, vcc_lo, s4, v2
	s_delay_alu instid0(VALU_DEP_2) | instskip(SKIP_4) | instid1(VALU_DEP_2)
	v_add_co_ci_u32_e32 v3, vcc_lo, s5, v3, vcc_lo
	global_load_b64 v[3:4], v[2:3], off
	s_waitcnt vmcnt(0)
	v_subrev_nc_u32_e32 v2, s12, v3
	v_subrev_nc_u32_e32 v13, s12, v4
	v_add_nc_u32_e32 v2, v2, v0
	s_delay_alu instid0(VALU_DEP_1)
	v_cmp_lt_i32_e64 s2, v2, v13
	s_cbranch_scc0 .LBB211_20
; %bb.10:
	v_dual_mov_b32 v8, 0 :: v_dual_mov_b32 v15, 0
	v_mov_b32_e32 v14, 0
	v_mov_b32_e32 v16, 0
	s_mov_b32 s3, 0
	s_and_saveexec_b32 s4, s2
	s_cbranch_execz .LBB211_22
; %bb.11:
	v_mul_lo_u32 v4, v3, 26
	v_mul_lo_u32 v17, v2, 26
	s_mul_i32 s5, s12, 26
	v_dual_mov_b32 v5, 0 :: v_dual_mov_b32 v6, v2
	v_dual_mov_b32 v8, 0 :: v_dual_mov_b32 v15, 0
	v_mov_b32_e32 v14, 0
	v_mad_u32_u24 v4, v0, 26, v4
	v_mov_b32_e32 v16, 0
	s_delay_alu instid0(VALU_DEP_2)
	v_subrev_nc_u32_e32 v18, s5, v4
	s_mov_b32 s5, 0
	s_branch .LBB211_13
.LBB211_12:                             ;   in Loop: Header=BB211_13 Depth=1
	v_add_nc_u32_e32 v6, 64, v6
	v_add_nc_u32_e32 v17, 0x680, v17
	;; [unrolled: 1-line block ×3, first 2 shown]
	s_delay_alu instid0(VALU_DEP_3) | instskip(SKIP_1) | instid1(SALU_CYCLE_1)
	v_cmp_ge_i32_e32 vcc_lo, v6, v13
	s_or_b32 s5, vcc_lo, s5
	s_and_not1_b32 exec_lo, exec_lo, s5
	s_cbranch_execz .LBB211_21
.LBB211_13:                             ; =>This Loop Header: Depth=1
                                        ;     Child Loop BB211_15 Depth 2
	v_ashrrev_i32_e32 v7, 31, v6
	v_dual_mov_b32 v21, v14 :: v_dual_mov_b32 v22, v16
	s_mov_b32 s13, 0
	s_delay_alu instid0(VALU_DEP_2) | instskip(NEXT) | instid1(VALU_DEP_1)
	v_lshlrev_b64 v[19:20], 2, v[6:7]
	v_add_co_u32 v19, vcc_lo, s6, v19
	s_delay_alu instid0(VALU_DEP_2) | instskip(SKIP_4) | instid1(VALU_DEP_1)
	v_add_co_ci_u32_e32 v20, vcc_lo, s7, v20, vcc_lo
	global_load_b32 v4, v[19:20], off
	v_dual_mov_b32 v19, v8 :: v_dual_mov_b32 v20, v15
	s_waitcnt vmcnt(0)
	v_subrev_nc_u32_e32 v4, s12, v4
	v_mul_lo_u32 v7, v4, 13
	s_branch .LBB211_15
.LBB211_14:                             ;   in Loop: Header=BB211_13 Depth=1
                                        ; implicit-def: $vgpr20
                                        ; implicit-def: $vgpr22
                                        ; implicit-def: $vgpr21
                                        ; implicit-def: $vgpr19
                                        ; implicit-def: $sgpr13
                                        ; implicit-def: $vgpr7
	s_branch .LBB211_12
.LBB211_15:                             ;   Parent Loop BB211_13 Depth=1
                                        ; =>  This Inner Loop Header: Depth=2
	v_add_nc_u32_e32 v4, s13, v18
	v_mov_b32_e32 v8, v5
	s_cmp_eq_u32 s13, 24
	s_delay_alu instid0(VALU_DEP_2) | instskip(NEXT) | instid1(VALU_DEP_2)
	v_lshlrev_b64 v[14:15], 3, v[4:5]
	v_lshlrev_b64 v[23:24], 3, v[7:8]
	s_delay_alu instid0(VALU_DEP_2) | instskip(NEXT) | instid1(VALU_DEP_3)
	v_add_co_u32 v14, vcc_lo, s8, v14
	v_add_co_ci_u32_e32 v15, vcc_lo, s9, v15, vcc_lo
	s_delay_alu instid0(VALU_DEP_3) | instskip(NEXT) | instid1(VALU_DEP_4)
	v_add_co_u32 v27, vcc_lo, s10, v23
	v_add_co_ci_u32_e32 v28, vcc_lo, s11, v24, vcc_lo
	global_load_b128 v[23:26], v[14:15], off
	global_load_b64 v[27:28], v[27:28], off
	s_waitcnt vmcnt(0)
	v_fmac_f32_e32 v21, v23, v27
	v_fmac_f32_e32 v19, v24, v27
	v_fmac_f32_e32 v20, v26, v27
	v_fmac_f32_e32 v22, v25, v27
	s_delay_alu instid0(VALU_DEP_4) | instskip(NEXT) | instid1(VALU_DEP_3)
	v_fma_f32 v14, -v24, v28, v21
	v_dual_mov_b32 v8, v19 :: v_dual_mov_b32 v15, v20
	s_delay_alu instid0(VALU_DEP_3) | instskip(NEXT) | instid1(VALU_DEP_2)
	v_fma_f32 v16, -v26, v28, v22
	v_fmac_f32_e32 v8, v23, v28
	s_delay_alu instid0(VALU_DEP_3)
	v_fmac_f32_e32 v15, v25, v28
	s_cbranch_scc1 .LBB211_14
; %bb.16:                               ;   in Loop: Header=BB211_15 Depth=2
	v_add_nc_u32_e32 v29, s13, v17
	s_add_i32 s13, s13, 8
	s_delay_alu instid0(VALU_DEP_1) | instskip(NEXT) | instid1(VALU_DEP_1)
	v_add_nc_u32_e32 v4, 2, v29
	v_lshlrev_b64 v[19:20], 3, v[4:5]
	v_add_nc_u32_e32 v4, 1, v7
	s_delay_alu instid0(VALU_DEP_1) | instskip(SKIP_1) | instid1(VALU_DEP_4)
	v_lshlrev_b64 v[21:22], 3, v[4:5]
	v_add_nc_u32_e32 v4, 4, v29
	v_add_co_u32 v19, vcc_lo, s8, v19
	v_add_co_ci_u32_e32 v20, vcc_lo, s9, v20, vcc_lo
	s_delay_alu instid0(VALU_DEP_3) | instskip(SKIP_3) | instid1(VALU_DEP_4)
	v_lshlrev_b64 v[25:26], 3, v[4:5]
	v_add_co_u32 v27, vcc_lo, s10, v21
	v_add_co_ci_u32_e32 v28, vcc_lo, s11, v22, vcc_lo
	v_add_nc_u32_e32 v4, 2, v7
	v_add_co_u32 v25, vcc_lo, s8, v25
	v_add_co_ci_u32_e32 v26, vcc_lo, s9, v26, vcc_lo
	global_load_b128 v[21:24], v[19:20], off
	global_load_b64 v[33:34], v[27:28], off
	global_load_b128 v[25:28], v[25:26], off
	v_lshlrev_b64 v[19:20], 3, v[4:5]
	s_delay_alu instid0(VALU_DEP_1) | instskip(NEXT) | instid1(VALU_DEP_2)
	v_add_co_u32 v19, vcc_lo, s10, v19
	v_add_co_ci_u32_e32 v20, vcc_lo, s11, v20, vcc_lo
	global_load_b64 v[35:36], v[19:20], off
	v_add_nc_u32_e32 v4, 6, v29
	s_delay_alu instid0(VALU_DEP_1) | instskip(SKIP_2) | instid1(VALU_DEP_2)
	v_lshlrev_b64 v[29:30], 3, v[4:5]
	v_add_nc_u32_e32 v4, 3, v7
	v_add_nc_u32_e32 v7, 4, v7
	v_lshlrev_b64 v[31:32], 3, v[4:5]
	s_delay_alu instid0(VALU_DEP_4) | instskip(SKIP_1) | instid1(VALU_DEP_3)
	v_add_co_u32 v19, vcc_lo, s8, v29
	v_add_co_ci_u32_e32 v20, vcc_lo, s9, v30, vcc_lo
	v_add_co_u32 v37, vcc_lo, s10, v31
	s_delay_alu instid0(VALU_DEP_4)
	v_add_co_ci_u32_e32 v38, vcc_lo, s11, v32, vcc_lo
	global_load_b128 v[29:32], v[19:20], off
	global_load_b64 v[37:38], v[37:38], off
	s_waitcnt vmcnt(4)
	v_fma_f32 v4, v21, v33, v14
	v_fma_f32 v19, v22, v33, v8
	v_fma_f32 v39, v23, v33, v16
	v_fma_f32 v20, v24, v33, v15
	s_delay_alu instid0(VALU_DEP_4) | instskip(NEXT) | instid1(VALU_DEP_4)
	v_fma_f32 v4, -v22, v34, v4
	v_fmac_f32_e32 v19, v21, v34
	s_delay_alu instid0(VALU_DEP_4) | instskip(NEXT) | instid1(VALU_DEP_4)
	v_fma_f32 v21, -v24, v34, v39
	v_fmac_f32_e32 v20, v23, v34
	s_waitcnt vmcnt(2)
	v_fmac_f32_e32 v4, v25, v35
	v_fmac_f32_e32 v19, v26, v35
	;; [unrolled: 1-line block ×4, first 2 shown]
	s_delay_alu instid0(VALU_DEP_4) | instskip(NEXT) | instid1(VALU_DEP_4)
	v_fma_f32 v4, -v26, v36, v4
	v_fmac_f32_e32 v19, v25, v36
	s_delay_alu instid0(VALU_DEP_4) | instskip(NEXT) | instid1(VALU_DEP_4)
	v_fma_f32 v22, -v28, v36, v21
	v_fmac_f32_e32 v20, v27, v36
	s_waitcnt vmcnt(0)
	v_fmac_f32_e32 v4, v29, v37
	v_fmac_f32_e32 v19, v30, v37
	;; [unrolled: 1-line block ×4, first 2 shown]
	s_delay_alu instid0(VALU_DEP_4) | instskip(NEXT) | instid1(VALU_DEP_4)
	v_fma_f32 v21, -v30, v38, v4
	v_fmac_f32_e32 v19, v29, v38
	s_delay_alu instid0(VALU_DEP_4) | instskip(NEXT) | instid1(VALU_DEP_4)
	v_fma_f32 v22, -v32, v38, v22
	v_fmac_f32_e32 v20, v31, v38
	s_cbranch_execnz .LBB211_15
	s_branch .LBB211_12
.LBB211_17:
	v_dual_mov_b32 v1, s4 :: v_dual_mov_b32 v2, s5
	flat_load_b32 v9, v[1:2]
	v_cndmask_b32_e64 v1, 0, 1, s6
	v_mov_b32_e32 v10, s5
	s_and_not1_b32 vcc_lo, exec_lo, s6
	s_cbranch_vccnz .LBB211_2
.LBB211_18:
	v_dual_mov_b32 v2, s4 :: v_dual_mov_b32 v3, s5
	flat_load_b32 v10, v[2:3] offset:4
	v_cmp_ne_u32_e32 vcc_lo, 1, v1
	v_mov_b32_e32 v11, s2
	s_cbranch_vccnz .LBB211_3
.LBB211_19:
	v_dual_mov_b32 v2, s2 :: v_dual_mov_b32 v3, s3
	flat_load_b32 v11, v[2:3]
	v_cmp_ne_u32_e32 vcc_lo, 1, v1
	v_mov_b32_e32 v12, s3
	s_cbranch_vccz .LBB211_4
	s_branch .LBB211_5
.LBB211_20:
                                        ; implicit-def: $vgpr8
                                        ; implicit-def: $vgpr14
                                        ; implicit-def: $vgpr16
                                        ; implicit-def: $vgpr15
	s_branch .LBB211_23
.LBB211_21:
	s_or_b32 exec_lo, exec_lo, s5
.LBB211_22:
	s_delay_alu instid0(SALU_CYCLE_1) | instskip(NEXT) | instid1(SALU_CYCLE_1)
	s_or_b32 exec_lo, exec_lo, s4
	s_and_not1_b32 vcc_lo, exec_lo, s3
	s_cbranch_vccnz .LBB211_32
.LBB211_23:
	v_dual_mov_b32 v8, 0 :: v_dual_mov_b32 v15, 0
	v_mov_b32_e32 v14, 0
	v_mov_b32_e32 v16, 0
	s_and_saveexec_b32 s3, s2
	s_cbranch_execz .LBB211_31
; %bb.24:
	v_mul_lo_u32 v3, v3, 26
	v_mul_lo_u32 v5, v2, 26
	s_mul_i32 s2, s12, 26
	v_dual_mov_b32 v4, 0 :: v_dual_mov_b32 v15, 0
	v_mov_b32_e32 v8, 0
	v_mov_b32_e32 v14, 0
	;; [unrolled: 1-line block ×3, first 2 shown]
	v_mad_u32_u24 v3, v0, 26, v3
	s_delay_alu instid0(VALU_DEP_1)
	v_subrev_nc_u32_e32 v6, s2, v3
	s_mov_b32 s2, 0
	s_branch .LBB211_26
.LBB211_25:                             ;   in Loop: Header=BB211_26 Depth=1
	v_add_nc_u32_e32 v2, 64, v2
	v_add_nc_u32_e32 v5, 0x680, v5
	v_add_nc_u32_e32 v6, 0x680, v6
	s_delay_alu instid0(VALU_DEP_3) | instskip(SKIP_1) | instid1(SALU_CYCLE_1)
	v_cmp_ge_i32_e32 vcc_lo, v2, v13
	s_or_b32 s2, vcc_lo, s2
	s_and_not1_b32 exec_lo, exec_lo, s2
	s_cbranch_execz .LBB211_30
.LBB211_26:                             ; =>This Loop Header: Depth=1
                                        ;     Child Loop BB211_28 Depth 2
	v_ashrrev_i32_e32 v3, 31, v2
	v_dual_mov_b32 v20, v14 :: v_dual_mov_b32 v21, v16
	s_mov_b32 s4, 0
	v_mov_b32_e32 v19, v15
	s_delay_alu instid0(VALU_DEP_3) | instskip(NEXT) | instid1(VALU_DEP_1)
	v_lshlrev_b64 v[17:18], 2, v[2:3]
	v_add_co_u32 v17, vcc_lo, s6, v17
	s_delay_alu instid0(VALU_DEP_2) | instskip(SKIP_4) | instid1(VALU_DEP_1)
	v_add_co_ci_u32_e32 v18, vcc_lo, s7, v18, vcc_lo
	global_load_b32 v3, v[17:18], off
	v_mov_b32_e32 v18, v8
	s_waitcnt vmcnt(0)
	v_subrev_nc_u32_e32 v3, s12, v3
	v_mul_lo_u32 v7, v3, 13
	s_branch .LBB211_28
.LBB211_27:                             ;   in Loop: Header=BB211_26 Depth=1
                                        ; implicit-def: $vgpr19
                                        ; implicit-def: $vgpr21
                                        ; implicit-def: $vgpr20
                                        ; implicit-def: $vgpr18
                                        ; implicit-def: $sgpr4
	s_branch .LBB211_25
.LBB211_28:                             ;   Parent Loop BB211_26 Depth=1
                                        ; =>  This Inner Loop Header: Depth=2
	v_add_nc_u32_e32 v3, s4, v6
	v_add_nc_u32_e32 v17, s4, v5
	v_mov_b32_e32 v15, v4
	s_cmp_eq_u32 s4, 12
	s_delay_alu instid0(VALU_DEP_3) | instskip(NEXT) | instid1(VALU_DEP_3)
	v_lshlrev_b64 v[22:23], 3, v[3:4]
	v_add_nc_u32_e32 v14, 13, v17
	v_add_nc_u32_e32 v3, s4, v7
	s_delay_alu instid0(VALU_DEP_2) | instskip(NEXT) | instid1(VALU_DEP_2)
	v_lshlrev_b64 v[14:15], 3, v[14:15]
	v_lshlrev_b64 v[24:25], 3, v[3:4]
	v_add_co_u32 v22, vcc_lo, s8, v22
	v_add_co_ci_u32_e32 v23, vcc_lo, s9, v23, vcc_lo
	s_delay_alu instid0(VALU_DEP_3) | instskip(NEXT) | instid1(VALU_DEP_4)
	v_add_co_u32 v24, vcc_lo, s10, v24
	v_add_co_ci_u32_e32 v25, vcc_lo, s11, v25, vcc_lo
	v_add_co_u32 v14, vcc_lo, s8, v14
	v_add_co_ci_u32_e32 v15, vcc_lo, s9, v15, vcc_lo
	global_load_b64 v[22:23], v[22:23], off
	global_load_b64 v[24:25], v[24:25], off
	;; [unrolled: 1-line block ×3, first 2 shown]
	s_waitcnt vmcnt(1)
	v_fmac_f32_e32 v18, v23, v24
	v_fmac_f32_e32 v20, v22, v24
	s_waitcnt vmcnt(0)
	v_fmac_f32_e32 v21, v26, v24
	s_delay_alu instid0(VALU_DEP_3) | instskip(NEXT) | instid1(VALU_DEP_3)
	v_dual_mov_b32 v8, v18 :: v_dual_fmac_f32 v19, v27, v24
	v_fma_f32 v14, -v23, v25, v20
	s_delay_alu instid0(VALU_DEP_3) | instskip(NEXT) | instid1(VALU_DEP_3)
	v_fma_f32 v16, -v27, v25, v21
	v_dual_fmac_f32 v8, v22, v25 :: v_dual_mov_b32 v15, v19
	s_delay_alu instid0(VALU_DEP_1)
	v_fmac_f32_e32 v15, v26, v25
	s_cbranch_scc1 .LBB211_27
; %bb.29:                               ;   in Loop: Header=BB211_28 Depth=2
	v_dual_mov_b32 v19, v4 :: v_dual_add_nc_u32 v18, 1, v17
	v_dual_mov_b32 v21, v4 :: v_dual_add_nc_u32 v20, 1, v3
	;; [unrolled: 1-line block ×3, first 2 shown]
	s_delay_alu instid0(VALU_DEP_3) | instskip(SKIP_1) | instid1(VALU_DEP_4)
	v_lshlrev_b64 v[18:19], 3, v[18:19]
	v_dual_mov_b32 v25, v4 :: v_dual_add_nc_u32 v24, 2, v17
	v_lshlrev_b64 v[20:21], 3, v[20:21]
	s_add_i32 s4, s4, 4
	s_delay_alu instid0(VALU_DEP_3) | instskip(NEXT) | instid1(VALU_DEP_4)
	v_add_co_u32 v18, vcc_lo, s8, v18
	v_add_co_ci_u32_e32 v19, vcc_lo, s9, v19, vcc_lo
	s_delay_alu instid0(VALU_DEP_3) | instskip(NEXT) | instid1(VALU_DEP_4)
	v_add_co_u32 v20, vcc_lo, s10, v20
	v_add_co_ci_u32_e32 v21, vcc_lo, s11, v21, vcc_lo
	global_load_b64 v[28:29], v[18:19], off
	v_lshlrev_b64 v[18:19], 3, v[22:23]
	v_add_nc_u32_e32 v22, 2, v3
	global_load_b64 v[30:31], v[20:21], off
	v_lshlrev_b64 v[20:21], 3, v[24:25]
	v_add_co_u32 v18, vcc_lo, s8, v18
	v_lshlrev_b64 v[22:23], 3, v[22:23]
	v_add_co_ci_u32_e32 v19, vcc_lo, s9, v19, vcc_lo
	s_delay_alu instid0(VALU_DEP_4) | instskip(SKIP_1) | instid1(VALU_DEP_4)
	v_add_co_u32 v24, vcc_lo, s8, v20
	v_add_co_ci_u32_e32 v25, vcc_lo, s9, v21, vcc_lo
	v_add_co_u32 v32, vcc_lo, s10, v22
	v_add_co_ci_u32_e32 v33, vcc_lo, s11, v23, vcc_lo
	s_clause 0x1
	global_load_b128 v[20:23], v[18:19], off
	global_load_b128 v[24:27], v[24:25], off
	global_load_b64 v[32:33], v[32:33], off
	v_add_nc_u32_e32 v3, 3, v3
	s_delay_alu instid0(VALU_DEP_1) | instskip(SKIP_1) | instid1(VALU_DEP_1)
	v_lshlrev_b64 v[18:19], 3, v[3:4]
	v_add_nc_u32_e32 v3, 16, v17
	v_lshlrev_b64 v[34:35], 3, v[3:4]
	s_delay_alu instid0(VALU_DEP_3) | instskip(NEXT) | instid1(VALU_DEP_4)
	v_add_co_u32 v17, vcc_lo, s10, v18
	v_add_co_ci_u32_e32 v18, vcc_lo, s11, v19, vcc_lo
	s_delay_alu instid0(VALU_DEP_3) | instskip(NEXT) | instid1(VALU_DEP_4)
	v_add_co_u32 v34, vcc_lo, s8, v34
	v_add_co_ci_u32_e32 v35, vcc_lo, s9, v35, vcc_lo
	global_load_b64 v[36:37], v[17:18], off
	global_load_b64 v[34:35], v[34:35], off
	s_waitcnt vmcnt(5)
	v_fma_f32 v18, v29, v30, v8
	v_fma_f32 v3, v28, v30, v14
	s_delay_alu instid0(VALU_DEP_2) | instskip(NEXT) | instid1(VALU_DEP_2)
	v_fmac_f32_e32 v18, v28, v31
	v_fma_f32 v3, -v29, v31, v3
	s_waitcnt vmcnt(4)
	v_fma_f32 v17, v20, v30, v16
	v_fma_f32 v19, v21, v30, v15
	s_waitcnt vmcnt(2)
	v_fmac_f32_e32 v18, v25, v32
	v_fmac_f32_e32 v3, v24, v32
	v_fma_f32 v17, -v21, v31, v17
	s_delay_alu instid0(VALU_DEP_3) | instskip(SKIP_1) | instid1(VALU_DEP_4)
	v_fmac_f32_e32 v18, v24, v33
	v_fmac_f32_e32 v19, v20, v31
	v_fma_f32 v3, -v25, v33, v3
	s_delay_alu instid0(VALU_DEP_4) | instskip(NEXT) | instid1(VALU_DEP_1)
	v_fmac_f32_e32 v17, v22, v32
	v_fma_f32 v17, -v23, v33, v17
	s_waitcnt vmcnt(1)
	v_fmac_f32_e32 v18, v27, v36
	v_fmac_f32_e32 v19, v23, v32
	;; [unrolled: 1-line block ×3, first 2 shown]
	s_waitcnt vmcnt(0)
	v_fmac_f32_e32 v17, v34, v36
	v_fmac_f32_e32 v18, v26, v37
	;; [unrolled: 1-line block ×3, first 2 shown]
	v_fma_f32 v20, -v27, v37, v3
	s_delay_alu instid0(VALU_DEP_4) | instskip(NEXT) | instid1(VALU_DEP_3)
	v_fma_f32 v21, -v35, v37, v17
	v_fmac_f32_e32 v19, v35, v36
	s_delay_alu instid0(VALU_DEP_1)
	v_fmac_f32_e32 v19, v34, v37
	s_cbranch_execnz .LBB211_28
	s_branch .LBB211_25
.LBB211_30:
	s_or_b32 exec_lo, exec_lo, s2
.LBB211_31:
	s_delay_alu instid0(SALU_CYCLE_1)
	s_or_b32 exec_lo, exec_lo, s3
.LBB211_32:
	v_mbcnt_lo_u32_b32 v2, -1, 0
	s_delay_alu instid0(VALU_DEP_1) | instskip(SKIP_1) | instid1(VALU_DEP_2)
	v_or_b32_e32 v3, 32, v2
	v_xor_b32_e32 v7, 16, v2
	v_cmp_gt_i32_e32 vcc_lo, 32, v3
	v_cndmask_b32_e32 v3, v2, v3, vcc_lo
	s_delay_alu instid0(VALU_DEP_3) | instskip(NEXT) | instid1(VALU_DEP_2)
	v_cmp_gt_i32_e32 vcc_lo, 32, v7
	v_lshlrev_b32_e32 v3, 2, v3
	ds_bpermute_b32 v4, v3, v14
	s_waitcnt lgkmcnt(0)
	v_add_f32_e32 v4, v14, v4
	ds_bpermute_b32 v6, v3, v16
	v_cndmask_b32_e32 v7, v2, v7, vcc_lo
	ds_bpermute_b32 v5, v3, v8
	ds_bpermute_b32 v3, v3, v15
	s_waitcnt lgkmcnt(2)
	v_dual_add_f32 v6, v16, v6 :: v_dual_lshlrev_b32 v7, 2, v7
	s_waitcnt lgkmcnt(1)
	v_add_f32_e32 v5, v8, v5
	ds_bpermute_b32 v14, v7, v6
	s_waitcnt lgkmcnt(0)
	v_dual_add_f32 v6, v6, v14 :: v_dual_add_f32 v3, v15, v3
	ds_bpermute_b32 v8, v7, v4
	ds_bpermute_b32 v13, v7, v5
	v_xor_b32_e32 v15, 8, v2
	s_delay_alu instid0(VALU_DEP_1) | instskip(SKIP_2) | instid1(VALU_DEP_1)
	v_cmp_gt_i32_e32 vcc_lo, 32, v15
	v_cndmask_b32_e32 v15, v2, v15, vcc_lo
	s_waitcnt lgkmcnt(1)
	v_dual_add_f32 v4, v4, v8 :: v_dual_lshlrev_b32 v15, 2, v15
	s_waitcnt lgkmcnt(0)
	v_add_f32_e32 v5, v5, v13
	ds_bpermute_b32 v13, v15, v6
	s_waitcnt lgkmcnt(0)
	v_add_f32_e32 v6, v6, v13
	ds_bpermute_b32 v7, v7, v3
	;; [unrolled: 3-line block ×3, first 2 shown]
	ds_bpermute_b32 v14, v15, v3
	s_waitcnt lgkmcnt(1)
	v_add_f32_e32 v4, v4, v7
	ds_bpermute_b32 v8, v15, v5
	v_xor_b32_e32 v15, 4, v2
	s_delay_alu instid0(VALU_DEP_1) | instskip(SKIP_1) | instid1(VALU_DEP_1)
	v_cmp_gt_i32_e32 vcc_lo, 32, v15
	v_cndmask_b32_e32 v15, v2, v15, vcc_lo
	v_lshlrev_b32_e32 v15, 2, v15
	ds_bpermute_b32 v7, v15, v4
	s_waitcnt lgkmcnt(1)
	v_add_f32_e32 v5, v5, v8
	ds_bpermute_b32 v13, v15, v6
	s_waitcnt lgkmcnt(1)
	v_dual_add_f32 v4, v4, v7 :: v_dual_add_f32 v3, v3, v14
	ds_bpermute_b32 v8, v15, v5
	s_waitcnt lgkmcnt(1)
	v_add_f32_e32 v6, v6, v13
	ds_bpermute_b32 v14, v15, v3
	v_xor_b32_e32 v15, 2, v2
	s_delay_alu instid0(VALU_DEP_1) | instskip(SKIP_1) | instid1(VALU_DEP_1)
	v_cmp_gt_i32_e32 vcc_lo, 32, v15
	v_cndmask_b32_e32 v15, v2, v15, vcc_lo
	v_lshlrev_b32_e32 v15, 2, v15
	s_waitcnt lgkmcnt(1)
	v_add_f32_e32 v5, v5, v8
	ds_bpermute_b32 v7, v15, v4
	ds_bpermute_b32 v8, v15, v5
	;; [unrolled: 1-line block ×3, first 2 shown]
	s_waitcnt lgkmcnt(2)
	v_dual_add_f32 v4, v4, v7 :: v_dual_add_f32 v3, v3, v14
	s_waitcnt lgkmcnt(1)
	v_add_f32_e32 v5, v5, v8
	ds_bpermute_b32 v14, v15, v3
	v_xor_b32_e32 v15, 1, v2
	s_delay_alu instid0(VALU_DEP_1) | instskip(SKIP_3) | instid1(VALU_DEP_2)
	v_cmp_gt_i32_e32 vcc_lo, 32, v15
	v_cndmask_b32_e32 v2, v2, v15, vcc_lo
	v_cmp_eq_u32_e32 vcc_lo, 63, v0
	s_waitcnt lgkmcnt(1)
	v_dual_add_f32 v2, v6, v13 :: v_dual_lshlrev_b32 v15, 2, v2
	s_waitcnt lgkmcnt(0)
	v_add_f32_e32 v3, v3, v14
	ds_bpermute_b32 v8, v15, v4
	ds_bpermute_b32 v13, v15, v5
	;; [unrolled: 1-line block ×4, first 2 shown]
	s_and_b32 exec_lo, exec_lo, vcc_lo
	s_cbranch_execz .LBB211_37
; %bb.33:
	s_load_b64 s[2:3], s[0:1], 0x38
	v_cmp_eq_f32_e32 vcc_lo, 0, v11
	v_cmp_eq_f32_e64 s0, 0, v12
	s_waitcnt lgkmcnt(0)
	v_dual_add_f32 v0, v4, v8 :: v_dual_add_f32 v3, v3, v7
	v_add_f32_e32 v4, v5, v13
	v_add_f32_e32 v2, v2, v6
	s_and_b32 s0, vcc_lo, s0
	s_delay_alu instid0(SALU_CYCLE_1) | instskip(NEXT) | instid1(SALU_CYCLE_1)
	s_and_saveexec_b32 s1, s0
	s_xor_b32 s0, exec_lo, s1
	s_cbranch_execz .LBB211_35
; %bb.34:
	v_mul_f32_e64 v5, v4, -v10
	v_mul_f32_e32 v6, v4, v9
	v_mul_f32_e64 v7, v3, -v10
	v_mul_f32_e32 v8, v3, v9
                                        ; implicit-def: $vgpr4
                                        ; implicit-def: $vgpr3
	s_delay_alu instid0(VALU_DEP_4) | instskip(NEXT) | instid1(VALU_DEP_4)
	v_fmac_f32_e32 v5, v9, v0
	v_dual_fmac_f32 v6, v10, v0 :: v_dual_lshlrev_b32 v11, 1, v1
	s_delay_alu instid0(VALU_DEP_4) | instskip(NEXT) | instid1(VALU_DEP_4)
	v_fmac_f32_e32 v7, v9, v2
	v_fmac_f32_e32 v8, v10, v2
                                        ; implicit-def: $vgpr9
                                        ; implicit-def: $vgpr10
                                        ; implicit-def: $vgpr2
	s_delay_alu instid0(VALU_DEP_3) | instskip(NEXT) | instid1(VALU_DEP_1)
	v_ashrrev_i32_e32 v12, 31, v11
	v_lshlrev_b64 v[11:12], 3, v[11:12]
	s_delay_alu instid0(VALU_DEP_1) | instskip(NEXT) | instid1(VALU_DEP_2)
	v_add_co_u32 v0, vcc_lo, s2, v11
	v_add_co_ci_u32_e32 v1, vcc_lo, s3, v12, vcc_lo
                                        ; implicit-def: $vgpr11
                                        ; implicit-def: $vgpr12
	global_store_b128 v[0:1], v[5:8], off
                                        ; implicit-def: $vgpr1
                                        ; implicit-def: $vgpr0
.LBB211_35:
	s_and_not1_saveexec_b32 s0, s0
	s_cbranch_execz .LBB211_37
; %bb.36:
	v_lshlrev_b32_e32 v5, 1, v1
	v_mul_f32_e64 v15, v4, -v10
	v_mul_f32_e32 v1, v4, v9
	v_mul_f32_e64 v4, v3, -v10
	v_mul_f32_e32 v3, v3, v9
	s_delay_alu instid0(VALU_DEP_4) | instskip(NEXT) | instid1(VALU_DEP_3)
	v_fmac_f32_e32 v15, v9, v0
	v_fmac_f32_e32 v4, v9, v2
	v_ashrrev_i32_e32 v6, 31, v5
	s_delay_alu instid0(VALU_DEP_4) | instskip(NEXT) | instid1(VALU_DEP_2)
	v_fmac_f32_e32 v3, v10, v2
	v_lshlrev_b64 v[5:6], 3, v[5:6]
	s_delay_alu instid0(VALU_DEP_1) | instskip(NEXT) | instid1(VALU_DEP_2)
	v_add_co_u32 v13, vcc_lo, s2, v5
	v_add_co_ci_u32_e32 v14, vcc_lo, s3, v6, vcc_lo
	global_load_b128 v[5:8], v[13:14], off
	s_waitcnt vmcnt(0)
	v_dual_fmac_f32 v4, v11, v7 :: v_dual_fmac_f32 v1, v10, v0
	v_fmac_f32_e32 v15, v11, v5
	v_fmac_f32_e32 v3, v12, v7
	s_delay_alu instid0(VALU_DEP_3) | instskip(NEXT) | instid1(VALU_DEP_4)
	v_fma_f32 v2, -v12, v8, v4
	v_fmac_f32_e32 v1, v12, v5
	s_delay_alu instid0(VALU_DEP_4) | instskip(NEXT) | instid1(VALU_DEP_4)
	v_fma_f32 v0, -v12, v6, v15
	v_fmac_f32_e32 v3, v11, v8
	s_delay_alu instid0(VALU_DEP_3)
	v_fmac_f32_e32 v1, v11, v6
	global_store_b128 v[13:14], v[0:3], off
.LBB211_37:
	s_nop 0
	s_sendmsg sendmsg(MSG_DEALLOC_VGPRS)
	s_endpgm
	.section	.rodata,"a",@progbits
	.p2align	6, 0x0
	.amdhsa_kernel _ZN9rocsparseL19gebsrmvn_2xn_kernelILj128ELj13ELj64E21rocsparse_complex_numIfEEEvi20rocsparse_direction_NS_24const_host_device_scalarIT2_EEPKiS8_PKS5_SA_S6_PS5_21rocsparse_index_base_b
		.amdhsa_group_segment_fixed_size 0
		.amdhsa_private_segment_fixed_size 0
		.amdhsa_kernarg_size 72
		.amdhsa_user_sgpr_count 15
		.amdhsa_user_sgpr_dispatch_ptr 0
		.amdhsa_user_sgpr_queue_ptr 0
		.amdhsa_user_sgpr_kernarg_segment_ptr 1
		.amdhsa_user_sgpr_dispatch_id 0
		.amdhsa_user_sgpr_private_segment_size 0
		.amdhsa_wavefront_size32 1
		.amdhsa_uses_dynamic_stack 0
		.amdhsa_enable_private_segment 0
		.amdhsa_system_sgpr_workgroup_id_x 1
		.amdhsa_system_sgpr_workgroup_id_y 0
		.amdhsa_system_sgpr_workgroup_id_z 0
		.amdhsa_system_sgpr_workgroup_info 0
		.amdhsa_system_vgpr_workitem_id 0
		.amdhsa_next_free_vgpr 40
		.amdhsa_next_free_sgpr 16
		.amdhsa_reserve_vcc 1
		.amdhsa_float_round_mode_32 0
		.amdhsa_float_round_mode_16_64 0
		.amdhsa_float_denorm_mode_32 3
		.amdhsa_float_denorm_mode_16_64 3
		.amdhsa_dx10_clamp 1
		.amdhsa_ieee_mode 1
		.amdhsa_fp16_overflow 0
		.amdhsa_workgroup_processor_mode 1
		.amdhsa_memory_ordered 1
		.amdhsa_forward_progress 0
		.amdhsa_shared_vgpr_count 0
		.amdhsa_exception_fp_ieee_invalid_op 0
		.amdhsa_exception_fp_denorm_src 0
		.amdhsa_exception_fp_ieee_div_zero 0
		.amdhsa_exception_fp_ieee_overflow 0
		.amdhsa_exception_fp_ieee_underflow 0
		.amdhsa_exception_fp_ieee_inexact 0
		.amdhsa_exception_int_div_zero 0
	.end_amdhsa_kernel
	.section	.text._ZN9rocsparseL19gebsrmvn_2xn_kernelILj128ELj13ELj64E21rocsparse_complex_numIfEEEvi20rocsparse_direction_NS_24const_host_device_scalarIT2_EEPKiS8_PKS5_SA_S6_PS5_21rocsparse_index_base_b,"axG",@progbits,_ZN9rocsparseL19gebsrmvn_2xn_kernelILj128ELj13ELj64E21rocsparse_complex_numIfEEEvi20rocsparse_direction_NS_24const_host_device_scalarIT2_EEPKiS8_PKS5_SA_S6_PS5_21rocsparse_index_base_b,comdat
.Lfunc_end211:
	.size	_ZN9rocsparseL19gebsrmvn_2xn_kernelILj128ELj13ELj64E21rocsparse_complex_numIfEEEvi20rocsparse_direction_NS_24const_host_device_scalarIT2_EEPKiS8_PKS5_SA_S6_PS5_21rocsparse_index_base_b, .Lfunc_end211-_ZN9rocsparseL19gebsrmvn_2xn_kernelILj128ELj13ELj64E21rocsparse_complex_numIfEEEvi20rocsparse_direction_NS_24const_host_device_scalarIT2_EEPKiS8_PKS5_SA_S6_PS5_21rocsparse_index_base_b
                                        ; -- End function
	.section	.AMDGPU.csdata,"",@progbits
; Kernel info:
; codeLenInByte = 2904
; NumSgprs: 18
; NumVgprs: 40
; ScratchSize: 0
; MemoryBound: 0
; FloatMode: 240
; IeeeMode: 1
; LDSByteSize: 0 bytes/workgroup (compile time only)
; SGPRBlocks: 2
; VGPRBlocks: 4
; NumSGPRsForWavesPerEU: 18
; NumVGPRsForWavesPerEU: 40
; Occupancy: 16
; WaveLimiterHint : 1
; COMPUTE_PGM_RSRC2:SCRATCH_EN: 0
; COMPUTE_PGM_RSRC2:USER_SGPR: 15
; COMPUTE_PGM_RSRC2:TRAP_HANDLER: 0
; COMPUTE_PGM_RSRC2:TGID_X_EN: 1
; COMPUTE_PGM_RSRC2:TGID_Y_EN: 0
; COMPUTE_PGM_RSRC2:TGID_Z_EN: 0
; COMPUTE_PGM_RSRC2:TIDIG_COMP_CNT: 0
	.section	.text._ZN9rocsparseL19gebsrmvn_2xn_kernelILj128ELj14ELj4E21rocsparse_complex_numIfEEEvi20rocsparse_direction_NS_24const_host_device_scalarIT2_EEPKiS8_PKS5_SA_S6_PS5_21rocsparse_index_base_b,"axG",@progbits,_ZN9rocsparseL19gebsrmvn_2xn_kernelILj128ELj14ELj4E21rocsparse_complex_numIfEEEvi20rocsparse_direction_NS_24const_host_device_scalarIT2_EEPKiS8_PKS5_SA_S6_PS5_21rocsparse_index_base_b,comdat
	.globl	_ZN9rocsparseL19gebsrmvn_2xn_kernelILj128ELj14ELj4E21rocsparse_complex_numIfEEEvi20rocsparse_direction_NS_24const_host_device_scalarIT2_EEPKiS8_PKS5_SA_S6_PS5_21rocsparse_index_base_b ; -- Begin function _ZN9rocsparseL19gebsrmvn_2xn_kernelILj128ELj14ELj4E21rocsparse_complex_numIfEEEvi20rocsparse_direction_NS_24const_host_device_scalarIT2_EEPKiS8_PKS5_SA_S6_PS5_21rocsparse_index_base_b
	.p2align	8
	.type	_ZN9rocsparseL19gebsrmvn_2xn_kernelILj128ELj14ELj4E21rocsparse_complex_numIfEEEvi20rocsparse_direction_NS_24const_host_device_scalarIT2_EEPKiS8_PKS5_SA_S6_PS5_21rocsparse_index_base_b,@function
_ZN9rocsparseL19gebsrmvn_2xn_kernelILj128ELj14ELj4E21rocsparse_complex_numIfEEEvi20rocsparse_direction_NS_24const_host_device_scalarIT2_EEPKiS8_PKS5_SA_S6_PS5_21rocsparse_index_base_b: ; @_ZN9rocsparseL19gebsrmvn_2xn_kernelILj128ELj14ELj4E21rocsparse_complex_numIfEEEvi20rocsparse_direction_NS_24const_host_device_scalarIT2_EEPKiS8_PKS5_SA_S6_PS5_21rocsparse_index_base_b
; %bb.0:
	s_clause 0x2
	s_load_b64 s[12:13], s[0:1], 0x40
	s_load_b64 s[4:5], s[0:1], 0x8
	;; [unrolled: 1-line block ×3, first 2 shown]
	s_waitcnt lgkmcnt(0)
	s_bitcmp1_b32 s13, 0
	v_mov_b32_e32 v8, s4
	s_cselect_b32 s6, -1, 0
	s_delay_alu instid0(SALU_CYCLE_1)
	s_and_b32 vcc_lo, exec_lo, s6
	s_xor_b32 s6, s6, -1
	s_cbranch_vccz .LBB212_17
; %bb.1:
	v_cndmask_b32_e64 v1, 0, 1, s6
	v_mov_b32_e32 v9, s5
	s_and_not1_b32 vcc_lo, exec_lo, s6
	s_cbranch_vccz .LBB212_18
.LBB212_2:
	s_delay_alu instid0(VALU_DEP_2)
	v_cmp_ne_u32_e32 vcc_lo, 1, v1
	v_mov_b32_e32 v10, s2
	s_cbranch_vccz .LBB212_19
.LBB212_3:
	v_cmp_ne_u32_e32 vcc_lo, 1, v1
	v_mov_b32_e32 v11, s3
	s_cbranch_vccnz .LBB212_5
.LBB212_4:
	v_dual_mov_b32 v1, s2 :: v_dual_mov_b32 v2, s3
	flat_load_b32 v11, v[1:2] offset:4
.LBB212_5:
	s_waitcnt vmcnt(0) lgkmcnt(0)
	v_cmp_eq_f32_e32 vcc_lo, 0, v8
	v_cmp_eq_f32_e64 s2, 0, v9
	s_delay_alu instid0(VALU_DEP_1)
	s_and_b32 s4, vcc_lo, s2
	s_mov_b32 s2, -1
	s_and_saveexec_b32 s3, s4
; %bb.6:
	v_cmp_neq_f32_e32 vcc_lo, 1.0, v10
	v_cmp_neq_f32_e64 s2, 0, v11
	s_delay_alu instid0(VALU_DEP_1) | instskip(NEXT) | instid1(SALU_CYCLE_1)
	s_or_b32 s2, vcc_lo, s2
	s_or_not1_b32 s2, s2, exec_lo
; %bb.7:
	s_or_b32 exec_lo, exec_lo, s3
	s_and_saveexec_b32 s3, s2
	s_cbranch_execz .LBB212_33
; %bb.8:
	s_load_b64 s[2:3], s[0:1], 0x0
	v_lshrrev_b32_e32 v1, 2, v0
	s_delay_alu instid0(VALU_DEP_1) | instskip(SKIP_1) | instid1(VALU_DEP_1)
	v_lshl_or_b32 v1, s15, 5, v1
	s_waitcnt lgkmcnt(0)
	v_cmp_gt_i32_e32 vcc_lo, s2, v1
	s_and_b32 exec_lo, exec_lo, vcc_lo
	s_cbranch_execz .LBB212_33
; %bb.9:
	s_load_b256 s[4:11], s[0:1], 0x10
	v_ashrrev_i32_e32 v2, 31, v1
	v_and_b32_e32 v0, 3, v0
	s_cmp_lg_u32 s3, 0
	s_delay_alu instid0(VALU_DEP_2) | instskip(SKIP_1) | instid1(VALU_DEP_1)
	v_lshlrev_b64 v[2:3], 2, v[1:2]
	s_waitcnt lgkmcnt(0)
	v_add_co_u32 v2, vcc_lo, s4, v2
	s_delay_alu instid0(VALU_DEP_2) | instskip(SKIP_4) | instid1(VALU_DEP_2)
	v_add_co_ci_u32_e32 v3, vcc_lo, s5, v3, vcc_lo
	global_load_b64 v[3:4], v[2:3], off
	s_waitcnt vmcnt(0)
	v_subrev_nc_u32_e32 v2, s12, v3
	v_subrev_nc_u32_e32 v13, s12, v4
	v_add_nc_u32_e32 v2, v2, v0
	s_delay_alu instid0(VALU_DEP_1)
	v_cmp_lt_i32_e64 s2, v2, v13
	s_cbranch_scc0 .LBB212_20
; %bb.10:
	v_dual_mov_b32 v12, 0 :: v_dual_mov_b32 v15, 0
	v_mov_b32_e32 v16, 0
	v_mov_b32_e32 v14, 0
	s_mov_b32 s3, 0
	s_and_saveexec_b32 s4, s2
	s_cbranch_execz .LBB212_16
; %bb.11:
	v_mul_lo_u32 v17, v2, 28
	v_dual_mov_b32 v5, 0 :: v_dual_mov_b32 v6, v2
	v_dual_mov_b32 v12, 0 :: v_dual_mov_b32 v15, 0
	v_mov_b32_e32 v16, 0
	v_mov_b32_e32 v14, 0
	s_mov_b32 s5, 0
.LBB212_12:                             ; =>This Loop Header: Depth=1
                                        ;     Child Loop BB212_13 Depth 2
	v_ashrrev_i32_e32 v7, 31, v6
	s_mov_b32 s13, 0
	s_delay_alu instid0(VALU_DEP_1) | instskip(NEXT) | instid1(VALU_DEP_1)
	v_lshlrev_b64 v[18:19], 2, v[6:7]
	v_add_co_u32 v18, vcc_lo, s6, v18
	s_delay_alu instid0(VALU_DEP_2) | instskip(SKIP_3) | instid1(VALU_DEP_1)
	v_add_co_ci_u32_e32 v19, vcc_lo, s7, v19, vcc_lo
	global_load_b32 v4, v[18:19], off
	s_waitcnt vmcnt(0)
	v_subrev_nc_u32_e32 v4, s12, v4
	v_mul_lo_u32 v7, v4, 14
	v_mov_b32_e32 v4, v17
	s_set_inst_prefetch_distance 0x1
	.p2align	6
.LBB212_13:                             ;   Parent Loop BB212_12 Depth=1
                                        ; =>  This Inner Loop Header: Depth=2
	s_delay_alu instid0(VALU_DEP_2) | instskip(NEXT) | instid1(VALU_DEP_2)
	v_dual_mov_b32 v19, v5 :: v_dual_add_nc_u32 v18, s13, v7
	v_lshlrev_b64 v[20:21], 3, v[4:5]
	v_add_nc_u32_e32 v4, 4, v4
	s_add_i32 s13, s13, 2
	s_delay_alu instid0(VALU_DEP_3) | instskip(SKIP_1) | instid1(VALU_DEP_3)
	v_lshlrev_b64 v[18:19], 3, v[18:19]
	s_cmp_eq_u32 s13, 14
	v_add_co_u32 v22, vcc_lo, s8, v20
	v_add_co_ci_u32_e32 v23, vcc_lo, s9, v21, vcc_lo
	s_delay_alu instid0(VALU_DEP_3) | instskip(NEXT) | instid1(VALU_DEP_4)
	v_add_co_u32 v26, vcc_lo, s10, v18
	v_add_co_ci_u32_e32 v27, vcc_lo, s11, v19, vcc_lo
	s_clause 0x1
	global_load_b128 v[18:21], v[22:23], off offset:16
	global_load_b128 v[22:25], v[22:23], off
	global_load_b128 v[26:29], v[26:27], off
	s_waitcnt vmcnt(0)
	v_fmac_f32_e32 v14, v25, v26
	v_fmac_f32_e32 v15, v22, v26
	;; [unrolled: 1-line block ×3, first 2 shown]
	s_delay_alu instid0(VALU_DEP_3) | instskip(NEXT) | instid1(VALU_DEP_3)
	v_fmac_f32_e32 v14, v24, v27
	v_fma_f32 v15, -v23, v27, v15
	v_fmac_f32_e32 v12, v23, v26
	s_delay_alu instid0(VALU_DEP_4) | instskip(NEXT) | instid1(VALU_DEP_4)
	v_fma_f32 v16, -v25, v27, v16
	v_fmac_f32_e32 v14, v21, v28
	s_delay_alu instid0(VALU_DEP_4) | instskip(NEXT) | instid1(VALU_DEP_4)
	v_fmac_f32_e32 v15, v18, v28
	v_fmac_f32_e32 v12, v22, v27
	s_delay_alu instid0(VALU_DEP_4) | instskip(NEXT) | instid1(VALU_DEP_4)
	v_fmac_f32_e32 v16, v20, v28
	v_fmac_f32_e32 v14, v20, v29
	s_delay_alu instid0(VALU_DEP_4) | instskip(NEXT) | instid1(VALU_DEP_4)
	v_fma_f32 v15, -v19, v29, v15
	v_fmac_f32_e32 v12, v19, v28
	s_delay_alu instid0(VALU_DEP_4) | instskip(NEXT) | instid1(VALU_DEP_2)
	v_fma_f32 v16, -v21, v29, v16
	v_fmac_f32_e32 v12, v18, v29
	s_cbranch_scc0 .LBB212_13
; %bb.14:                               ;   in Loop: Header=BB212_12 Depth=1
	s_set_inst_prefetch_distance 0x2
	v_add_nc_u32_e32 v6, 4, v6
	v_add_nc_u32_e32 v17, 0x70, v17
	s_delay_alu instid0(VALU_DEP_2) | instskip(SKIP_1) | instid1(SALU_CYCLE_1)
	v_cmp_ge_i32_e32 vcc_lo, v6, v13
	s_or_b32 s5, vcc_lo, s5
	s_and_not1_b32 exec_lo, exec_lo, s5
	s_cbranch_execnz .LBB212_12
; %bb.15:
	s_or_b32 exec_lo, exec_lo, s5
.LBB212_16:
	s_delay_alu instid0(SALU_CYCLE_1) | instskip(NEXT) | instid1(SALU_CYCLE_1)
	s_or_b32 exec_lo, exec_lo, s4
	s_and_not1_b32 vcc_lo, exec_lo, s3
	s_cbranch_vccz .LBB212_21
	s_branch .LBB212_28
.LBB212_17:
	v_dual_mov_b32 v1, s4 :: v_dual_mov_b32 v2, s5
	flat_load_b32 v8, v[1:2]
	v_cndmask_b32_e64 v1, 0, 1, s6
	v_mov_b32_e32 v9, s5
	s_and_not1_b32 vcc_lo, exec_lo, s6
	s_cbranch_vccnz .LBB212_2
.LBB212_18:
	v_dual_mov_b32 v2, s4 :: v_dual_mov_b32 v3, s5
	flat_load_b32 v9, v[2:3] offset:4
	v_cmp_ne_u32_e32 vcc_lo, 1, v1
	v_mov_b32_e32 v10, s2
	s_cbranch_vccnz .LBB212_3
.LBB212_19:
	v_dual_mov_b32 v2, s2 :: v_dual_mov_b32 v3, s3
	flat_load_b32 v10, v[2:3]
	v_cmp_ne_u32_e32 vcc_lo, 1, v1
	v_mov_b32_e32 v11, s3
	s_cbranch_vccz .LBB212_4
	s_branch .LBB212_5
.LBB212_20:
                                        ; implicit-def: $vgpr12
                                        ; implicit-def: $vgpr15
                                        ; implicit-def: $vgpr16
                                        ; implicit-def: $vgpr14
.LBB212_21:
	v_dual_mov_b32 v12, 0 :: v_dual_mov_b32 v15, 0
	v_mov_b32_e32 v16, 0
	v_mov_b32_e32 v14, 0
	s_and_saveexec_b32 s3, s2
	s_cbranch_execz .LBB212_27
; %bb.22:
	v_mul_lo_u32 v3, v3, 28
	v_mul_lo_u32 v5, v2, 28
	s_mul_i32 s2, s12, 28
	v_dual_mov_b32 v4, 0 :: v_dual_mov_b32 v15, 0
	v_mov_b32_e32 v12, 0
	v_mov_b32_e32 v16, 0
	;; [unrolled: 1-line block ×3, first 2 shown]
	v_mad_u32_u24 v3, v0, 28, v3
	s_delay_alu instid0(VALU_DEP_1)
	v_subrev_nc_u32_e32 v6, s2, v3
	s_mov_b32 s2, 0
.LBB212_23:                             ; =>This Loop Header: Depth=1
                                        ;     Child Loop BB212_24 Depth 2
	v_ashrrev_i32_e32 v3, 31, v2
	s_mov_b32 s4, 0
	s_delay_alu instid0(VALU_DEP_1) | instskip(NEXT) | instid1(VALU_DEP_1)
	v_lshlrev_b64 v[17:18], 2, v[2:3]
	v_add_co_u32 v17, vcc_lo, s6, v17
	s_delay_alu instid0(VALU_DEP_2) | instskip(SKIP_3) | instid1(VALU_DEP_1)
	v_add_co_ci_u32_e32 v18, vcc_lo, s7, v18, vcc_lo
	global_load_b32 v3, v[17:18], off
	s_waitcnt vmcnt(0)
	v_subrev_nc_u32_e32 v3, s12, v3
	v_mul_lo_u32 v7, v3, 14
	s_set_inst_prefetch_distance 0x1
	.p2align	6
.LBB212_24:                             ;   Parent Loop BB212_23 Depth=1
                                        ; =>  This Inner Loop Header: Depth=2
	v_add_nc_u32_e32 v3, s4, v6
	s_delay_alu instid0(VALU_DEP_1) | instskip(NEXT) | instid1(VALU_DEP_3)
	v_lshlrev_b64 v[17:18], 3, v[3:4]
	v_add_nc_u32_e32 v3, s4, v7
	s_delay_alu instid0(VALU_DEP_1) | instskip(SKIP_1) | instid1(VALU_DEP_4)
	v_lshlrev_b64 v[19:20], 3, v[3:4]
	v_add3_u32 v3, v5, s4, 14
	v_add_co_u32 v17, vcc_lo, s8, v17
	v_add_co_ci_u32_e32 v18, vcc_lo, s9, v18, vcc_lo
	s_delay_alu instid0(VALU_DEP_3) | instskip(SKIP_3) | instid1(VALU_DEP_3)
	v_lshlrev_b64 v[21:22], 3, v[3:4]
	v_add_co_u32 v23, vcc_lo, s10, v19
	v_add_co_ci_u32_e32 v24, vcc_lo, s11, v20, vcc_lo
	s_add_i32 s4, s4, 2
	v_add_co_u32 v25, vcc_lo, s8, v21
	s_delay_alu instid0(VALU_DEP_4)
	v_add_co_ci_u32_e32 v26, vcc_lo, s9, v22, vcc_lo
	global_load_b128 v[17:20], v[17:18], off
	global_load_b128 v[21:24], v[23:24], off
	global_load_b128 v[25:28], v[25:26], off
	s_cmp_eq_u32 s4, 14
	s_waitcnt vmcnt(1)
	v_fmac_f32_e32 v12, v18, v21
	s_waitcnt vmcnt(0)
	v_fmac_f32_e32 v16, v25, v21
	s_delay_alu instid0(VALU_DEP_2) | instskip(SKIP_1) | instid1(VALU_DEP_3)
	v_fmac_f32_e32 v12, v17, v22
	v_fmac_f32_e32 v15, v17, v21
	v_fma_f32 v16, -v26, v22, v16
	s_delay_alu instid0(VALU_DEP_3) | instskip(NEXT) | instid1(VALU_DEP_3)
	v_fmac_f32_e32 v12, v20, v23
	v_fma_f32 v3, -v18, v22, v15
	v_fmac_f32_e32 v14, v26, v21
	s_delay_alu instid0(VALU_DEP_4) | instskip(NEXT) | instid1(VALU_DEP_4)
	v_fmac_f32_e32 v16, v27, v23
	v_fmac_f32_e32 v12, v19, v24
	s_delay_alu instid0(VALU_DEP_3) | instskip(NEXT) | instid1(VALU_DEP_3)
	v_dual_fmac_f32 v3, v19, v23 :: v_dual_fmac_f32 v14, v25, v22
	v_fma_f32 v16, -v28, v24, v16
	s_delay_alu instid0(VALU_DEP_2) | instskip(NEXT) | instid1(VALU_DEP_3)
	v_fma_f32 v15, -v20, v24, v3
	v_fmac_f32_e32 v14, v28, v23
	s_delay_alu instid0(VALU_DEP_1)
	v_fmac_f32_e32 v14, v27, v24
	s_cbranch_scc0 .LBB212_24
; %bb.25:                               ;   in Loop: Header=BB212_23 Depth=1
	s_set_inst_prefetch_distance 0x2
	v_add_nc_u32_e32 v2, 4, v2
	v_add_nc_u32_e32 v5, 0x70, v5
	;; [unrolled: 1-line block ×3, first 2 shown]
	s_delay_alu instid0(VALU_DEP_3) | instskip(SKIP_1) | instid1(SALU_CYCLE_1)
	v_cmp_ge_i32_e32 vcc_lo, v2, v13
	s_or_b32 s2, vcc_lo, s2
	s_and_not1_b32 exec_lo, exec_lo, s2
	s_cbranch_execnz .LBB212_23
; %bb.26:
	s_or_b32 exec_lo, exec_lo, s2
.LBB212_27:
	s_delay_alu instid0(SALU_CYCLE_1)
	s_or_b32 exec_lo, exec_lo, s3
.LBB212_28:
	v_mbcnt_lo_u32_b32 v2, -1, 0
	s_delay_alu instid0(VALU_DEP_1) | instskip(SKIP_1) | instid1(VALU_DEP_2)
	v_xor_b32_e32 v3, 2, v2
	v_xor_b32_e32 v7, 1, v2
	v_cmp_gt_i32_e32 vcc_lo, 32, v3
	v_cndmask_b32_e32 v3, v2, v3, vcc_lo
	s_delay_alu instid0(VALU_DEP_3) | instskip(NEXT) | instid1(VALU_DEP_2)
	v_cmp_gt_i32_e32 vcc_lo, 32, v7
	v_lshlrev_b32_e32 v3, 2, v3
	v_cndmask_b32_e32 v2, v2, v7, vcc_lo
	v_cmp_eq_u32_e32 vcc_lo, 3, v0
	ds_bpermute_b32 v6, v3, v16
	v_lshlrev_b32_e32 v7, 2, v2
	s_waitcnt lgkmcnt(0)
	v_add_f32_e32 v2, v16, v6
	ds_bpermute_b32 v4, v3, v15
	ds_bpermute_b32 v5, v3, v12
	;; [unrolled: 1-line block ×4, first 2 shown]
	s_waitcnt lgkmcnt(2)
	v_dual_add_f32 v4, v15, v4 :: v_dual_add_f32 v5, v12, v5
	s_waitcnt lgkmcnt(1)
	v_add_f32_e32 v3, v14, v3
	ds_bpermute_b32 v12, v7, v4
	ds_bpermute_b32 v13, v7, v5
	ds_bpermute_b32 v7, v7, v3
	s_and_b32 exec_lo, exec_lo, vcc_lo
	s_cbranch_execz .LBB212_33
; %bb.29:
	s_load_b64 s[2:3], s[0:1], 0x38
	v_cmp_eq_f32_e32 vcc_lo, 0, v10
	v_cmp_eq_f32_e64 s0, 0, v11
	s_waitcnt lgkmcnt(0)
	v_dual_add_f32 v0, v4, v12 :: v_dual_add_f32 v3, v3, v7
	v_add_f32_e32 v4, v5, v13
	v_add_f32_e32 v2, v2, v6
	s_and_b32 s0, vcc_lo, s0
	s_delay_alu instid0(SALU_CYCLE_1) | instskip(NEXT) | instid1(SALU_CYCLE_1)
	s_and_saveexec_b32 s1, s0
	s_xor_b32 s0, exec_lo, s1
	s_cbranch_execz .LBB212_31
; %bb.30:
	v_mul_f32_e64 v10, v4, -v9
	v_lshlrev_b32_e32 v5, 1, v1
	v_mul_f32_e32 v11, v4, v8
	v_mul_f32_e64 v12, v3, -v9
	v_mul_f32_e32 v13, v3, v8
	v_fmac_f32_e32 v10, v8, v0
	v_ashrrev_i32_e32 v6, 31, v5
	s_delay_alu instid0(VALU_DEP_4) | instskip(NEXT) | instid1(VALU_DEP_4)
	v_dual_fmac_f32 v11, v9, v0 :: v_dual_fmac_f32 v12, v8, v2
	v_fmac_f32_e32 v13, v9, v2
                                        ; implicit-def: $vgpr8
                                        ; implicit-def: $vgpr9
                                        ; implicit-def: $vgpr2
                                        ; implicit-def: $vgpr3
	s_delay_alu instid0(VALU_DEP_3) | instskip(NEXT) | instid1(VALU_DEP_1)
	v_lshlrev_b64 v[4:5], 3, v[5:6]
	v_add_co_u32 v0, vcc_lo, s2, v4
	s_delay_alu instid0(VALU_DEP_2)
	v_add_co_ci_u32_e32 v1, vcc_lo, s3, v5, vcc_lo
                                        ; implicit-def: $vgpr4
	global_store_b128 v[0:1], v[10:13], off
                                        ; implicit-def: $vgpr10
                                        ; implicit-def: $vgpr11
                                        ; implicit-def: $vgpr1
                                        ; implicit-def: $vgpr0
.LBB212_31:
	s_and_not1_saveexec_b32 s0, s0
	s_cbranch_execz .LBB212_33
; %bb.32:
	v_lshlrev_b32_e32 v5, 1, v1
	v_mul_f32_e64 v7, v4, -v9
	v_mul_f32_e32 v1, v4, v8
	v_mul_f32_e64 v4, v3, -v9
	v_mul_f32_e32 v3, v3, v8
	s_delay_alu instid0(VALU_DEP_4) | instskip(NEXT) | instid1(VALU_DEP_3)
	v_fmac_f32_e32 v7, v8, v0
	v_fmac_f32_e32 v4, v8, v2
	v_ashrrev_i32_e32 v6, 31, v5
	s_delay_alu instid0(VALU_DEP_4) | instskip(NEXT) | instid1(VALU_DEP_2)
	v_fmac_f32_e32 v3, v9, v2
	v_lshlrev_b64 v[5:6], 3, v[5:6]
	s_delay_alu instid0(VALU_DEP_1) | instskip(NEXT) | instid1(VALU_DEP_2)
	v_add_co_u32 v5, vcc_lo, s2, v5
	v_add_co_ci_u32_e32 v6, vcc_lo, s3, v6, vcc_lo
	global_load_b128 v[12:15], v[5:6], off
	s_waitcnt vmcnt(0)
	v_dual_fmac_f32 v4, v10, v14 :: v_dual_fmac_f32 v1, v9, v0
	v_fmac_f32_e32 v7, v10, v12
	v_fmac_f32_e32 v3, v11, v14
	s_delay_alu instid0(VALU_DEP_3) | instskip(NEXT) | instid1(VALU_DEP_4)
	v_fma_f32 v2, -v11, v15, v4
	v_fmac_f32_e32 v1, v11, v12
	s_delay_alu instid0(VALU_DEP_4) | instskip(NEXT) | instid1(VALU_DEP_4)
	v_fma_f32 v0, -v11, v13, v7
	v_fmac_f32_e32 v3, v10, v15
	s_delay_alu instid0(VALU_DEP_3)
	v_fmac_f32_e32 v1, v10, v13
	global_store_b128 v[5:6], v[0:3], off
.LBB212_33:
	s_nop 0
	s_sendmsg sendmsg(MSG_DEALLOC_VGPRS)
	s_endpgm
	.section	.rodata,"a",@progbits
	.p2align	6, 0x0
	.amdhsa_kernel _ZN9rocsparseL19gebsrmvn_2xn_kernelILj128ELj14ELj4E21rocsparse_complex_numIfEEEvi20rocsparse_direction_NS_24const_host_device_scalarIT2_EEPKiS8_PKS5_SA_S6_PS5_21rocsparse_index_base_b
		.amdhsa_group_segment_fixed_size 0
		.amdhsa_private_segment_fixed_size 0
		.amdhsa_kernarg_size 72
		.amdhsa_user_sgpr_count 15
		.amdhsa_user_sgpr_dispatch_ptr 0
		.amdhsa_user_sgpr_queue_ptr 0
		.amdhsa_user_sgpr_kernarg_segment_ptr 1
		.amdhsa_user_sgpr_dispatch_id 0
		.amdhsa_user_sgpr_private_segment_size 0
		.amdhsa_wavefront_size32 1
		.amdhsa_uses_dynamic_stack 0
		.amdhsa_enable_private_segment 0
		.amdhsa_system_sgpr_workgroup_id_x 1
		.amdhsa_system_sgpr_workgroup_id_y 0
		.amdhsa_system_sgpr_workgroup_id_z 0
		.amdhsa_system_sgpr_workgroup_info 0
		.amdhsa_system_vgpr_workitem_id 0
		.amdhsa_next_free_vgpr 30
		.amdhsa_next_free_sgpr 16
		.amdhsa_reserve_vcc 1
		.amdhsa_float_round_mode_32 0
		.amdhsa_float_round_mode_16_64 0
		.amdhsa_float_denorm_mode_32 3
		.amdhsa_float_denorm_mode_16_64 3
		.amdhsa_dx10_clamp 1
		.amdhsa_ieee_mode 1
		.amdhsa_fp16_overflow 0
		.amdhsa_workgroup_processor_mode 1
		.amdhsa_memory_ordered 1
		.amdhsa_forward_progress 0
		.amdhsa_shared_vgpr_count 0
		.amdhsa_exception_fp_ieee_invalid_op 0
		.amdhsa_exception_fp_denorm_src 0
		.amdhsa_exception_fp_ieee_div_zero 0
		.amdhsa_exception_fp_ieee_overflow 0
		.amdhsa_exception_fp_ieee_underflow 0
		.amdhsa_exception_fp_ieee_inexact 0
		.amdhsa_exception_int_div_zero 0
	.end_amdhsa_kernel
	.section	.text._ZN9rocsparseL19gebsrmvn_2xn_kernelILj128ELj14ELj4E21rocsparse_complex_numIfEEEvi20rocsparse_direction_NS_24const_host_device_scalarIT2_EEPKiS8_PKS5_SA_S6_PS5_21rocsparse_index_base_b,"axG",@progbits,_ZN9rocsparseL19gebsrmvn_2xn_kernelILj128ELj14ELj4E21rocsparse_complex_numIfEEEvi20rocsparse_direction_NS_24const_host_device_scalarIT2_EEPKiS8_PKS5_SA_S6_PS5_21rocsparse_index_base_b,comdat
.Lfunc_end212:
	.size	_ZN9rocsparseL19gebsrmvn_2xn_kernelILj128ELj14ELj4E21rocsparse_complex_numIfEEEvi20rocsparse_direction_NS_24const_host_device_scalarIT2_EEPKiS8_PKS5_SA_S6_PS5_21rocsparse_index_base_b, .Lfunc_end212-_ZN9rocsparseL19gebsrmvn_2xn_kernelILj128ELj14ELj4E21rocsparse_complex_numIfEEEvi20rocsparse_direction_NS_24const_host_device_scalarIT2_EEPKiS8_PKS5_SA_S6_PS5_21rocsparse_index_base_b
                                        ; -- End function
	.section	.AMDGPU.csdata,"",@progbits
; Kernel info:
; codeLenInByte = 1740
; NumSgprs: 18
; NumVgprs: 30
; ScratchSize: 0
; MemoryBound: 0
; FloatMode: 240
; IeeeMode: 1
; LDSByteSize: 0 bytes/workgroup (compile time only)
; SGPRBlocks: 2
; VGPRBlocks: 3
; NumSGPRsForWavesPerEU: 18
; NumVGPRsForWavesPerEU: 30
; Occupancy: 16
; WaveLimiterHint : 1
; COMPUTE_PGM_RSRC2:SCRATCH_EN: 0
; COMPUTE_PGM_RSRC2:USER_SGPR: 15
; COMPUTE_PGM_RSRC2:TRAP_HANDLER: 0
; COMPUTE_PGM_RSRC2:TGID_X_EN: 1
; COMPUTE_PGM_RSRC2:TGID_Y_EN: 0
; COMPUTE_PGM_RSRC2:TGID_Z_EN: 0
; COMPUTE_PGM_RSRC2:TIDIG_COMP_CNT: 0
	.section	.text._ZN9rocsparseL19gebsrmvn_2xn_kernelILj128ELj14ELj8E21rocsparse_complex_numIfEEEvi20rocsparse_direction_NS_24const_host_device_scalarIT2_EEPKiS8_PKS5_SA_S6_PS5_21rocsparse_index_base_b,"axG",@progbits,_ZN9rocsparseL19gebsrmvn_2xn_kernelILj128ELj14ELj8E21rocsparse_complex_numIfEEEvi20rocsparse_direction_NS_24const_host_device_scalarIT2_EEPKiS8_PKS5_SA_S6_PS5_21rocsparse_index_base_b,comdat
	.globl	_ZN9rocsparseL19gebsrmvn_2xn_kernelILj128ELj14ELj8E21rocsparse_complex_numIfEEEvi20rocsparse_direction_NS_24const_host_device_scalarIT2_EEPKiS8_PKS5_SA_S6_PS5_21rocsparse_index_base_b ; -- Begin function _ZN9rocsparseL19gebsrmvn_2xn_kernelILj128ELj14ELj8E21rocsparse_complex_numIfEEEvi20rocsparse_direction_NS_24const_host_device_scalarIT2_EEPKiS8_PKS5_SA_S6_PS5_21rocsparse_index_base_b
	.p2align	8
	.type	_ZN9rocsparseL19gebsrmvn_2xn_kernelILj128ELj14ELj8E21rocsparse_complex_numIfEEEvi20rocsparse_direction_NS_24const_host_device_scalarIT2_EEPKiS8_PKS5_SA_S6_PS5_21rocsparse_index_base_b,@function
_ZN9rocsparseL19gebsrmvn_2xn_kernelILj128ELj14ELj8E21rocsparse_complex_numIfEEEvi20rocsparse_direction_NS_24const_host_device_scalarIT2_EEPKiS8_PKS5_SA_S6_PS5_21rocsparse_index_base_b: ; @_ZN9rocsparseL19gebsrmvn_2xn_kernelILj128ELj14ELj8E21rocsparse_complex_numIfEEEvi20rocsparse_direction_NS_24const_host_device_scalarIT2_EEPKiS8_PKS5_SA_S6_PS5_21rocsparse_index_base_b
; %bb.0:
	s_clause 0x2
	s_load_b64 s[12:13], s[0:1], 0x40
	s_load_b64 s[4:5], s[0:1], 0x8
	;; [unrolled: 1-line block ×3, first 2 shown]
	s_waitcnt lgkmcnt(0)
	s_bitcmp1_b32 s13, 0
	v_mov_b32_e32 v8, s4
	s_cselect_b32 s6, -1, 0
	s_delay_alu instid0(SALU_CYCLE_1)
	s_and_b32 vcc_lo, exec_lo, s6
	s_xor_b32 s6, s6, -1
	s_cbranch_vccz .LBB213_17
; %bb.1:
	v_cndmask_b32_e64 v1, 0, 1, s6
	v_mov_b32_e32 v9, s5
	s_and_not1_b32 vcc_lo, exec_lo, s6
	s_cbranch_vccz .LBB213_18
.LBB213_2:
	s_delay_alu instid0(VALU_DEP_2)
	v_cmp_ne_u32_e32 vcc_lo, 1, v1
	v_mov_b32_e32 v10, s2
	s_cbranch_vccz .LBB213_19
.LBB213_3:
	v_cmp_ne_u32_e32 vcc_lo, 1, v1
	v_mov_b32_e32 v11, s3
	s_cbranch_vccnz .LBB213_5
.LBB213_4:
	v_dual_mov_b32 v1, s2 :: v_dual_mov_b32 v2, s3
	flat_load_b32 v11, v[1:2] offset:4
.LBB213_5:
	s_waitcnt vmcnt(0) lgkmcnt(0)
	v_cmp_eq_f32_e32 vcc_lo, 0, v8
	v_cmp_eq_f32_e64 s2, 0, v9
	s_delay_alu instid0(VALU_DEP_1)
	s_and_b32 s4, vcc_lo, s2
	s_mov_b32 s2, -1
	s_and_saveexec_b32 s3, s4
; %bb.6:
	v_cmp_neq_f32_e32 vcc_lo, 1.0, v10
	v_cmp_neq_f32_e64 s2, 0, v11
	s_delay_alu instid0(VALU_DEP_1) | instskip(NEXT) | instid1(SALU_CYCLE_1)
	s_or_b32 s2, vcc_lo, s2
	s_or_not1_b32 s2, s2, exec_lo
; %bb.7:
	s_or_b32 exec_lo, exec_lo, s3
	s_and_saveexec_b32 s3, s2
	s_cbranch_execz .LBB213_33
; %bb.8:
	s_load_b64 s[2:3], s[0:1], 0x0
	v_lshrrev_b32_e32 v1, 3, v0
	s_delay_alu instid0(VALU_DEP_1) | instskip(SKIP_1) | instid1(VALU_DEP_1)
	v_lshl_or_b32 v1, s15, 4, v1
	s_waitcnt lgkmcnt(0)
	v_cmp_gt_i32_e32 vcc_lo, s2, v1
	s_and_b32 exec_lo, exec_lo, vcc_lo
	s_cbranch_execz .LBB213_33
; %bb.9:
	s_load_b256 s[4:11], s[0:1], 0x10
	v_ashrrev_i32_e32 v2, 31, v1
	v_and_b32_e32 v0, 7, v0
	s_cmp_lg_u32 s3, 0
	s_delay_alu instid0(VALU_DEP_2) | instskip(SKIP_1) | instid1(VALU_DEP_1)
	v_lshlrev_b64 v[2:3], 2, v[1:2]
	s_waitcnt lgkmcnt(0)
	v_add_co_u32 v2, vcc_lo, s4, v2
	s_delay_alu instid0(VALU_DEP_2) | instskip(SKIP_4) | instid1(VALU_DEP_2)
	v_add_co_ci_u32_e32 v3, vcc_lo, s5, v3, vcc_lo
	global_load_b64 v[3:4], v[2:3], off
	s_waitcnt vmcnt(0)
	v_subrev_nc_u32_e32 v2, s12, v3
	v_subrev_nc_u32_e32 v14, s12, v4
	v_add_nc_u32_e32 v2, v2, v0
	s_delay_alu instid0(VALU_DEP_1)
	v_cmp_lt_i32_e64 s2, v2, v14
	s_cbranch_scc0 .LBB213_20
; %bb.10:
	v_dual_mov_b32 v12, 0 :: v_dual_mov_b32 v15, 0
	v_dual_mov_b32 v16, 0 :: v_dual_mov_b32 v13, 0
	s_mov_b32 s3, 0
	s_and_saveexec_b32 s4, s2
	s_cbranch_execz .LBB213_16
; %bb.11:
	v_mul_lo_u32 v17, v2, 28
	v_dual_mov_b32 v5, 0 :: v_dual_mov_b32 v6, v2
	v_dual_mov_b32 v12, 0 :: v_dual_mov_b32 v15, 0
	;; [unrolled: 1-line block ×3, first 2 shown]
	s_mov_b32 s5, 0
.LBB213_12:                             ; =>This Loop Header: Depth=1
                                        ;     Child Loop BB213_13 Depth 2
	s_delay_alu instid0(VALU_DEP_3) | instskip(SKIP_1) | instid1(VALU_DEP_1)
	v_ashrrev_i32_e32 v7, 31, v6
	s_mov_b32 s13, 0
	v_lshlrev_b64 v[18:19], 2, v[6:7]
	s_delay_alu instid0(VALU_DEP_1) | instskip(NEXT) | instid1(VALU_DEP_2)
	v_add_co_u32 v18, vcc_lo, s6, v18
	v_add_co_ci_u32_e32 v19, vcc_lo, s7, v19, vcc_lo
	global_load_b32 v4, v[18:19], off
	s_waitcnt vmcnt(0)
	v_subrev_nc_u32_e32 v4, s12, v4
	s_delay_alu instid0(VALU_DEP_1)
	v_mul_lo_u32 v7, v4, 14
	v_mov_b32_e32 v4, v17
	s_set_inst_prefetch_distance 0x1
	.p2align	6
.LBB213_13:                             ;   Parent Loop BB213_12 Depth=1
                                        ; =>  This Inner Loop Header: Depth=2
	s_delay_alu instid0(VALU_DEP_2) | instskip(NEXT) | instid1(VALU_DEP_2)
	v_dual_mov_b32 v19, v5 :: v_dual_add_nc_u32 v18, s13, v7
	v_lshlrev_b64 v[20:21], 3, v[4:5]
	s_add_i32 s13, s13, 2
	s_delay_alu instid0(SALU_CYCLE_1) | instskip(NEXT) | instid1(VALU_DEP_2)
	s_cmp_eq_u32 s13, 14
	v_lshlrev_b64 v[18:19], 3, v[18:19]
	s_delay_alu instid0(VALU_DEP_2) | instskip(NEXT) | instid1(VALU_DEP_3)
	v_add_co_u32 v22, vcc_lo, s8, v20
	v_add_co_ci_u32_e32 v23, vcc_lo, s9, v21, vcc_lo
	s_delay_alu instid0(VALU_DEP_3) | instskip(NEXT) | instid1(VALU_DEP_4)
	v_add_co_u32 v26, vcc_lo, s10, v18
	v_add_co_ci_u32_e32 v27, vcc_lo, s11, v19, vcc_lo
	s_clause 0x1
	global_load_b128 v[18:21], v[22:23], off offset:16
	global_load_b128 v[22:25], v[22:23], off
	global_load_b128 v[26:29], v[26:27], off
	s_waitcnt vmcnt(0)
	v_fmac_f32_e32 v13, v25, v26
	s_delay_alu instid0(VALU_DEP_1) | instskip(NEXT) | instid1(VALU_DEP_1)
	v_dual_fmac_f32 v12, v23, v26 :: v_dual_fmac_f32 v13, v24, v27
	v_fmac_f32_e32 v12, v22, v27
	s_delay_alu instid0(VALU_DEP_1) | instskip(NEXT) | instid1(VALU_DEP_1)
	v_dual_fmac_f32 v15, v22, v26 :: v_dual_fmac_f32 v12, v19, v28
	v_fma_f32 v15, -v23, v27, v15
	s_delay_alu instid0(VALU_DEP_4) | instskip(NEXT) | instid1(VALU_DEP_3)
	v_dual_fmac_f32 v16, v24, v26 :: v_dual_fmac_f32 v13, v21, v28
	v_fmac_f32_e32 v12, v18, v29
	s_delay_alu instid0(VALU_DEP_3) | instskip(NEXT) | instid1(VALU_DEP_3)
	v_fmac_f32_e32 v15, v18, v28
	v_fma_f32 v16, -v25, v27, v16
	s_delay_alu instid0(VALU_DEP_4) | instskip(NEXT) | instid1(VALU_DEP_3)
	v_dual_fmac_f32 v13, v20, v29 :: v_dual_add_nc_u32 v4, 4, v4
	v_fma_f32 v15, -v19, v29, v15
	s_delay_alu instid0(VALU_DEP_3) | instskip(NEXT) | instid1(VALU_DEP_1)
	v_fmac_f32_e32 v16, v20, v28
	v_fma_f32 v16, -v21, v29, v16
	s_cbranch_scc0 .LBB213_13
; %bb.14:                               ;   in Loop: Header=BB213_12 Depth=1
	s_set_inst_prefetch_distance 0x2
	v_add_nc_u32_e32 v6, 8, v6
	v_add_nc_u32_e32 v17, 0xe0, v17
	s_delay_alu instid0(VALU_DEP_2) | instskip(SKIP_1) | instid1(SALU_CYCLE_1)
	v_cmp_ge_i32_e32 vcc_lo, v6, v14
	s_or_b32 s5, vcc_lo, s5
	s_and_not1_b32 exec_lo, exec_lo, s5
	s_cbranch_execnz .LBB213_12
; %bb.15:
	s_or_b32 exec_lo, exec_lo, s5
.LBB213_16:
	s_delay_alu instid0(SALU_CYCLE_1) | instskip(NEXT) | instid1(SALU_CYCLE_1)
	s_or_b32 exec_lo, exec_lo, s4
	s_and_not1_b32 vcc_lo, exec_lo, s3
	s_cbranch_vccz .LBB213_21
	s_branch .LBB213_28
.LBB213_17:
	v_dual_mov_b32 v1, s4 :: v_dual_mov_b32 v2, s5
	flat_load_b32 v8, v[1:2]
	v_cndmask_b32_e64 v1, 0, 1, s6
	v_mov_b32_e32 v9, s5
	s_and_not1_b32 vcc_lo, exec_lo, s6
	s_cbranch_vccnz .LBB213_2
.LBB213_18:
	v_dual_mov_b32 v2, s4 :: v_dual_mov_b32 v3, s5
	flat_load_b32 v9, v[2:3] offset:4
	v_cmp_ne_u32_e32 vcc_lo, 1, v1
	v_mov_b32_e32 v10, s2
	s_cbranch_vccnz .LBB213_3
.LBB213_19:
	v_dual_mov_b32 v2, s2 :: v_dual_mov_b32 v3, s3
	flat_load_b32 v10, v[2:3]
	v_cmp_ne_u32_e32 vcc_lo, 1, v1
	v_mov_b32_e32 v11, s3
	s_cbranch_vccz .LBB213_4
	s_branch .LBB213_5
.LBB213_20:
                                        ; implicit-def: $vgpr12
                                        ; implicit-def: $vgpr15
                                        ; implicit-def: $vgpr16
                                        ; implicit-def: $vgpr13
.LBB213_21:
	v_dual_mov_b32 v12, 0 :: v_dual_mov_b32 v15, 0
	v_dual_mov_b32 v16, 0 :: v_dual_mov_b32 v13, 0
	s_delay_alu instid0(VALU_DEP_3)
	s_and_saveexec_b32 s3, s2
	s_cbranch_execz .LBB213_27
; %bb.22:
	v_mul_lo_u32 v3, v3, 28
	v_mul_lo_u32 v5, v2, 28
	s_mul_i32 s2, s12, 28
	v_dual_mov_b32 v4, 0 :: v_dual_mov_b32 v15, 0
	v_dual_mov_b32 v12, 0 :: v_dual_mov_b32 v13, 0
	v_mov_b32_e32 v16, 0
	v_mad_u32_u24 v3, v0, 28, v3
	s_delay_alu instid0(VALU_DEP_1)
	v_subrev_nc_u32_e32 v6, s2, v3
	s_mov_b32 s2, 0
.LBB213_23:                             ; =>This Loop Header: Depth=1
                                        ;     Child Loop BB213_24 Depth 2
	v_ashrrev_i32_e32 v3, 31, v2
	s_mov_b32 s4, 0
	s_delay_alu instid0(VALU_DEP_1) | instskip(NEXT) | instid1(VALU_DEP_1)
	v_lshlrev_b64 v[17:18], 2, v[2:3]
	v_add_co_u32 v17, vcc_lo, s6, v17
	s_delay_alu instid0(VALU_DEP_2) | instskip(SKIP_3) | instid1(VALU_DEP_1)
	v_add_co_ci_u32_e32 v18, vcc_lo, s7, v18, vcc_lo
	global_load_b32 v3, v[17:18], off
	s_waitcnt vmcnt(0)
	v_subrev_nc_u32_e32 v3, s12, v3
	v_mul_lo_u32 v7, v3, 14
	s_set_inst_prefetch_distance 0x1
	.p2align	6
.LBB213_24:                             ;   Parent Loop BB213_23 Depth=1
                                        ; =>  This Inner Loop Header: Depth=2
	v_add_nc_u32_e32 v3, s4, v6
	s_delay_alu instid0(VALU_DEP_1) | instskip(NEXT) | instid1(VALU_DEP_3)
	v_lshlrev_b64 v[17:18], 3, v[3:4]
	v_add_nc_u32_e32 v3, s4, v7
	s_delay_alu instid0(VALU_DEP_1) | instskip(SKIP_1) | instid1(VALU_DEP_4)
	v_lshlrev_b64 v[19:20], 3, v[3:4]
	v_add3_u32 v3, v5, s4, 14
	v_add_co_u32 v17, vcc_lo, s8, v17
	v_add_co_ci_u32_e32 v18, vcc_lo, s9, v18, vcc_lo
	s_delay_alu instid0(VALU_DEP_3) | instskip(SKIP_3) | instid1(VALU_DEP_3)
	v_lshlrev_b64 v[21:22], 3, v[3:4]
	v_add_co_u32 v23, vcc_lo, s10, v19
	v_add_co_ci_u32_e32 v24, vcc_lo, s11, v20, vcc_lo
	s_add_i32 s4, s4, 2
	v_add_co_u32 v25, vcc_lo, s8, v21
	s_delay_alu instid0(VALU_DEP_4)
	v_add_co_ci_u32_e32 v26, vcc_lo, s9, v22, vcc_lo
	global_load_b128 v[17:20], v[17:18], off
	global_load_b128 v[21:24], v[23:24], off
	global_load_b128 v[25:28], v[25:26], off
	s_cmp_eq_u32 s4, 14
	s_waitcnt vmcnt(1)
	v_fmac_f32_e32 v12, v18, v21
	s_waitcnt vmcnt(0)
	v_fmac_f32_e32 v16, v25, v21
	s_delay_alu instid0(VALU_DEP_2) | instskip(SKIP_1) | instid1(VALU_DEP_3)
	v_dual_fmac_f32 v13, v26, v21 :: v_dual_fmac_f32 v12, v17, v22
	v_fmac_f32_e32 v15, v17, v21
	v_fma_f32 v16, -v26, v22, v16
	s_delay_alu instid0(VALU_DEP_3) | instskip(NEXT) | instid1(VALU_DEP_3)
	v_dual_fmac_f32 v13, v25, v22 :: v_dual_fmac_f32 v12, v20, v23
	v_fma_f32 v3, -v18, v22, v15
	s_delay_alu instid0(VALU_DEP_3) | instskip(NEXT) | instid1(VALU_DEP_3)
	v_fmac_f32_e32 v16, v27, v23
	v_dual_fmac_f32 v13, v28, v23 :: v_dual_fmac_f32 v12, v19, v24
	s_delay_alu instid0(VALU_DEP_3) | instskip(NEXT) | instid1(VALU_DEP_3)
	v_fmac_f32_e32 v3, v19, v23
	v_fma_f32 v16, -v28, v24, v16
	s_delay_alu instid0(VALU_DEP_3) | instskip(NEXT) | instid1(VALU_DEP_3)
	v_fmac_f32_e32 v13, v27, v24
	v_fma_f32 v15, -v20, v24, v3
	s_cbranch_scc0 .LBB213_24
; %bb.25:                               ;   in Loop: Header=BB213_23 Depth=1
	s_set_inst_prefetch_distance 0x2
	v_add_nc_u32_e32 v2, 8, v2
	v_add_nc_u32_e32 v5, 0xe0, v5
	;; [unrolled: 1-line block ×3, first 2 shown]
	s_delay_alu instid0(VALU_DEP_3) | instskip(SKIP_1) | instid1(SALU_CYCLE_1)
	v_cmp_ge_i32_e32 vcc_lo, v2, v14
	s_or_b32 s2, vcc_lo, s2
	s_and_not1_b32 exec_lo, exec_lo, s2
	s_cbranch_execnz .LBB213_23
; %bb.26:
	s_or_b32 exec_lo, exec_lo, s2
.LBB213_27:
	s_delay_alu instid0(SALU_CYCLE_1)
	s_or_b32 exec_lo, exec_lo, s3
.LBB213_28:
	v_mbcnt_lo_u32_b32 v2, -1, 0
	s_delay_alu instid0(VALU_DEP_1) | instskip(SKIP_1) | instid1(VALU_DEP_2)
	v_xor_b32_e32 v3, 4, v2
	v_xor_b32_e32 v7, 2, v2
	v_cmp_gt_i32_e32 vcc_lo, 32, v3
	v_cndmask_b32_e32 v3, v2, v3, vcc_lo
	s_delay_alu instid0(VALU_DEP_3) | instskip(NEXT) | instid1(VALU_DEP_2)
	v_cmp_gt_i32_e32 vcc_lo, 32, v7
	v_lshlrev_b32_e32 v3, 2, v3
	ds_bpermute_b32 v6, v3, v16
	s_waitcnt lgkmcnt(0)
	v_add_f32_e32 v6, v16, v6
	ds_bpermute_b32 v4, v3, v15
	ds_bpermute_b32 v5, v3, v12
	;; [unrolled: 1-line block ×3, first 2 shown]
	s_waitcnt lgkmcnt(2)
	v_dual_add_f32 v4, v15, v4 :: v_dual_cndmask_b32 v7, v2, v7
	v_xor_b32_e32 v15, 1, v2
	s_waitcnt lgkmcnt(0)
	v_add_f32_e32 v3, v13, v3
	s_delay_alu instid0(VALU_DEP_3) | instskip(NEXT) | instid1(VALU_DEP_3)
	v_lshlrev_b32_e32 v7, 2, v7
	v_cmp_gt_i32_e32 vcc_lo, 32, v15
	v_add_f32_e32 v5, v12, v5
	ds_bpermute_b32 v14, v7, v6
	v_cndmask_b32_e32 v2, v2, v15, vcc_lo
	v_cmp_eq_u32_e32 vcc_lo, 7, v0
	s_delay_alu instid0(VALU_DEP_2)
	v_lshlrev_b32_e32 v15, 2, v2
	s_waitcnt lgkmcnt(0)
	v_add_f32_e32 v2, v6, v14
	ds_bpermute_b32 v12, v7, v4
	ds_bpermute_b32 v13, v7, v5
	;; [unrolled: 1-line block ×4, first 2 shown]
	s_waitcnt lgkmcnt(2)
	v_dual_add_f32 v4, v4, v12 :: v_dual_add_f32 v5, v5, v13
	s_waitcnt lgkmcnt(1)
	v_add_f32_e32 v3, v3, v7
	ds_bpermute_b32 v12, v15, v4
	ds_bpermute_b32 v13, v15, v5
	;; [unrolled: 1-line block ×3, first 2 shown]
	s_and_b32 exec_lo, exec_lo, vcc_lo
	s_cbranch_execz .LBB213_33
; %bb.29:
	s_load_b64 s[2:3], s[0:1], 0x38
	v_cmp_eq_f32_e32 vcc_lo, 0, v10
	v_cmp_eq_f32_e64 s0, 0, v11
	s_waitcnt lgkmcnt(0)
	v_dual_add_f32 v0, v4, v12 :: v_dual_add_f32 v3, v3, v7
	v_add_f32_e32 v4, v5, v13
	v_add_f32_e32 v2, v2, v6
	s_and_b32 s0, vcc_lo, s0
	s_delay_alu instid0(SALU_CYCLE_1) | instskip(NEXT) | instid1(SALU_CYCLE_1)
	s_and_saveexec_b32 s1, s0
	s_xor_b32 s0, exec_lo, s1
	s_cbranch_execz .LBB213_31
; %bb.30:
	v_mul_f32_e64 v10, v4, -v9
	v_lshlrev_b32_e32 v5, 1, v1
	v_mul_f32_e32 v11, v4, v8
	v_mul_f32_e64 v12, v3, -v9
	v_mul_f32_e32 v13, v3, v8
	v_fmac_f32_e32 v10, v8, v0
	v_ashrrev_i32_e32 v6, 31, v5
	s_delay_alu instid0(VALU_DEP_4) | instskip(NEXT) | instid1(VALU_DEP_4)
	v_dual_fmac_f32 v11, v9, v0 :: v_dual_fmac_f32 v12, v8, v2
	v_fmac_f32_e32 v13, v9, v2
                                        ; implicit-def: $vgpr8
                                        ; implicit-def: $vgpr9
                                        ; implicit-def: $vgpr2
                                        ; implicit-def: $vgpr3
	s_delay_alu instid0(VALU_DEP_3) | instskip(NEXT) | instid1(VALU_DEP_1)
	v_lshlrev_b64 v[4:5], 3, v[5:6]
	v_add_co_u32 v0, vcc_lo, s2, v4
	s_delay_alu instid0(VALU_DEP_2)
	v_add_co_ci_u32_e32 v1, vcc_lo, s3, v5, vcc_lo
                                        ; implicit-def: $vgpr4
	global_store_b128 v[0:1], v[10:13], off
                                        ; implicit-def: $vgpr10
                                        ; implicit-def: $vgpr11
                                        ; implicit-def: $vgpr1
                                        ; implicit-def: $vgpr0
.LBB213_31:
	s_and_not1_saveexec_b32 s0, s0
	s_cbranch_execz .LBB213_33
; %bb.32:
	v_lshlrev_b32_e32 v5, 1, v1
	v_mul_f32_e64 v7, v4, -v9
	v_mul_f32_e32 v1, v4, v8
	v_mul_f32_e64 v4, v3, -v9
	v_mul_f32_e32 v3, v3, v8
	s_delay_alu instid0(VALU_DEP_4) | instskip(NEXT) | instid1(VALU_DEP_3)
	v_fmac_f32_e32 v7, v8, v0
	v_fmac_f32_e32 v4, v8, v2
	v_ashrrev_i32_e32 v6, 31, v5
	s_delay_alu instid0(VALU_DEP_4) | instskip(NEXT) | instid1(VALU_DEP_2)
	v_fmac_f32_e32 v3, v9, v2
	v_lshlrev_b64 v[5:6], 3, v[5:6]
	s_delay_alu instid0(VALU_DEP_1) | instskip(NEXT) | instid1(VALU_DEP_2)
	v_add_co_u32 v5, vcc_lo, s2, v5
	v_add_co_ci_u32_e32 v6, vcc_lo, s3, v6, vcc_lo
	global_load_b128 v[12:15], v[5:6], off
	s_waitcnt vmcnt(0)
	v_dual_fmac_f32 v4, v10, v14 :: v_dual_fmac_f32 v1, v9, v0
	v_fmac_f32_e32 v7, v10, v12
	v_fmac_f32_e32 v3, v11, v14
	s_delay_alu instid0(VALU_DEP_3) | instskip(NEXT) | instid1(VALU_DEP_4)
	v_fma_f32 v2, -v11, v15, v4
	v_fmac_f32_e32 v1, v11, v12
	s_delay_alu instid0(VALU_DEP_4) | instskip(NEXT) | instid1(VALU_DEP_4)
	v_fma_f32 v0, -v11, v13, v7
	v_fmac_f32_e32 v3, v10, v15
	s_delay_alu instid0(VALU_DEP_3)
	v_fmac_f32_e32 v1, v10, v13
	global_store_b128 v[5:6], v[0:3], off
.LBB213_33:
	s_nop 0
	s_sendmsg sendmsg(MSG_DEALLOC_VGPRS)
	s_endpgm
	.section	.rodata,"a",@progbits
	.p2align	6, 0x0
	.amdhsa_kernel _ZN9rocsparseL19gebsrmvn_2xn_kernelILj128ELj14ELj8E21rocsparse_complex_numIfEEEvi20rocsparse_direction_NS_24const_host_device_scalarIT2_EEPKiS8_PKS5_SA_S6_PS5_21rocsparse_index_base_b
		.amdhsa_group_segment_fixed_size 0
		.amdhsa_private_segment_fixed_size 0
		.amdhsa_kernarg_size 72
		.amdhsa_user_sgpr_count 15
		.amdhsa_user_sgpr_dispatch_ptr 0
		.amdhsa_user_sgpr_queue_ptr 0
		.amdhsa_user_sgpr_kernarg_segment_ptr 1
		.amdhsa_user_sgpr_dispatch_id 0
		.amdhsa_user_sgpr_private_segment_size 0
		.amdhsa_wavefront_size32 1
		.amdhsa_uses_dynamic_stack 0
		.amdhsa_enable_private_segment 0
		.amdhsa_system_sgpr_workgroup_id_x 1
		.amdhsa_system_sgpr_workgroup_id_y 0
		.amdhsa_system_sgpr_workgroup_id_z 0
		.amdhsa_system_sgpr_workgroup_info 0
		.amdhsa_system_vgpr_workitem_id 0
		.amdhsa_next_free_vgpr 30
		.amdhsa_next_free_sgpr 16
		.amdhsa_reserve_vcc 1
		.amdhsa_float_round_mode_32 0
		.amdhsa_float_round_mode_16_64 0
		.amdhsa_float_denorm_mode_32 3
		.amdhsa_float_denorm_mode_16_64 3
		.amdhsa_dx10_clamp 1
		.amdhsa_ieee_mode 1
		.amdhsa_fp16_overflow 0
		.amdhsa_workgroup_processor_mode 1
		.amdhsa_memory_ordered 1
		.amdhsa_forward_progress 0
		.amdhsa_shared_vgpr_count 0
		.amdhsa_exception_fp_ieee_invalid_op 0
		.amdhsa_exception_fp_denorm_src 0
		.amdhsa_exception_fp_ieee_div_zero 0
		.amdhsa_exception_fp_ieee_overflow 0
		.amdhsa_exception_fp_ieee_underflow 0
		.amdhsa_exception_fp_ieee_inexact 0
		.amdhsa_exception_int_div_zero 0
	.end_amdhsa_kernel
	.section	.text._ZN9rocsparseL19gebsrmvn_2xn_kernelILj128ELj14ELj8E21rocsparse_complex_numIfEEEvi20rocsparse_direction_NS_24const_host_device_scalarIT2_EEPKiS8_PKS5_SA_S6_PS5_21rocsparse_index_base_b,"axG",@progbits,_ZN9rocsparseL19gebsrmvn_2xn_kernelILj128ELj14ELj8E21rocsparse_complex_numIfEEEvi20rocsparse_direction_NS_24const_host_device_scalarIT2_EEPKiS8_PKS5_SA_S6_PS5_21rocsparse_index_base_b,comdat
.Lfunc_end213:
	.size	_ZN9rocsparseL19gebsrmvn_2xn_kernelILj128ELj14ELj8E21rocsparse_complex_numIfEEEvi20rocsparse_direction_NS_24const_host_device_scalarIT2_EEPKiS8_PKS5_SA_S6_PS5_21rocsparse_index_base_b, .Lfunc_end213-_ZN9rocsparseL19gebsrmvn_2xn_kernelILj128ELj14ELj8E21rocsparse_complex_numIfEEEvi20rocsparse_direction_NS_24const_host_device_scalarIT2_EEPKiS8_PKS5_SA_S6_PS5_21rocsparse_index_base_b
                                        ; -- End function
	.section	.AMDGPU.csdata,"",@progbits
; Kernel info:
; codeLenInByte = 1832
; NumSgprs: 18
; NumVgprs: 30
; ScratchSize: 0
; MemoryBound: 0
; FloatMode: 240
; IeeeMode: 1
; LDSByteSize: 0 bytes/workgroup (compile time only)
; SGPRBlocks: 2
; VGPRBlocks: 3
; NumSGPRsForWavesPerEU: 18
; NumVGPRsForWavesPerEU: 30
; Occupancy: 16
; WaveLimiterHint : 1
; COMPUTE_PGM_RSRC2:SCRATCH_EN: 0
; COMPUTE_PGM_RSRC2:USER_SGPR: 15
; COMPUTE_PGM_RSRC2:TRAP_HANDLER: 0
; COMPUTE_PGM_RSRC2:TGID_X_EN: 1
; COMPUTE_PGM_RSRC2:TGID_Y_EN: 0
; COMPUTE_PGM_RSRC2:TGID_Z_EN: 0
; COMPUTE_PGM_RSRC2:TIDIG_COMP_CNT: 0
	.section	.text._ZN9rocsparseL19gebsrmvn_2xn_kernelILj128ELj14ELj16E21rocsparse_complex_numIfEEEvi20rocsparse_direction_NS_24const_host_device_scalarIT2_EEPKiS8_PKS5_SA_S6_PS5_21rocsparse_index_base_b,"axG",@progbits,_ZN9rocsparseL19gebsrmvn_2xn_kernelILj128ELj14ELj16E21rocsparse_complex_numIfEEEvi20rocsparse_direction_NS_24const_host_device_scalarIT2_EEPKiS8_PKS5_SA_S6_PS5_21rocsparse_index_base_b,comdat
	.globl	_ZN9rocsparseL19gebsrmvn_2xn_kernelILj128ELj14ELj16E21rocsparse_complex_numIfEEEvi20rocsparse_direction_NS_24const_host_device_scalarIT2_EEPKiS8_PKS5_SA_S6_PS5_21rocsparse_index_base_b ; -- Begin function _ZN9rocsparseL19gebsrmvn_2xn_kernelILj128ELj14ELj16E21rocsparse_complex_numIfEEEvi20rocsparse_direction_NS_24const_host_device_scalarIT2_EEPKiS8_PKS5_SA_S6_PS5_21rocsparse_index_base_b
	.p2align	8
	.type	_ZN9rocsparseL19gebsrmvn_2xn_kernelILj128ELj14ELj16E21rocsparse_complex_numIfEEEvi20rocsparse_direction_NS_24const_host_device_scalarIT2_EEPKiS8_PKS5_SA_S6_PS5_21rocsparse_index_base_b,@function
_ZN9rocsparseL19gebsrmvn_2xn_kernelILj128ELj14ELj16E21rocsparse_complex_numIfEEEvi20rocsparse_direction_NS_24const_host_device_scalarIT2_EEPKiS8_PKS5_SA_S6_PS5_21rocsparse_index_base_b: ; @_ZN9rocsparseL19gebsrmvn_2xn_kernelILj128ELj14ELj16E21rocsparse_complex_numIfEEEvi20rocsparse_direction_NS_24const_host_device_scalarIT2_EEPKiS8_PKS5_SA_S6_PS5_21rocsparse_index_base_b
; %bb.0:
	s_clause 0x2
	s_load_b64 s[12:13], s[0:1], 0x40
	s_load_b64 s[4:5], s[0:1], 0x8
	;; [unrolled: 1-line block ×3, first 2 shown]
	s_waitcnt lgkmcnt(0)
	s_bitcmp1_b32 s13, 0
	v_mov_b32_e32 v8, s4
	s_cselect_b32 s6, -1, 0
	s_delay_alu instid0(SALU_CYCLE_1)
	s_and_b32 vcc_lo, exec_lo, s6
	s_xor_b32 s6, s6, -1
	s_cbranch_vccz .LBB214_17
; %bb.1:
	v_cndmask_b32_e64 v1, 0, 1, s6
	v_mov_b32_e32 v9, s5
	s_and_not1_b32 vcc_lo, exec_lo, s6
	s_cbranch_vccz .LBB214_18
.LBB214_2:
	s_delay_alu instid0(VALU_DEP_2)
	v_cmp_ne_u32_e32 vcc_lo, 1, v1
	v_mov_b32_e32 v10, s2
	s_cbranch_vccz .LBB214_19
.LBB214_3:
	v_cmp_ne_u32_e32 vcc_lo, 1, v1
	v_mov_b32_e32 v11, s3
	s_cbranch_vccnz .LBB214_5
.LBB214_4:
	v_dual_mov_b32 v1, s2 :: v_dual_mov_b32 v2, s3
	flat_load_b32 v11, v[1:2] offset:4
.LBB214_5:
	s_waitcnt vmcnt(0) lgkmcnt(0)
	v_cmp_eq_f32_e32 vcc_lo, 0, v8
	v_cmp_eq_f32_e64 s2, 0, v9
	s_delay_alu instid0(VALU_DEP_1)
	s_and_b32 s4, vcc_lo, s2
	s_mov_b32 s2, -1
	s_and_saveexec_b32 s3, s4
; %bb.6:
	v_cmp_neq_f32_e32 vcc_lo, 1.0, v10
	v_cmp_neq_f32_e64 s2, 0, v11
	s_delay_alu instid0(VALU_DEP_1) | instskip(NEXT) | instid1(SALU_CYCLE_1)
	s_or_b32 s2, vcc_lo, s2
	s_or_not1_b32 s2, s2, exec_lo
; %bb.7:
	s_or_b32 exec_lo, exec_lo, s3
	s_and_saveexec_b32 s3, s2
	s_cbranch_execz .LBB214_33
; %bb.8:
	s_load_b64 s[2:3], s[0:1], 0x0
	v_lshrrev_b32_e32 v1, 4, v0
	s_delay_alu instid0(VALU_DEP_1) | instskip(SKIP_1) | instid1(VALU_DEP_1)
	v_lshl_or_b32 v1, s15, 3, v1
	s_waitcnt lgkmcnt(0)
	v_cmp_gt_i32_e32 vcc_lo, s2, v1
	s_and_b32 exec_lo, exec_lo, vcc_lo
	s_cbranch_execz .LBB214_33
; %bb.9:
	s_load_b256 s[4:11], s[0:1], 0x10
	v_ashrrev_i32_e32 v2, 31, v1
	v_and_b32_e32 v0, 15, v0
	s_cmp_lg_u32 s3, 0
	s_delay_alu instid0(VALU_DEP_2) | instskip(SKIP_1) | instid1(VALU_DEP_1)
	v_lshlrev_b64 v[2:3], 2, v[1:2]
	s_waitcnt lgkmcnt(0)
	v_add_co_u32 v2, vcc_lo, s4, v2
	s_delay_alu instid0(VALU_DEP_2) | instskip(SKIP_4) | instid1(VALU_DEP_2)
	v_add_co_ci_u32_e32 v3, vcc_lo, s5, v3, vcc_lo
	global_load_b64 v[3:4], v[2:3], off
	s_waitcnt vmcnt(0)
	v_subrev_nc_u32_e32 v2, s12, v3
	v_subrev_nc_u32_e32 v14, s12, v4
	v_add_nc_u32_e32 v2, v2, v0
	s_delay_alu instid0(VALU_DEP_1)
	v_cmp_lt_i32_e64 s2, v2, v14
	s_cbranch_scc0 .LBB214_20
; %bb.10:
	v_dual_mov_b32 v12, 0 :: v_dual_mov_b32 v15, 0
	v_dual_mov_b32 v16, 0 :: v_dual_mov_b32 v13, 0
	s_mov_b32 s3, 0
	s_and_saveexec_b32 s4, s2
	s_cbranch_execz .LBB214_16
; %bb.11:
	v_mul_lo_u32 v17, v2, 28
	v_dual_mov_b32 v5, 0 :: v_dual_mov_b32 v6, v2
	v_dual_mov_b32 v12, 0 :: v_dual_mov_b32 v15, 0
	;; [unrolled: 1-line block ×3, first 2 shown]
	s_mov_b32 s5, 0
.LBB214_12:                             ; =>This Loop Header: Depth=1
                                        ;     Child Loop BB214_13 Depth 2
	s_delay_alu instid0(VALU_DEP_3) | instskip(SKIP_1) | instid1(VALU_DEP_1)
	v_ashrrev_i32_e32 v7, 31, v6
	s_mov_b32 s13, 0
	v_lshlrev_b64 v[18:19], 2, v[6:7]
	s_delay_alu instid0(VALU_DEP_1) | instskip(NEXT) | instid1(VALU_DEP_2)
	v_add_co_u32 v18, vcc_lo, s6, v18
	v_add_co_ci_u32_e32 v19, vcc_lo, s7, v19, vcc_lo
	global_load_b32 v4, v[18:19], off
	s_waitcnt vmcnt(0)
	v_subrev_nc_u32_e32 v4, s12, v4
	s_delay_alu instid0(VALU_DEP_1)
	v_mul_lo_u32 v7, v4, 14
	v_mov_b32_e32 v4, v17
	s_set_inst_prefetch_distance 0x1
	.p2align	6
.LBB214_13:                             ;   Parent Loop BB214_12 Depth=1
                                        ; =>  This Inner Loop Header: Depth=2
	s_delay_alu instid0(VALU_DEP_2) | instskip(NEXT) | instid1(VALU_DEP_2)
	v_dual_mov_b32 v19, v5 :: v_dual_add_nc_u32 v18, s13, v7
	v_lshlrev_b64 v[20:21], 3, v[4:5]
	s_add_i32 s13, s13, 2
	s_delay_alu instid0(SALU_CYCLE_1) | instskip(NEXT) | instid1(VALU_DEP_2)
	s_cmp_eq_u32 s13, 14
	v_lshlrev_b64 v[18:19], 3, v[18:19]
	s_delay_alu instid0(VALU_DEP_2) | instskip(NEXT) | instid1(VALU_DEP_3)
	v_add_co_u32 v22, vcc_lo, s8, v20
	v_add_co_ci_u32_e32 v23, vcc_lo, s9, v21, vcc_lo
	s_delay_alu instid0(VALU_DEP_3) | instskip(NEXT) | instid1(VALU_DEP_4)
	v_add_co_u32 v26, vcc_lo, s10, v18
	v_add_co_ci_u32_e32 v27, vcc_lo, s11, v19, vcc_lo
	s_clause 0x1
	global_load_b128 v[18:21], v[22:23], off offset:16
	global_load_b128 v[22:25], v[22:23], off
	global_load_b128 v[26:29], v[26:27], off
	s_waitcnt vmcnt(0)
	v_fmac_f32_e32 v13, v25, v26
	s_delay_alu instid0(VALU_DEP_1) | instskip(NEXT) | instid1(VALU_DEP_1)
	v_dual_fmac_f32 v12, v23, v26 :: v_dual_fmac_f32 v13, v24, v27
	v_fmac_f32_e32 v12, v22, v27
	s_delay_alu instid0(VALU_DEP_1) | instskip(NEXT) | instid1(VALU_DEP_1)
	v_dual_fmac_f32 v15, v22, v26 :: v_dual_fmac_f32 v12, v19, v28
	v_fma_f32 v15, -v23, v27, v15
	s_delay_alu instid0(VALU_DEP_4) | instskip(NEXT) | instid1(VALU_DEP_3)
	v_dual_fmac_f32 v16, v24, v26 :: v_dual_fmac_f32 v13, v21, v28
	v_fmac_f32_e32 v12, v18, v29
	s_delay_alu instid0(VALU_DEP_3) | instskip(NEXT) | instid1(VALU_DEP_3)
	v_fmac_f32_e32 v15, v18, v28
	v_fma_f32 v16, -v25, v27, v16
	s_delay_alu instid0(VALU_DEP_4) | instskip(NEXT) | instid1(VALU_DEP_3)
	v_dual_fmac_f32 v13, v20, v29 :: v_dual_add_nc_u32 v4, 4, v4
	v_fma_f32 v15, -v19, v29, v15
	s_delay_alu instid0(VALU_DEP_3) | instskip(NEXT) | instid1(VALU_DEP_1)
	v_fmac_f32_e32 v16, v20, v28
	v_fma_f32 v16, -v21, v29, v16
	s_cbranch_scc0 .LBB214_13
; %bb.14:                               ;   in Loop: Header=BB214_12 Depth=1
	s_set_inst_prefetch_distance 0x2
	v_add_nc_u32_e32 v6, 16, v6
	v_add_nc_u32_e32 v17, 0x1c0, v17
	s_delay_alu instid0(VALU_DEP_2) | instskip(SKIP_1) | instid1(SALU_CYCLE_1)
	v_cmp_ge_i32_e32 vcc_lo, v6, v14
	s_or_b32 s5, vcc_lo, s5
	s_and_not1_b32 exec_lo, exec_lo, s5
	s_cbranch_execnz .LBB214_12
; %bb.15:
	s_or_b32 exec_lo, exec_lo, s5
.LBB214_16:
	s_delay_alu instid0(SALU_CYCLE_1) | instskip(NEXT) | instid1(SALU_CYCLE_1)
	s_or_b32 exec_lo, exec_lo, s4
	s_and_not1_b32 vcc_lo, exec_lo, s3
	s_cbranch_vccz .LBB214_21
	s_branch .LBB214_28
.LBB214_17:
	v_dual_mov_b32 v1, s4 :: v_dual_mov_b32 v2, s5
	flat_load_b32 v8, v[1:2]
	v_cndmask_b32_e64 v1, 0, 1, s6
	v_mov_b32_e32 v9, s5
	s_and_not1_b32 vcc_lo, exec_lo, s6
	s_cbranch_vccnz .LBB214_2
.LBB214_18:
	v_dual_mov_b32 v2, s4 :: v_dual_mov_b32 v3, s5
	flat_load_b32 v9, v[2:3] offset:4
	v_cmp_ne_u32_e32 vcc_lo, 1, v1
	v_mov_b32_e32 v10, s2
	s_cbranch_vccnz .LBB214_3
.LBB214_19:
	v_dual_mov_b32 v2, s2 :: v_dual_mov_b32 v3, s3
	flat_load_b32 v10, v[2:3]
	v_cmp_ne_u32_e32 vcc_lo, 1, v1
	v_mov_b32_e32 v11, s3
	s_cbranch_vccz .LBB214_4
	s_branch .LBB214_5
.LBB214_20:
                                        ; implicit-def: $vgpr12
                                        ; implicit-def: $vgpr15
                                        ; implicit-def: $vgpr16
                                        ; implicit-def: $vgpr13
.LBB214_21:
	v_dual_mov_b32 v12, 0 :: v_dual_mov_b32 v15, 0
	v_dual_mov_b32 v16, 0 :: v_dual_mov_b32 v13, 0
	s_delay_alu instid0(VALU_DEP_3)
	s_and_saveexec_b32 s3, s2
	s_cbranch_execz .LBB214_27
; %bb.22:
	v_mul_lo_u32 v3, v3, 28
	v_mul_lo_u32 v5, v2, 28
	s_mul_i32 s2, s12, 28
	v_dual_mov_b32 v4, 0 :: v_dual_mov_b32 v15, 0
	v_dual_mov_b32 v12, 0 :: v_dual_mov_b32 v13, 0
	v_mov_b32_e32 v16, 0
	v_mad_u32_u24 v3, v0, 28, v3
	s_delay_alu instid0(VALU_DEP_1)
	v_subrev_nc_u32_e32 v6, s2, v3
	s_mov_b32 s2, 0
.LBB214_23:                             ; =>This Loop Header: Depth=1
                                        ;     Child Loop BB214_24 Depth 2
	v_ashrrev_i32_e32 v3, 31, v2
	s_mov_b32 s4, 0
	s_delay_alu instid0(VALU_DEP_1) | instskip(NEXT) | instid1(VALU_DEP_1)
	v_lshlrev_b64 v[17:18], 2, v[2:3]
	v_add_co_u32 v17, vcc_lo, s6, v17
	s_delay_alu instid0(VALU_DEP_2) | instskip(SKIP_3) | instid1(VALU_DEP_1)
	v_add_co_ci_u32_e32 v18, vcc_lo, s7, v18, vcc_lo
	global_load_b32 v3, v[17:18], off
	s_waitcnt vmcnt(0)
	v_subrev_nc_u32_e32 v3, s12, v3
	v_mul_lo_u32 v7, v3, 14
	s_set_inst_prefetch_distance 0x1
	.p2align	6
.LBB214_24:                             ;   Parent Loop BB214_23 Depth=1
                                        ; =>  This Inner Loop Header: Depth=2
	v_add_nc_u32_e32 v3, s4, v6
	s_delay_alu instid0(VALU_DEP_1) | instskip(NEXT) | instid1(VALU_DEP_3)
	v_lshlrev_b64 v[17:18], 3, v[3:4]
	v_add_nc_u32_e32 v3, s4, v7
	s_delay_alu instid0(VALU_DEP_1) | instskip(SKIP_1) | instid1(VALU_DEP_4)
	v_lshlrev_b64 v[19:20], 3, v[3:4]
	v_add3_u32 v3, v5, s4, 14
	v_add_co_u32 v17, vcc_lo, s8, v17
	v_add_co_ci_u32_e32 v18, vcc_lo, s9, v18, vcc_lo
	s_delay_alu instid0(VALU_DEP_3) | instskip(SKIP_3) | instid1(VALU_DEP_3)
	v_lshlrev_b64 v[21:22], 3, v[3:4]
	v_add_co_u32 v23, vcc_lo, s10, v19
	v_add_co_ci_u32_e32 v24, vcc_lo, s11, v20, vcc_lo
	s_add_i32 s4, s4, 2
	v_add_co_u32 v25, vcc_lo, s8, v21
	s_delay_alu instid0(VALU_DEP_4)
	v_add_co_ci_u32_e32 v26, vcc_lo, s9, v22, vcc_lo
	global_load_b128 v[17:20], v[17:18], off
	global_load_b128 v[21:24], v[23:24], off
	;; [unrolled: 1-line block ×3, first 2 shown]
	s_cmp_eq_u32 s4, 14
	s_waitcnt vmcnt(1)
	v_fmac_f32_e32 v12, v18, v21
	s_waitcnt vmcnt(0)
	v_fmac_f32_e32 v16, v25, v21
	s_delay_alu instid0(VALU_DEP_2) | instskip(SKIP_1) | instid1(VALU_DEP_3)
	v_dual_fmac_f32 v13, v26, v21 :: v_dual_fmac_f32 v12, v17, v22
	v_fmac_f32_e32 v15, v17, v21
	v_fma_f32 v16, -v26, v22, v16
	s_delay_alu instid0(VALU_DEP_3) | instskip(NEXT) | instid1(VALU_DEP_3)
	v_dual_fmac_f32 v13, v25, v22 :: v_dual_fmac_f32 v12, v20, v23
	v_fma_f32 v3, -v18, v22, v15
	s_delay_alu instid0(VALU_DEP_3) | instskip(NEXT) | instid1(VALU_DEP_3)
	v_fmac_f32_e32 v16, v27, v23
	v_dual_fmac_f32 v13, v28, v23 :: v_dual_fmac_f32 v12, v19, v24
	s_delay_alu instid0(VALU_DEP_3) | instskip(NEXT) | instid1(VALU_DEP_3)
	v_fmac_f32_e32 v3, v19, v23
	v_fma_f32 v16, -v28, v24, v16
	s_delay_alu instid0(VALU_DEP_3) | instskip(NEXT) | instid1(VALU_DEP_3)
	v_fmac_f32_e32 v13, v27, v24
	v_fma_f32 v15, -v20, v24, v3
	s_cbranch_scc0 .LBB214_24
; %bb.25:                               ;   in Loop: Header=BB214_23 Depth=1
	s_set_inst_prefetch_distance 0x2
	v_add_nc_u32_e32 v2, 16, v2
	v_add_nc_u32_e32 v5, 0x1c0, v5
	;; [unrolled: 1-line block ×3, first 2 shown]
	s_delay_alu instid0(VALU_DEP_3) | instskip(SKIP_1) | instid1(SALU_CYCLE_1)
	v_cmp_ge_i32_e32 vcc_lo, v2, v14
	s_or_b32 s2, vcc_lo, s2
	s_and_not1_b32 exec_lo, exec_lo, s2
	s_cbranch_execnz .LBB214_23
; %bb.26:
	s_or_b32 exec_lo, exec_lo, s2
.LBB214_27:
	s_delay_alu instid0(SALU_CYCLE_1)
	s_or_b32 exec_lo, exec_lo, s3
.LBB214_28:
	v_mbcnt_lo_u32_b32 v2, -1, 0
	s_delay_alu instid0(VALU_DEP_1) | instskip(SKIP_1) | instid1(VALU_DEP_2)
	v_xor_b32_e32 v3, 8, v2
	v_xor_b32_e32 v7, 4, v2
	v_cmp_gt_i32_e32 vcc_lo, 32, v3
	v_cndmask_b32_e32 v3, v2, v3, vcc_lo
	s_delay_alu instid0(VALU_DEP_3) | instskip(NEXT) | instid1(VALU_DEP_2)
	v_cmp_gt_i32_e32 vcc_lo, 32, v7
	v_lshlrev_b32_e32 v3, 2, v3
	ds_bpermute_b32 v6, v3, v16
	s_waitcnt lgkmcnt(0)
	v_add_f32_e32 v6, v16, v6
	ds_bpermute_b32 v4, v3, v15
	ds_bpermute_b32 v5, v3, v12
	;; [unrolled: 1-line block ×3, first 2 shown]
	s_waitcnt lgkmcnt(2)
	v_dual_add_f32 v4, v15, v4 :: v_dual_cndmask_b32 v7, v2, v7
	s_waitcnt lgkmcnt(1)
	v_add_f32_e32 v5, v12, v5
	v_xor_b32_e32 v15, 2, v2
	s_delay_alu instid0(VALU_DEP_3) | instskip(NEXT) | instid1(VALU_DEP_2)
	v_lshlrev_b32_e32 v7, 2, v7
	v_cmp_gt_i32_e32 vcc_lo, 32, v15
	ds_bpermute_b32 v14, v7, v6
	v_cndmask_b32_e32 v15, v2, v15, vcc_lo
	s_waitcnt lgkmcnt(0)
	s_delay_alu instid0(VALU_DEP_1)
	v_dual_add_f32 v6, v6, v14 :: v_dual_lshlrev_b32 v15, 2, v15
	v_add_f32_e32 v3, v13, v3
	ds_bpermute_b32 v12, v7, v4
	ds_bpermute_b32 v13, v7, v5
	;; [unrolled: 1-line block ×3, first 2 shown]
	s_waitcnt lgkmcnt(0)
	v_dual_add_f32 v4, v4, v12 :: v_dual_add_f32 v3, v3, v7
	ds_bpermute_b32 v7, v15, v4
	v_add_f32_e32 v5, v5, v13
	ds_bpermute_b32 v13, v15, v6
	ds_bpermute_b32 v14, v15, v3
	s_waitcnt lgkmcnt(2)
	v_add_f32_e32 v4, v4, v7
	ds_bpermute_b32 v12, v15, v5
	v_xor_b32_e32 v15, 1, v2
	s_waitcnt lgkmcnt(1)
	v_add_f32_e32 v3, v3, v14
	s_delay_alu instid0(VALU_DEP_2) | instskip(SKIP_2) | instid1(VALU_DEP_2)
	v_cmp_gt_i32_e32 vcc_lo, 32, v15
	v_cndmask_b32_e32 v2, v2, v15, vcc_lo
	v_cmp_eq_u32_e32 vcc_lo, 15, v0
	v_dual_add_f32 v2, v6, v13 :: v_dual_lshlrev_b32 v15, 2, v2
	s_waitcnt lgkmcnt(0)
	v_add_f32_e32 v5, v5, v12
	ds_bpermute_b32 v12, v15, v4
	ds_bpermute_b32 v6, v15, v2
	;; [unrolled: 1-line block ×4, first 2 shown]
	s_and_b32 exec_lo, exec_lo, vcc_lo
	s_cbranch_execz .LBB214_33
; %bb.29:
	s_load_b64 s[2:3], s[0:1], 0x38
	v_cmp_eq_f32_e32 vcc_lo, 0, v10
	v_cmp_eq_f32_e64 s0, 0, v11
	s_waitcnt lgkmcnt(0)
	v_dual_add_f32 v0, v4, v12 :: v_dual_add_f32 v3, v3, v7
	v_add_f32_e32 v4, v5, v13
	v_add_f32_e32 v2, v2, v6
	s_and_b32 s0, vcc_lo, s0
	s_delay_alu instid0(SALU_CYCLE_1) | instskip(NEXT) | instid1(SALU_CYCLE_1)
	s_and_saveexec_b32 s1, s0
	s_xor_b32 s0, exec_lo, s1
	s_cbranch_execz .LBB214_31
; %bb.30:
	v_mul_f32_e64 v10, v4, -v9
	v_lshlrev_b32_e32 v5, 1, v1
	v_mul_f32_e32 v11, v4, v8
	v_mul_f32_e64 v12, v3, -v9
	v_mul_f32_e32 v13, v3, v8
	v_fmac_f32_e32 v10, v8, v0
	v_ashrrev_i32_e32 v6, 31, v5
	s_delay_alu instid0(VALU_DEP_4) | instskip(NEXT) | instid1(VALU_DEP_4)
	v_dual_fmac_f32 v11, v9, v0 :: v_dual_fmac_f32 v12, v8, v2
	v_fmac_f32_e32 v13, v9, v2
                                        ; implicit-def: $vgpr8
                                        ; implicit-def: $vgpr9
                                        ; implicit-def: $vgpr2
                                        ; implicit-def: $vgpr3
	s_delay_alu instid0(VALU_DEP_3) | instskip(NEXT) | instid1(VALU_DEP_1)
	v_lshlrev_b64 v[4:5], 3, v[5:6]
	v_add_co_u32 v0, vcc_lo, s2, v4
	s_delay_alu instid0(VALU_DEP_2)
	v_add_co_ci_u32_e32 v1, vcc_lo, s3, v5, vcc_lo
                                        ; implicit-def: $vgpr4
	global_store_b128 v[0:1], v[10:13], off
                                        ; implicit-def: $vgpr10
                                        ; implicit-def: $vgpr11
                                        ; implicit-def: $vgpr1
                                        ; implicit-def: $vgpr0
.LBB214_31:
	s_and_not1_saveexec_b32 s0, s0
	s_cbranch_execz .LBB214_33
; %bb.32:
	v_lshlrev_b32_e32 v5, 1, v1
	v_mul_f32_e64 v7, v4, -v9
	v_mul_f32_e32 v1, v4, v8
	v_mul_f32_e64 v4, v3, -v9
	v_mul_f32_e32 v3, v3, v8
	s_delay_alu instid0(VALU_DEP_4) | instskip(NEXT) | instid1(VALU_DEP_3)
	v_fmac_f32_e32 v7, v8, v0
	v_fmac_f32_e32 v4, v8, v2
	v_ashrrev_i32_e32 v6, 31, v5
	s_delay_alu instid0(VALU_DEP_4) | instskip(NEXT) | instid1(VALU_DEP_2)
	v_fmac_f32_e32 v3, v9, v2
	v_lshlrev_b64 v[5:6], 3, v[5:6]
	s_delay_alu instid0(VALU_DEP_1) | instskip(NEXT) | instid1(VALU_DEP_2)
	v_add_co_u32 v5, vcc_lo, s2, v5
	v_add_co_ci_u32_e32 v6, vcc_lo, s3, v6, vcc_lo
	global_load_b128 v[12:15], v[5:6], off
	s_waitcnt vmcnt(0)
	v_dual_fmac_f32 v4, v10, v14 :: v_dual_fmac_f32 v1, v9, v0
	v_fmac_f32_e32 v7, v10, v12
	v_fmac_f32_e32 v3, v11, v14
	s_delay_alu instid0(VALU_DEP_3) | instskip(NEXT) | instid1(VALU_DEP_4)
	v_fma_f32 v2, -v11, v15, v4
	v_fmac_f32_e32 v1, v11, v12
	s_delay_alu instid0(VALU_DEP_4) | instskip(NEXT) | instid1(VALU_DEP_4)
	v_fma_f32 v0, -v11, v13, v7
	v_fmac_f32_e32 v3, v10, v15
	s_delay_alu instid0(VALU_DEP_3)
	v_fmac_f32_e32 v1, v10, v13
	global_store_b128 v[5:6], v[0:3], off
.LBB214_33:
	s_nop 0
	s_sendmsg sendmsg(MSG_DEALLOC_VGPRS)
	s_endpgm
	.section	.rodata,"a",@progbits
	.p2align	6, 0x0
	.amdhsa_kernel _ZN9rocsparseL19gebsrmvn_2xn_kernelILj128ELj14ELj16E21rocsparse_complex_numIfEEEvi20rocsparse_direction_NS_24const_host_device_scalarIT2_EEPKiS8_PKS5_SA_S6_PS5_21rocsparse_index_base_b
		.amdhsa_group_segment_fixed_size 0
		.amdhsa_private_segment_fixed_size 0
		.amdhsa_kernarg_size 72
		.amdhsa_user_sgpr_count 15
		.amdhsa_user_sgpr_dispatch_ptr 0
		.amdhsa_user_sgpr_queue_ptr 0
		.amdhsa_user_sgpr_kernarg_segment_ptr 1
		.amdhsa_user_sgpr_dispatch_id 0
		.amdhsa_user_sgpr_private_segment_size 0
		.amdhsa_wavefront_size32 1
		.amdhsa_uses_dynamic_stack 0
		.amdhsa_enable_private_segment 0
		.amdhsa_system_sgpr_workgroup_id_x 1
		.amdhsa_system_sgpr_workgroup_id_y 0
		.amdhsa_system_sgpr_workgroup_id_z 0
		.amdhsa_system_sgpr_workgroup_info 0
		.amdhsa_system_vgpr_workitem_id 0
		.amdhsa_next_free_vgpr 30
		.amdhsa_next_free_sgpr 16
		.amdhsa_reserve_vcc 1
		.amdhsa_float_round_mode_32 0
		.amdhsa_float_round_mode_16_64 0
		.amdhsa_float_denorm_mode_32 3
		.amdhsa_float_denorm_mode_16_64 3
		.amdhsa_dx10_clamp 1
		.amdhsa_ieee_mode 1
		.amdhsa_fp16_overflow 0
		.amdhsa_workgroup_processor_mode 1
		.amdhsa_memory_ordered 1
		.amdhsa_forward_progress 0
		.amdhsa_shared_vgpr_count 0
		.amdhsa_exception_fp_ieee_invalid_op 0
		.amdhsa_exception_fp_denorm_src 0
		.amdhsa_exception_fp_ieee_div_zero 0
		.amdhsa_exception_fp_ieee_overflow 0
		.amdhsa_exception_fp_ieee_underflow 0
		.amdhsa_exception_fp_ieee_inexact 0
		.amdhsa_exception_int_div_zero 0
	.end_amdhsa_kernel
	.section	.text._ZN9rocsparseL19gebsrmvn_2xn_kernelILj128ELj14ELj16E21rocsparse_complex_numIfEEEvi20rocsparse_direction_NS_24const_host_device_scalarIT2_EEPKiS8_PKS5_SA_S6_PS5_21rocsparse_index_base_b,"axG",@progbits,_ZN9rocsparseL19gebsrmvn_2xn_kernelILj128ELj14ELj16E21rocsparse_complex_numIfEEEvi20rocsparse_direction_NS_24const_host_device_scalarIT2_EEPKiS8_PKS5_SA_S6_PS5_21rocsparse_index_base_b,comdat
.Lfunc_end214:
	.size	_ZN9rocsparseL19gebsrmvn_2xn_kernelILj128ELj14ELj16E21rocsparse_complex_numIfEEEvi20rocsparse_direction_NS_24const_host_device_scalarIT2_EEPKiS8_PKS5_SA_S6_PS5_21rocsparse_index_base_b, .Lfunc_end214-_ZN9rocsparseL19gebsrmvn_2xn_kernelILj128ELj14ELj16E21rocsparse_complex_numIfEEEvi20rocsparse_direction_NS_24const_host_device_scalarIT2_EEPKiS8_PKS5_SA_S6_PS5_21rocsparse_index_base_b
                                        ; -- End function
	.section	.AMDGPU.csdata,"",@progbits
; Kernel info:
; codeLenInByte = 1908
; NumSgprs: 18
; NumVgprs: 30
; ScratchSize: 0
; MemoryBound: 0
; FloatMode: 240
; IeeeMode: 1
; LDSByteSize: 0 bytes/workgroup (compile time only)
; SGPRBlocks: 2
; VGPRBlocks: 3
; NumSGPRsForWavesPerEU: 18
; NumVGPRsForWavesPerEU: 30
; Occupancy: 16
; WaveLimiterHint : 1
; COMPUTE_PGM_RSRC2:SCRATCH_EN: 0
; COMPUTE_PGM_RSRC2:USER_SGPR: 15
; COMPUTE_PGM_RSRC2:TRAP_HANDLER: 0
; COMPUTE_PGM_RSRC2:TGID_X_EN: 1
; COMPUTE_PGM_RSRC2:TGID_Y_EN: 0
; COMPUTE_PGM_RSRC2:TGID_Z_EN: 0
; COMPUTE_PGM_RSRC2:TIDIG_COMP_CNT: 0
	.section	.text._ZN9rocsparseL19gebsrmvn_2xn_kernelILj128ELj14ELj32E21rocsparse_complex_numIfEEEvi20rocsparse_direction_NS_24const_host_device_scalarIT2_EEPKiS8_PKS5_SA_S6_PS5_21rocsparse_index_base_b,"axG",@progbits,_ZN9rocsparseL19gebsrmvn_2xn_kernelILj128ELj14ELj32E21rocsparse_complex_numIfEEEvi20rocsparse_direction_NS_24const_host_device_scalarIT2_EEPKiS8_PKS5_SA_S6_PS5_21rocsparse_index_base_b,comdat
	.globl	_ZN9rocsparseL19gebsrmvn_2xn_kernelILj128ELj14ELj32E21rocsparse_complex_numIfEEEvi20rocsparse_direction_NS_24const_host_device_scalarIT2_EEPKiS8_PKS5_SA_S6_PS5_21rocsparse_index_base_b ; -- Begin function _ZN9rocsparseL19gebsrmvn_2xn_kernelILj128ELj14ELj32E21rocsparse_complex_numIfEEEvi20rocsparse_direction_NS_24const_host_device_scalarIT2_EEPKiS8_PKS5_SA_S6_PS5_21rocsparse_index_base_b
	.p2align	8
	.type	_ZN9rocsparseL19gebsrmvn_2xn_kernelILj128ELj14ELj32E21rocsparse_complex_numIfEEEvi20rocsparse_direction_NS_24const_host_device_scalarIT2_EEPKiS8_PKS5_SA_S6_PS5_21rocsparse_index_base_b,@function
_ZN9rocsparseL19gebsrmvn_2xn_kernelILj128ELj14ELj32E21rocsparse_complex_numIfEEEvi20rocsparse_direction_NS_24const_host_device_scalarIT2_EEPKiS8_PKS5_SA_S6_PS5_21rocsparse_index_base_b: ; @_ZN9rocsparseL19gebsrmvn_2xn_kernelILj128ELj14ELj32E21rocsparse_complex_numIfEEEvi20rocsparse_direction_NS_24const_host_device_scalarIT2_EEPKiS8_PKS5_SA_S6_PS5_21rocsparse_index_base_b
; %bb.0:
	s_clause 0x2
	s_load_b64 s[12:13], s[0:1], 0x40
	s_load_b64 s[4:5], s[0:1], 0x8
	;; [unrolled: 1-line block ×3, first 2 shown]
	s_waitcnt lgkmcnt(0)
	s_bitcmp1_b32 s13, 0
	v_mov_b32_e32 v8, s4
	s_cselect_b32 s6, -1, 0
	s_delay_alu instid0(SALU_CYCLE_1)
	s_and_b32 vcc_lo, exec_lo, s6
	s_xor_b32 s6, s6, -1
	s_cbranch_vccz .LBB215_17
; %bb.1:
	v_cndmask_b32_e64 v1, 0, 1, s6
	v_mov_b32_e32 v9, s5
	s_and_not1_b32 vcc_lo, exec_lo, s6
	s_cbranch_vccz .LBB215_18
.LBB215_2:
	s_delay_alu instid0(VALU_DEP_2)
	v_cmp_ne_u32_e32 vcc_lo, 1, v1
	v_mov_b32_e32 v10, s2
	s_cbranch_vccz .LBB215_19
.LBB215_3:
	v_cmp_ne_u32_e32 vcc_lo, 1, v1
	v_mov_b32_e32 v11, s3
	s_cbranch_vccnz .LBB215_5
.LBB215_4:
	v_dual_mov_b32 v1, s2 :: v_dual_mov_b32 v2, s3
	flat_load_b32 v11, v[1:2] offset:4
.LBB215_5:
	s_waitcnt vmcnt(0) lgkmcnt(0)
	v_cmp_eq_f32_e32 vcc_lo, 0, v8
	v_cmp_eq_f32_e64 s2, 0, v9
	s_delay_alu instid0(VALU_DEP_1)
	s_and_b32 s4, vcc_lo, s2
	s_mov_b32 s2, -1
	s_and_saveexec_b32 s3, s4
; %bb.6:
	v_cmp_neq_f32_e32 vcc_lo, 1.0, v10
	v_cmp_neq_f32_e64 s2, 0, v11
	s_delay_alu instid0(VALU_DEP_1) | instskip(NEXT) | instid1(SALU_CYCLE_1)
	s_or_b32 s2, vcc_lo, s2
	s_or_not1_b32 s2, s2, exec_lo
; %bb.7:
	s_or_b32 exec_lo, exec_lo, s3
	s_and_saveexec_b32 s3, s2
	s_cbranch_execz .LBB215_33
; %bb.8:
	s_load_b64 s[2:3], s[0:1], 0x0
	v_lshrrev_b32_e32 v1, 5, v0
	s_delay_alu instid0(VALU_DEP_1) | instskip(SKIP_1) | instid1(VALU_DEP_1)
	v_lshl_or_b32 v1, s15, 2, v1
	s_waitcnt lgkmcnt(0)
	v_cmp_gt_i32_e32 vcc_lo, s2, v1
	s_and_b32 exec_lo, exec_lo, vcc_lo
	s_cbranch_execz .LBB215_33
; %bb.9:
	s_load_b256 s[4:11], s[0:1], 0x10
	v_ashrrev_i32_e32 v2, 31, v1
	v_and_b32_e32 v0, 31, v0
	s_cmp_lg_u32 s3, 0
	s_delay_alu instid0(VALU_DEP_2) | instskip(SKIP_1) | instid1(VALU_DEP_1)
	v_lshlrev_b64 v[2:3], 2, v[1:2]
	s_waitcnt lgkmcnt(0)
	v_add_co_u32 v2, vcc_lo, s4, v2
	s_delay_alu instid0(VALU_DEP_2) | instskip(SKIP_4) | instid1(VALU_DEP_2)
	v_add_co_ci_u32_e32 v3, vcc_lo, s5, v3, vcc_lo
	global_load_b64 v[3:4], v[2:3], off
	s_waitcnt vmcnt(0)
	v_subrev_nc_u32_e32 v2, s12, v3
	v_subrev_nc_u32_e32 v14, s12, v4
	v_add_nc_u32_e32 v2, v2, v0
	s_delay_alu instid0(VALU_DEP_1)
	v_cmp_lt_i32_e64 s2, v2, v14
	s_cbranch_scc0 .LBB215_20
; %bb.10:
	v_dual_mov_b32 v12, 0 :: v_dual_mov_b32 v15, 0
	v_dual_mov_b32 v16, 0 :: v_dual_mov_b32 v13, 0
	s_mov_b32 s3, 0
	s_and_saveexec_b32 s4, s2
	s_cbranch_execz .LBB215_16
; %bb.11:
	v_mul_lo_u32 v17, v2, 28
	v_dual_mov_b32 v5, 0 :: v_dual_mov_b32 v6, v2
	v_dual_mov_b32 v12, 0 :: v_dual_mov_b32 v15, 0
	;; [unrolled: 1-line block ×3, first 2 shown]
	s_mov_b32 s5, 0
.LBB215_12:                             ; =>This Loop Header: Depth=1
                                        ;     Child Loop BB215_13 Depth 2
	s_delay_alu instid0(VALU_DEP_3) | instskip(SKIP_1) | instid1(VALU_DEP_1)
	v_ashrrev_i32_e32 v7, 31, v6
	s_mov_b32 s13, 0
	v_lshlrev_b64 v[18:19], 2, v[6:7]
	s_delay_alu instid0(VALU_DEP_1) | instskip(NEXT) | instid1(VALU_DEP_2)
	v_add_co_u32 v18, vcc_lo, s6, v18
	v_add_co_ci_u32_e32 v19, vcc_lo, s7, v19, vcc_lo
	global_load_b32 v4, v[18:19], off
	s_waitcnt vmcnt(0)
	v_subrev_nc_u32_e32 v4, s12, v4
	s_delay_alu instid0(VALU_DEP_1)
	v_mul_lo_u32 v7, v4, 14
	v_mov_b32_e32 v4, v17
	s_set_inst_prefetch_distance 0x1
	.p2align	6
.LBB215_13:                             ;   Parent Loop BB215_12 Depth=1
                                        ; =>  This Inner Loop Header: Depth=2
	s_delay_alu instid0(VALU_DEP_2) | instskip(NEXT) | instid1(VALU_DEP_2)
	v_dual_mov_b32 v19, v5 :: v_dual_add_nc_u32 v18, s13, v7
	v_lshlrev_b64 v[20:21], 3, v[4:5]
	s_add_i32 s13, s13, 2
	s_delay_alu instid0(SALU_CYCLE_1) | instskip(NEXT) | instid1(VALU_DEP_2)
	s_cmp_eq_u32 s13, 14
	v_lshlrev_b64 v[18:19], 3, v[18:19]
	s_delay_alu instid0(VALU_DEP_2) | instskip(NEXT) | instid1(VALU_DEP_3)
	v_add_co_u32 v22, vcc_lo, s8, v20
	v_add_co_ci_u32_e32 v23, vcc_lo, s9, v21, vcc_lo
	s_delay_alu instid0(VALU_DEP_3) | instskip(NEXT) | instid1(VALU_DEP_4)
	v_add_co_u32 v26, vcc_lo, s10, v18
	v_add_co_ci_u32_e32 v27, vcc_lo, s11, v19, vcc_lo
	s_clause 0x1
	global_load_b128 v[18:21], v[22:23], off offset:16
	global_load_b128 v[22:25], v[22:23], off
	global_load_b128 v[26:29], v[26:27], off
	s_waitcnt vmcnt(0)
	v_fmac_f32_e32 v13, v25, v26
	s_delay_alu instid0(VALU_DEP_1) | instskip(NEXT) | instid1(VALU_DEP_1)
	v_dual_fmac_f32 v12, v23, v26 :: v_dual_fmac_f32 v13, v24, v27
	v_fmac_f32_e32 v12, v22, v27
	s_delay_alu instid0(VALU_DEP_1) | instskip(NEXT) | instid1(VALU_DEP_1)
	v_dual_fmac_f32 v15, v22, v26 :: v_dual_fmac_f32 v12, v19, v28
	v_fma_f32 v15, -v23, v27, v15
	s_delay_alu instid0(VALU_DEP_4) | instskip(NEXT) | instid1(VALU_DEP_3)
	v_dual_fmac_f32 v16, v24, v26 :: v_dual_fmac_f32 v13, v21, v28
	v_fmac_f32_e32 v12, v18, v29
	s_delay_alu instid0(VALU_DEP_3) | instskip(NEXT) | instid1(VALU_DEP_3)
	v_fmac_f32_e32 v15, v18, v28
	v_fma_f32 v16, -v25, v27, v16
	s_delay_alu instid0(VALU_DEP_4) | instskip(NEXT) | instid1(VALU_DEP_3)
	v_dual_fmac_f32 v13, v20, v29 :: v_dual_add_nc_u32 v4, 4, v4
	v_fma_f32 v15, -v19, v29, v15
	s_delay_alu instid0(VALU_DEP_3) | instskip(NEXT) | instid1(VALU_DEP_1)
	v_fmac_f32_e32 v16, v20, v28
	v_fma_f32 v16, -v21, v29, v16
	s_cbranch_scc0 .LBB215_13
; %bb.14:                               ;   in Loop: Header=BB215_12 Depth=1
	s_set_inst_prefetch_distance 0x2
	v_add_nc_u32_e32 v6, 32, v6
	v_add_nc_u32_e32 v17, 0x380, v17
	s_delay_alu instid0(VALU_DEP_2) | instskip(SKIP_1) | instid1(SALU_CYCLE_1)
	v_cmp_ge_i32_e32 vcc_lo, v6, v14
	s_or_b32 s5, vcc_lo, s5
	s_and_not1_b32 exec_lo, exec_lo, s5
	s_cbranch_execnz .LBB215_12
; %bb.15:
	s_or_b32 exec_lo, exec_lo, s5
.LBB215_16:
	s_delay_alu instid0(SALU_CYCLE_1) | instskip(NEXT) | instid1(SALU_CYCLE_1)
	s_or_b32 exec_lo, exec_lo, s4
	s_and_not1_b32 vcc_lo, exec_lo, s3
	s_cbranch_vccz .LBB215_21
	s_branch .LBB215_28
.LBB215_17:
	v_dual_mov_b32 v1, s4 :: v_dual_mov_b32 v2, s5
	flat_load_b32 v8, v[1:2]
	v_cndmask_b32_e64 v1, 0, 1, s6
	v_mov_b32_e32 v9, s5
	s_and_not1_b32 vcc_lo, exec_lo, s6
	s_cbranch_vccnz .LBB215_2
.LBB215_18:
	v_dual_mov_b32 v2, s4 :: v_dual_mov_b32 v3, s5
	flat_load_b32 v9, v[2:3] offset:4
	v_cmp_ne_u32_e32 vcc_lo, 1, v1
	v_mov_b32_e32 v10, s2
	s_cbranch_vccnz .LBB215_3
.LBB215_19:
	v_dual_mov_b32 v2, s2 :: v_dual_mov_b32 v3, s3
	flat_load_b32 v10, v[2:3]
	v_cmp_ne_u32_e32 vcc_lo, 1, v1
	v_mov_b32_e32 v11, s3
	s_cbranch_vccz .LBB215_4
	s_branch .LBB215_5
.LBB215_20:
                                        ; implicit-def: $vgpr12
                                        ; implicit-def: $vgpr15
                                        ; implicit-def: $vgpr16
                                        ; implicit-def: $vgpr13
.LBB215_21:
	v_dual_mov_b32 v12, 0 :: v_dual_mov_b32 v15, 0
	v_dual_mov_b32 v16, 0 :: v_dual_mov_b32 v13, 0
	s_delay_alu instid0(VALU_DEP_3)
	s_and_saveexec_b32 s3, s2
	s_cbranch_execz .LBB215_27
; %bb.22:
	v_mul_lo_u32 v3, v3, 28
	v_mul_lo_u32 v5, v2, 28
	s_mul_i32 s2, s12, 28
	v_dual_mov_b32 v4, 0 :: v_dual_mov_b32 v15, 0
	v_dual_mov_b32 v12, 0 :: v_dual_mov_b32 v13, 0
	v_mov_b32_e32 v16, 0
	v_mad_u32_u24 v3, v0, 28, v3
	s_delay_alu instid0(VALU_DEP_1)
	v_subrev_nc_u32_e32 v6, s2, v3
	s_mov_b32 s2, 0
.LBB215_23:                             ; =>This Loop Header: Depth=1
                                        ;     Child Loop BB215_24 Depth 2
	v_ashrrev_i32_e32 v3, 31, v2
	s_mov_b32 s4, 0
	s_delay_alu instid0(VALU_DEP_1) | instskip(NEXT) | instid1(VALU_DEP_1)
	v_lshlrev_b64 v[17:18], 2, v[2:3]
	v_add_co_u32 v17, vcc_lo, s6, v17
	s_delay_alu instid0(VALU_DEP_2) | instskip(SKIP_3) | instid1(VALU_DEP_1)
	v_add_co_ci_u32_e32 v18, vcc_lo, s7, v18, vcc_lo
	global_load_b32 v3, v[17:18], off
	s_waitcnt vmcnt(0)
	v_subrev_nc_u32_e32 v3, s12, v3
	v_mul_lo_u32 v7, v3, 14
	s_set_inst_prefetch_distance 0x1
	.p2align	6
.LBB215_24:                             ;   Parent Loop BB215_23 Depth=1
                                        ; =>  This Inner Loop Header: Depth=2
	v_add_nc_u32_e32 v3, s4, v6
	s_delay_alu instid0(VALU_DEP_1) | instskip(NEXT) | instid1(VALU_DEP_3)
	v_lshlrev_b64 v[17:18], 3, v[3:4]
	v_add_nc_u32_e32 v3, s4, v7
	s_delay_alu instid0(VALU_DEP_1) | instskip(SKIP_1) | instid1(VALU_DEP_4)
	v_lshlrev_b64 v[19:20], 3, v[3:4]
	v_add3_u32 v3, v5, s4, 14
	v_add_co_u32 v17, vcc_lo, s8, v17
	v_add_co_ci_u32_e32 v18, vcc_lo, s9, v18, vcc_lo
	s_delay_alu instid0(VALU_DEP_3) | instskip(SKIP_3) | instid1(VALU_DEP_3)
	v_lshlrev_b64 v[21:22], 3, v[3:4]
	v_add_co_u32 v23, vcc_lo, s10, v19
	v_add_co_ci_u32_e32 v24, vcc_lo, s11, v20, vcc_lo
	s_add_i32 s4, s4, 2
	v_add_co_u32 v25, vcc_lo, s8, v21
	s_delay_alu instid0(VALU_DEP_4)
	v_add_co_ci_u32_e32 v26, vcc_lo, s9, v22, vcc_lo
	global_load_b128 v[17:20], v[17:18], off
	global_load_b128 v[21:24], v[23:24], off
	;; [unrolled: 1-line block ×3, first 2 shown]
	s_cmp_eq_u32 s4, 14
	s_waitcnt vmcnt(1)
	v_fmac_f32_e32 v12, v18, v21
	s_waitcnt vmcnt(0)
	v_fmac_f32_e32 v16, v25, v21
	s_delay_alu instid0(VALU_DEP_2) | instskip(SKIP_1) | instid1(VALU_DEP_3)
	v_dual_fmac_f32 v13, v26, v21 :: v_dual_fmac_f32 v12, v17, v22
	v_fmac_f32_e32 v15, v17, v21
	v_fma_f32 v16, -v26, v22, v16
	s_delay_alu instid0(VALU_DEP_3) | instskip(NEXT) | instid1(VALU_DEP_3)
	v_dual_fmac_f32 v13, v25, v22 :: v_dual_fmac_f32 v12, v20, v23
	v_fma_f32 v3, -v18, v22, v15
	s_delay_alu instid0(VALU_DEP_3) | instskip(NEXT) | instid1(VALU_DEP_3)
	v_fmac_f32_e32 v16, v27, v23
	v_dual_fmac_f32 v13, v28, v23 :: v_dual_fmac_f32 v12, v19, v24
	s_delay_alu instid0(VALU_DEP_3) | instskip(NEXT) | instid1(VALU_DEP_3)
	v_fmac_f32_e32 v3, v19, v23
	v_fma_f32 v16, -v28, v24, v16
	s_delay_alu instid0(VALU_DEP_3) | instskip(NEXT) | instid1(VALU_DEP_3)
	v_fmac_f32_e32 v13, v27, v24
	v_fma_f32 v15, -v20, v24, v3
	s_cbranch_scc0 .LBB215_24
; %bb.25:                               ;   in Loop: Header=BB215_23 Depth=1
	s_set_inst_prefetch_distance 0x2
	v_add_nc_u32_e32 v2, 32, v2
	v_add_nc_u32_e32 v5, 0x380, v5
	;; [unrolled: 1-line block ×3, first 2 shown]
	s_delay_alu instid0(VALU_DEP_3) | instskip(SKIP_1) | instid1(SALU_CYCLE_1)
	v_cmp_ge_i32_e32 vcc_lo, v2, v14
	s_or_b32 s2, vcc_lo, s2
	s_and_not1_b32 exec_lo, exec_lo, s2
	s_cbranch_execnz .LBB215_23
; %bb.26:
	s_or_b32 exec_lo, exec_lo, s2
.LBB215_27:
	s_delay_alu instid0(SALU_CYCLE_1)
	s_or_b32 exec_lo, exec_lo, s3
.LBB215_28:
	v_mbcnt_lo_u32_b32 v2, -1, 0
	s_delay_alu instid0(VALU_DEP_1) | instskip(SKIP_1) | instid1(VALU_DEP_2)
	v_xor_b32_e32 v3, 16, v2
	v_xor_b32_e32 v7, 8, v2
	v_cmp_gt_i32_e32 vcc_lo, 32, v3
	v_cndmask_b32_e32 v3, v2, v3, vcc_lo
	s_delay_alu instid0(VALU_DEP_3) | instskip(NEXT) | instid1(VALU_DEP_2)
	v_cmp_gt_i32_e32 vcc_lo, 32, v7
	v_lshlrev_b32_e32 v3, 2, v3
	ds_bpermute_b32 v6, v3, v16
	s_waitcnt lgkmcnt(0)
	v_add_f32_e32 v6, v16, v6
	ds_bpermute_b32 v4, v3, v15
	ds_bpermute_b32 v5, v3, v12
	;; [unrolled: 1-line block ×3, first 2 shown]
	s_waitcnt lgkmcnt(2)
	v_dual_add_f32 v4, v15, v4 :: v_dual_cndmask_b32 v7, v2, v7
	s_waitcnt lgkmcnt(1)
	v_add_f32_e32 v5, v12, v5
	v_xor_b32_e32 v15, 4, v2
	s_delay_alu instid0(VALU_DEP_3) | instskip(NEXT) | instid1(VALU_DEP_2)
	v_lshlrev_b32_e32 v7, 2, v7
	v_cmp_gt_i32_e32 vcc_lo, 32, v15
	ds_bpermute_b32 v14, v7, v6
	v_cndmask_b32_e32 v15, v2, v15, vcc_lo
	s_waitcnt lgkmcnt(0)
	s_delay_alu instid0(VALU_DEP_1)
	v_dual_add_f32 v6, v6, v14 :: v_dual_lshlrev_b32 v15, 2, v15
	v_add_f32_e32 v3, v13, v3
	ds_bpermute_b32 v12, v7, v4
	ds_bpermute_b32 v13, v7, v5
	s_waitcnt lgkmcnt(0)
	v_dual_add_f32 v4, v4, v12 :: v_dual_add_f32 v5, v5, v13
	ds_bpermute_b32 v13, v15, v6
	s_waitcnt lgkmcnt(0)
	v_add_f32_e32 v6, v6, v13
	ds_bpermute_b32 v7, v7, v3
	s_waitcnt lgkmcnt(0)
	v_add_f32_e32 v3, v3, v7
	ds_bpermute_b32 v7, v15, v4
	ds_bpermute_b32 v14, v15, v3
	s_waitcnt lgkmcnt(1)
	v_add_f32_e32 v4, v4, v7
	ds_bpermute_b32 v12, v15, v5
	v_xor_b32_e32 v15, 2, v2
	s_waitcnt lgkmcnt(1)
	v_add_f32_e32 v3, v3, v14
	s_delay_alu instid0(VALU_DEP_2) | instskip(SKIP_1) | instid1(VALU_DEP_1)
	v_cmp_gt_i32_e32 vcc_lo, 32, v15
	v_cndmask_b32_e32 v15, v2, v15, vcc_lo
	v_lshlrev_b32_e32 v15, 2, v15
	ds_bpermute_b32 v7, v15, v4
	s_waitcnt lgkmcnt(1)
	v_add_f32_e32 v5, v5, v12
	ds_bpermute_b32 v13, v15, v6
	ds_bpermute_b32 v14, v15, v3
	s_waitcnt lgkmcnt(2)
	v_add_f32_e32 v4, v4, v7
	ds_bpermute_b32 v12, v15, v5
	v_xor_b32_e32 v15, 1, v2
	s_waitcnt lgkmcnt(1)
	v_add_f32_e32 v3, v3, v14
	s_delay_alu instid0(VALU_DEP_2) | instskip(SKIP_2) | instid1(VALU_DEP_2)
	v_cmp_gt_i32_e32 vcc_lo, 32, v15
	v_cndmask_b32_e32 v2, v2, v15, vcc_lo
	v_cmp_eq_u32_e32 vcc_lo, 31, v0
	v_dual_add_f32 v2, v6, v13 :: v_dual_lshlrev_b32 v15, 2, v2
	s_waitcnt lgkmcnt(0)
	v_add_f32_e32 v5, v5, v12
	ds_bpermute_b32 v12, v15, v4
	ds_bpermute_b32 v6, v15, v2
	;; [unrolled: 1-line block ×4, first 2 shown]
	s_and_b32 exec_lo, exec_lo, vcc_lo
	s_cbranch_execz .LBB215_33
; %bb.29:
	s_load_b64 s[2:3], s[0:1], 0x38
	v_cmp_eq_f32_e32 vcc_lo, 0, v10
	v_cmp_eq_f32_e64 s0, 0, v11
	s_waitcnt lgkmcnt(0)
	v_dual_add_f32 v0, v4, v12 :: v_dual_add_f32 v3, v3, v7
	v_add_f32_e32 v4, v5, v13
	v_add_f32_e32 v2, v2, v6
	s_and_b32 s0, vcc_lo, s0
	s_delay_alu instid0(SALU_CYCLE_1) | instskip(NEXT) | instid1(SALU_CYCLE_1)
	s_and_saveexec_b32 s1, s0
	s_xor_b32 s0, exec_lo, s1
	s_cbranch_execz .LBB215_31
; %bb.30:
	v_mul_f32_e64 v10, v4, -v9
	v_lshlrev_b32_e32 v5, 1, v1
	v_mul_f32_e32 v11, v4, v8
	v_mul_f32_e64 v12, v3, -v9
	v_mul_f32_e32 v13, v3, v8
	v_fmac_f32_e32 v10, v8, v0
	v_ashrrev_i32_e32 v6, 31, v5
	s_delay_alu instid0(VALU_DEP_4) | instskip(NEXT) | instid1(VALU_DEP_4)
	v_dual_fmac_f32 v11, v9, v0 :: v_dual_fmac_f32 v12, v8, v2
	v_fmac_f32_e32 v13, v9, v2
                                        ; implicit-def: $vgpr8
                                        ; implicit-def: $vgpr9
                                        ; implicit-def: $vgpr2
                                        ; implicit-def: $vgpr3
	s_delay_alu instid0(VALU_DEP_3) | instskip(NEXT) | instid1(VALU_DEP_1)
	v_lshlrev_b64 v[4:5], 3, v[5:6]
	v_add_co_u32 v0, vcc_lo, s2, v4
	s_delay_alu instid0(VALU_DEP_2)
	v_add_co_ci_u32_e32 v1, vcc_lo, s3, v5, vcc_lo
                                        ; implicit-def: $vgpr4
	global_store_b128 v[0:1], v[10:13], off
                                        ; implicit-def: $vgpr10
                                        ; implicit-def: $vgpr11
                                        ; implicit-def: $vgpr1
                                        ; implicit-def: $vgpr0
.LBB215_31:
	s_and_not1_saveexec_b32 s0, s0
	s_cbranch_execz .LBB215_33
; %bb.32:
	v_lshlrev_b32_e32 v5, 1, v1
	v_mul_f32_e64 v7, v4, -v9
	v_mul_f32_e32 v1, v4, v8
	v_mul_f32_e64 v4, v3, -v9
	v_mul_f32_e32 v3, v3, v8
	s_delay_alu instid0(VALU_DEP_4) | instskip(NEXT) | instid1(VALU_DEP_3)
	v_fmac_f32_e32 v7, v8, v0
	v_fmac_f32_e32 v4, v8, v2
	v_ashrrev_i32_e32 v6, 31, v5
	s_delay_alu instid0(VALU_DEP_4) | instskip(NEXT) | instid1(VALU_DEP_2)
	v_fmac_f32_e32 v3, v9, v2
	v_lshlrev_b64 v[5:6], 3, v[5:6]
	s_delay_alu instid0(VALU_DEP_1) | instskip(NEXT) | instid1(VALU_DEP_2)
	v_add_co_u32 v5, vcc_lo, s2, v5
	v_add_co_ci_u32_e32 v6, vcc_lo, s3, v6, vcc_lo
	global_load_b128 v[12:15], v[5:6], off
	s_waitcnt vmcnt(0)
	v_dual_fmac_f32 v4, v10, v14 :: v_dual_fmac_f32 v1, v9, v0
	v_fmac_f32_e32 v7, v10, v12
	v_fmac_f32_e32 v3, v11, v14
	s_delay_alu instid0(VALU_DEP_3) | instskip(NEXT) | instid1(VALU_DEP_4)
	v_fma_f32 v2, -v11, v15, v4
	v_fmac_f32_e32 v1, v11, v12
	s_delay_alu instid0(VALU_DEP_4) | instskip(NEXT) | instid1(VALU_DEP_4)
	v_fma_f32 v0, -v11, v13, v7
	v_fmac_f32_e32 v3, v10, v15
	s_delay_alu instid0(VALU_DEP_3)
	v_fmac_f32_e32 v1, v10, v13
	global_store_b128 v[5:6], v[0:3], off
.LBB215_33:
	s_nop 0
	s_sendmsg sendmsg(MSG_DEALLOC_VGPRS)
	s_endpgm
	.section	.rodata,"a",@progbits
	.p2align	6, 0x0
	.amdhsa_kernel _ZN9rocsparseL19gebsrmvn_2xn_kernelILj128ELj14ELj32E21rocsparse_complex_numIfEEEvi20rocsparse_direction_NS_24const_host_device_scalarIT2_EEPKiS8_PKS5_SA_S6_PS5_21rocsparse_index_base_b
		.amdhsa_group_segment_fixed_size 0
		.amdhsa_private_segment_fixed_size 0
		.amdhsa_kernarg_size 72
		.amdhsa_user_sgpr_count 15
		.amdhsa_user_sgpr_dispatch_ptr 0
		.amdhsa_user_sgpr_queue_ptr 0
		.amdhsa_user_sgpr_kernarg_segment_ptr 1
		.amdhsa_user_sgpr_dispatch_id 0
		.amdhsa_user_sgpr_private_segment_size 0
		.amdhsa_wavefront_size32 1
		.amdhsa_uses_dynamic_stack 0
		.amdhsa_enable_private_segment 0
		.amdhsa_system_sgpr_workgroup_id_x 1
		.amdhsa_system_sgpr_workgroup_id_y 0
		.amdhsa_system_sgpr_workgroup_id_z 0
		.amdhsa_system_sgpr_workgroup_info 0
		.amdhsa_system_vgpr_workitem_id 0
		.amdhsa_next_free_vgpr 30
		.amdhsa_next_free_sgpr 16
		.amdhsa_reserve_vcc 1
		.amdhsa_float_round_mode_32 0
		.amdhsa_float_round_mode_16_64 0
		.amdhsa_float_denorm_mode_32 3
		.amdhsa_float_denorm_mode_16_64 3
		.amdhsa_dx10_clamp 1
		.amdhsa_ieee_mode 1
		.amdhsa_fp16_overflow 0
		.amdhsa_workgroup_processor_mode 1
		.amdhsa_memory_ordered 1
		.amdhsa_forward_progress 0
		.amdhsa_shared_vgpr_count 0
		.amdhsa_exception_fp_ieee_invalid_op 0
		.amdhsa_exception_fp_denorm_src 0
		.amdhsa_exception_fp_ieee_div_zero 0
		.amdhsa_exception_fp_ieee_overflow 0
		.amdhsa_exception_fp_ieee_underflow 0
		.amdhsa_exception_fp_ieee_inexact 0
		.amdhsa_exception_int_div_zero 0
	.end_amdhsa_kernel
	.section	.text._ZN9rocsparseL19gebsrmvn_2xn_kernelILj128ELj14ELj32E21rocsparse_complex_numIfEEEvi20rocsparse_direction_NS_24const_host_device_scalarIT2_EEPKiS8_PKS5_SA_S6_PS5_21rocsparse_index_base_b,"axG",@progbits,_ZN9rocsparseL19gebsrmvn_2xn_kernelILj128ELj14ELj32E21rocsparse_complex_numIfEEEvi20rocsparse_direction_NS_24const_host_device_scalarIT2_EEPKiS8_PKS5_SA_S6_PS5_21rocsparse_index_base_b,comdat
.Lfunc_end215:
	.size	_ZN9rocsparseL19gebsrmvn_2xn_kernelILj128ELj14ELj32E21rocsparse_complex_numIfEEEvi20rocsparse_direction_NS_24const_host_device_scalarIT2_EEPKiS8_PKS5_SA_S6_PS5_21rocsparse_index_base_b, .Lfunc_end215-_ZN9rocsparseL19gebsrmvn_2xn_kernelILj128ELj14ELj32E21rocsparse_complex_numIfEEEvi20rocsparse_direction_NS_24const_host_device_scalarIT2_EEPKiS8_PKS5_SA_S6_PS5_21rocsparse_index_base_b
                                        ; -- End function
	.section	.AMDGPU.csdata,"",@progbits
; Kernel info:
; codeLenInByte = 1996
; NumSgprs: 18
; NumVgprs: 30
; ScratchSize: 0
; MemoryBound: 0
; FloatMode: 240
; IeeeMode: 1
; LDSByteSize: 0 bytes/workgroup (compile time only)
; SGPRBlocks: 2
; VGPRBlocks: 3
; NumSGPRsForWavesPerEU: 18
; NumVGPRsForWavesPerEU: 30
; Occupancy: 16
; WaveLimiterHint : 1
; COMPUTE_PGM_RSRC2:SCRATCH_EN: 0
; COMPUTE_PGM_RSRC2:USER_SGPR: 15
; COMPUTE_PGM_RSRC2:TRAP_HANDLER: 0
; COMPUTE_PGM_RSRC2:TGID_X_EN: 1
; COMPUTE_PGM_RSRC2:TGID_Y_EN: 0
; COMPUTE_PGM_RSRC2:TGID_Z_EN: 0
; COMPUTE_PGM_RSRC2:TIDIG_COMP_CNT: 0
	.section	.text._ZN9rocsparseL19gebsrmvn_2xn_kernelILj128ELj14ELj64E21rocsparse_complex_numIfEEEvi20rocsparse_direction_NS_24const_host_device_scalarIT2_EEPKiS8_PKS5_SA_S6_PS5_21rocsparse_index_base_b,"axG",@progbits,_ZN9rocsparseL19gebsrmvn_2xn_kernelILj128ELj14ELj64E21rocsparse_complex_numIfEEEvi20rocsparse_direction_NS_24const_host_device_scalarIT2_EEPKiS8_PKS5_SA_S6_PS5_21rocsparse_index_base_b,comdat
	.globl	_ZN9rocsparseL19gebsrmvn_2xn_kernelILj128ELj14ELj64E21rocsparse_complex_numIfEEEvi20rocsparse_direction_NS_24const_host_device_scalarIT2_EEPKiS8_PKS5_SA_S6_PS5_21rocsparse_index_base_b ; -- Begin function _ZN9rocsparseL19gebsrmvn_2xn_kernelILj128ELj14ELj64E21rocsparse_complex_numIfEEEvi20rocsparse_direction_NS_24const_host_device_scalarIT2_EEPKiS8_PKS5_SA_S6_PS5_21rocsparse_index_base_b
	.p2align	8
	.type	_ZN9rocsparseL19gebsrmvn_2xn_kernelILj128ELj14ELj64E21rocsparse_complex_numIfEEEvi20rocsparse_direction_NS_24const_host_device_scalarIT2_EEPKiS8_PKS5_SA_S6_PS5_21rocsparse_index_base_b,@function
_ZN9rocsparseL19gebsrmvn_2xn_kernelILj128ELj14ELj64E21rocsparse_complex_numIfEEEvi20rocsparse_direction_NS_24const_host_device_scalarIT2_EEPKiS8_PKS5_SA_S6_PS5_21rocsparse_index_base_b: ; @_ZN9rocsparseL19gebsrmvn_2xn_kernelILj128ELj14ELj64E21rocsparse_complex_numIfEEEvi20rocsparse_direction_NS_24const_host_device_scalarIT2_EEPKiS8_PKS5_SA_S6_PS5_21rocsparse_index_base_b
; %bb.0:
	s_clause 0x2
	s_load_b64 s[12:13], s[0:1], 0x40
	s_load_b64 s[4:5], s[0:1], 0x8
	;; [unrolled: 1-line block ×3, first 2 shown]
	s_waitcnt lgkmcnt(0)
	s_bitcmp1_b32 s13, 0
	v_mov_b32_e32 v8, s4
	s_cselect_b32 s6, -1, 0
	s_delay_alu instid0(SALU_CYCLE_1)
	s_and_b32 vcc_lo, exec_lo, s6
	s_xor_b32 s6, s6, -1
	s_cbranch_vccz .LBB216_17
; %bb.1:
	v_cndmask_b32_e64 v1, 0, 1, s6
	v_mov_b32_e32 v9, s5
	s_and_not1_b32 vcc_lo, exec_lo, s6
	s_cbranch_vccz .LBB216_18
.LBB216_2:
	s_delay_alu instid0(VALU_DEP_2)
	v_cmp_ne_u32_e32 vcc_lo, 1, v1
	v_mov_b32_e32 v10, s2
	s_cbranch_vccz .LBB216_19
.LBB216_3:
	v_cmp_ne_u32_e32 vcc_lo, 1, v1
	v_mov_b32_e32 v11, s3
	s_cbranch_vccnz .LBB216_5
.LBB216_4:
	v_dual_mov_b32 v1, s2 :: v_dual_mov_b32 v2, s3
	flat_load_b32 v11, v[1:2] offset:4
.LBB216_5:
	s_waitcnt vmcnt(0) lgkmcnt(0)
	v_cmp_eq_f32_e32 vcc_lo, 0, v8
	v_cmp_eq_f32_e64 s2, 0, v9
	s_delay_alu instid0(VALU_DEP_1)
	s_and_b32 s4, vcc_lo, s2
	s_mov_b32 s2, -1
	s_and_saveexec_b32 s3, s4
; %bb.6:
	v_cmp_neq_f32_e32 vcc_lo, 1.0, v10
	v_cmp_neq_f32_e64 s2, 0, v11
	s_delay_alu instid0(VALU_DEP_1) | instskip(NEXT) | instid1(SALU_CYCLE_1)
	s_or_b32 s2, vcc_lo, s2
	s_or_not1_b32 s2, s2, exec_lo
; %bb.7:
	s_or_b32 exec_lo, exec_lo, s3
	s_and_saveexec_b32 s3, s2
	s_cbranch_execz .LBB216_33
; %bb.8:
	s_load_b64 s[2:3], s[0:1], 0x0
	v_lshrrev_b32_e32 v1, 6, v0
	s_delay_alu instid0(VALU_DEP_1) | instskip(SKIP_1) | instid1(VALU_DEP_1)
	v_lshl_or_b32 v1, s15, 1, v1
	s_waitcnt lgkmcnt(0)
	v_cmp_gt_i32_e32 vcc_lo, s2, v1
	s_and_b32 exec_lo, exec_lo, vcc_lo
	s_cbranch_execz .LBB216_33
; %bb.9:
	s_load_b256 s[4:11], s[0:1], 0x10
	v_ashrrev_i32_e32 v2, 31, v1
	v_and_b32_e32 v0, 63, v0
	s_cmp_lg_u32 s3, 0
	s_delay_alu instid0(VALU_DEP_2) | instskip(SKIP_1) | instid1(VALU_DEP_1)
	v_lshlrev_b64 v[2:3], 2, v[1:2]
	s_waitcnt lgkmcnt(0)
	v_add_co_u32 v2, vcc_lo, s4, v2
	s_delay_alu instid0(VALU_DEP_2) | instskip(SKIP_4) | instid1(VALU_DEP_2)
	v_add_co_ci_u32_e32 v3, vcc_lo, s5, v3, vcc_lo
	global_load_b64 v[3:4], v[2:3], off
	s_waitcnt vmcnt(0)
	v_subrev_nc_u32_e32 v2, s12, v3
	v_subrev_nc_u32_e32 v15, s12, v4
	v_add_nc_u32_e32 v2, v2, v0
	s_delay_alu instid0(VALU_DEP_1)
	v_cmp_lt_i32_e64 s2, v2, v15
	s_cbranch_scc0 .LBB216_20
; %bb.10:
	v_dual_mov_b32 v12, 0 :: v_dual_mov_b32 v13, 0
	v_mov_b32_e32 v14, 0
	v_mov_b32_e32 v16, 0
	s_mov_b32 s3, 0
	s_and_saveexec_b32 s4, s2
	s_cbranch_execz .LBB216_16
; %bb.11:
	v_mul_lo_u32 v17, v2, 28
	v_dual_mov_b32 v5, 0 :: v_dual_mov_b32 v6, v2
	v_dual_mov_b32 v12, 0 :: v_dual_mov_b32 v13, 0
	v_mov_b32_e32 v14, 0
	v_mov_b32_e32 v16, 0
	s_mov_b32 s5, 0
.LBB216_12:                             ; =>This Loop Header: Depth=1
                                        ;     Child Loop BB216_13 Depth 2
	v_ashrrev_i32_e32 v7, 31, v6
	s_mov_b32 s13, 0
	s_delay_alu instid0(VALU_DEP_1) | instskip(NEXT) | instid1(VALU_DEP_1)
	v_lshlrev_b64 v[18:19], 2, v[6:7]
	v_add_co_u32 v18, vcc_lo, s6, v18
	s_delay_alu instid0(VALU_DEP_2) | instskip(SKIP_3) | instid1(VALU_DEP_1)
	v_add_co_ci_u32_e32 v19, vcc_lo, s7, v19, vcc_lo
	global_load_b32 v4, v[18:19], off
	s_waitcnt vmcnt(0)
	v_subrev_nc_u32_e32 v4, s12, v4
	v_mul_lo_u32 v7, v4, 14
	v_mov_b32_e32 v4, v17
	s_set_inst_prefetch_distance 0x1
	.p2align	6
.LBB216_13:                             ;   Parent Loop BB216_12 Depth=1
                                        ; =>  This Inner Loop Header: Depth=2
	s_delay_alu instid0(VALU_DEP_2) | instskip(NEXT) | instid1(VALU_DEP_2)
	v_dual_mov_b32 v19, v5 :: v_dual_add_nc_u32 v18, s13, v7
	v_lshlrev_b64 v[20:21], 3, v[4:5]
	v_add_nc_u32_e32 v4, 4, v4
	s_add_i32 s13, s13, 2
	s_delay_alu instid0(VALU_DEP_3) | instskip(SKIP_1) | instid1(VALU_DEP_3)
	v_lshlrev_b64 v[18:19], 3, v[18:19]
	s_cmp_eq_u32 s13, 14
	v_add_co_u32 v22, vcc_lo, s8, v20
	v_add_co_ci_u32_e32 v23, vcc_lo, s9, v21, vcc_lo
	s_delay_alu instid0(VALU_DEP_3) | instskip(NEXT) | instid1(VALU_DEP_4)
	v_add_co_u32 v26, vcc_lo, s10, v18
	v_add_co_ci_u32_e32 v27, vcc_lo, s11, v19, vcc_lo
	s_clause 0x1
	global_load_b128 v[18:21], v[22:23], off offset:16
	global_load_b128 v[22:25], v[22:23], off
	global_load_b128 v[26:29], v[26:27], off
	s_waitcnt vmcnt(0)
	v_fmac_f32_e32 v13, v25, v26
	v_fmac_f32_e32 v14, v22, v26
	;; [unrolled: 1-line block ×3, first 2 shown]
	s_delay_alu instid0(VALU_DEP_3) | instskip(NEXT) | instid1(VALU_DEP_3)
	v_dual_fmac_f32 v13, v24, v27 :: v_dual_fmac_f32 v12, v23, v26
	v_fma_f32 v14, -v23, v27, v14
	s_delay_alu instid0(VALU_DEP_3) | instskip(NEXT) | instid1(VALU_DEP_3)
	v_fma_f32 v16, -v25, v27, v16
	v_dual_fmac_f32 v13, v21, v28 :: v_dual_fmac_f32 v12, v22, v27
	s_delay_alu instid0(VALU_DEP_3) | instskip(NEXT) | instid1(VALU_DEP_3)
	v_fmac_f32_e32 v14, v18, v28
	v_fmac_f32_e32 v16, v20, v28
	s_delay_alu instid0(VALU_DEP_3) | instskip(NEXT) | instid1(VALU_DEP_3)
	v_dual_fmac_f32 v13, v20, v29 :: v_dual_fmac_f32 v12, v19, v28
	v_fma_f32 v14, -v19, v29, v14
	s_delay_alu instid0(VALU_DEP_3) | instskip(NEXT) | instid1(VALU_DEP_3)
	v_fma_f32 v16, -v21, v29, v16
	v_fmac_f32_e32 v12, v18, v29
	s_cbranch_scc0 .LBB216_13
; %bb.14:                               ;   in Loop: Header=BB216_12 Depth=1
	s_set_inst_prefetch_distance 0x2
	v_add_nc_u32_e32 v6, 64, v6
	v_add_nc_u32_e32 v17, 0x700, v17
	s_delay_alu instid0(VALU_DEP_2) | instskip(SKIP_1) | instid1(SALU_CYCLE_1)
	v_cmp_ge_i32_e32 vcc_lo, v6, v15
	s_or_b32 s5, vcc_lo, s5
	s_and_not1_b32 exec_lo, exec_lo, s5
	s_cbranch_execnz .LBB216_12
; %bb.15:
	s_or_b32 exec_lo, exec_lo, s5
.LBB216_16:
	s_delay_alu instid0(SALU_CYCLE_1) | instskip(NEXT) | instid1(SALU_CYCLE_1)
	s_or_b32 exec_lo, exec_lo, s4
	s_and_not1_b32 vcc_lo, exec_lo, s3
	s_cbranch_vccz .LBB216_21
	s_branch .LBB216_28
.LBB216_17:
	v_dual_mov_b32 v1, s4 :: v_dual_mov_b32 v2, s5
	flat_load_b32 v8, v[1:2]
	v_cndmask_b32_e64 v1, 0, 1, s6
	v_mov_b32_e32 v9, s5
	s_and_not1_b32 vcc_lo, exec_lo, s6
	s_cbranch_vccnz .LBB216_2
.LBB216_18:
	v_dual_mov_b32 v2, s4 :: v_dual_mov_b32 v3, s5
	flat_load_b32 v9, v[2:3] offset:4
	v_cmp_ne_u32_e32 vcc_lo, 1, v1
	v_mov_b32_e32 v10, s2
	s_cbranch_vccnz .LBB216_3
.LBB216_19:
	v_dual_mov_b32 v2, s2 :: v_dual_mov_b32 v3, s3
	flat_load_b32 v10, v[2:3]
	v_cmp_ne_u32_e32 vcc_lo, 1, v1
	v_mov_b32_e32 v11, s3
	s_cbranch_vccz .LBB216_4
	s_branch .LBB216_5
.LBB216_20:
                                        ; implicit-def: $vgpr12
                                        ; implicit-def: $vgpr14
                                        ; implicit-def: $vgpr16
                                        ; implicit-def: $vgpr13
.LBB216_21:
	v_dual_mov_b32 v12, 0 :: v_dual_mov_b32 v13, 0
	v_mov_b32_e32 v14, 0
	v_mov_b32_e32 v16, 0
	s_and_saveexec_b32 s3, s2
	s_cbranch_execz .LBB216_27
; %bb.22:
	v_mul_lo_u32 v3, v3, 28
	v_mul_lo_u32 v5, v2, 28
	s_mul_i32 s2, s12, 28
	v_dual_mov_b32 v4, 0 :: v_dual_mov_b32 v13, 0
	v_mov_b32_e32 v12, 0
	v_mov_b32_e32 v14, 0
	;; [unrolled: 1-line block ×3, first 2 shown]
	v_mad_u32_u24 v3, v0, 28, v3
	s_delay_alu instid0(VALU_DEP_1)
	v_subrev_nc_u32_e32 v6, s2, v3
	s_mov_b32 s2, 0
.LBB216_23:                             ; =>This Loop Header: Depth=1
                                        ;     Child Loop BB216_24 Depth 2
	v_ashrrev_i32_e32 v3, 31, v2
	s_mov_b32 s4, 0
	s_delay_alu instid0(VALU_DEP_1) | instskip(NEXT) | instid1(VALU_DEP_1)
	v_lshlrev_b64 v[17:18], 2, v[2:3]
	v_add_co_u32 v17, vcc_lo, s6, v17
	s_delay_alu instid0(VALU_DEP_2) | instskip(SKIP_3) | instid1(VALU_DEP_1)
	v_add_co_ci_u32_e32 v18, vcc_lo, s7, v18, vcc_lo
	global_load_b32 v3, v[17:18], off
	s_waitcnt vmcnt(0)
	v_subrev_nc_u32_e32 v3, s12, v3
	v_mul_lo_u32 v7, v3, 14
	s_set_inst_prefetch_distance 0x1
	.p2align	6
.LBB216_24:                             ;   Parent Loop BB216_23 Depth=1
                                        ; =>  This Inner Loop Header: Depth=2
	v_add_nc_u32_e32 v3, s4, v6
	s_delay_alu instid0(VALU_DEP_1) | instskip(NEXT) | instid1(VALU_DEP_3)
	v_lshlrev_b64 v[17:18], 3, v[3:4]
	v_add_nc_u32_e32 v3, s4, v7
	s_delay_alu instid0(VALU_DEP_1) | instskip(SKIP_1) | instid1(VALU_DEP_4)
	v_lshlrev_b64 v[19:20], 3, v[3:4]
	v_add3_u32 v3, v5, s4, 14
	v_add_co_u32 v17, vcc_lo, s8, v17
	v_add_co_ci_u32_e32 v18, vcc_lo, s9, v18, vcc_lo
	s_delay_alu instid0(VALU_DEP_3) | instskip(SKIP_3) | instid1(VALU_DEP_3)
	v_lshlrev_b64 v[21:22], 3, v[3:4]
	v_add_co_u32 v23, vcc_lo, s10, v19
	v_add_co_ci_u32_e32 v24, vcc_lo, s11, v20, vcc_lo
	s_add_i32 s4, s4, 2
	v_add_co_u32 v25, vcc_lo, s8, v21
	s_delay_alu instid0(VALU_DEP_4)
	v_add_co_ci_u32_e32 v26, vcc_lo, s9, v22, vcc_lo
	global_load_b128 v[17:20], v[17:18], off
	global_load_b128 v[21:24], v[23:24], off
	;; [unrolled: 1-line block ×3, first 2 shown]
	s_cmp_eq_u32 s4, 14
	s_waitcnt vmcnt(1)
	v_fmac_f32_e32 v12, v18, v21
	v_fmac_f32_e32 v14, v17, v21
	s_waitcnt vmcnt(0)
	s_delay_alu instid0(VALU_DEP_2) | instskip(NEXT) | instid1(VALU_DEP_2)
	v_dual_fmac_f32 v13, v26, v21 :: v_dual_fmac_f32 v12, v17, v22
	v_fma_f32 v3, -v18, v22, v14
	v_fmac_f32_e32 v16, v25, v21
	s_delay_alu instid0(VALU_DEP_3) | instskip(NEXT) | instid1(VALU_DEP_3)
	v_dual_fmac_f32 v13, v25, v22 :: v_dual_fmac_f32 v12, v20, v23
	v_fmac_f32_e32 v3, v19, v23
	s_delay_alu instid0(VALU_DEP_3) | instskip(NEXT) | instid1(VALU_DEP_3)
	v_fma_f32 v16, -v26, v22, v16
	v_dual_fmac_f32 v13, v28, v23 :: v_dual_fmac_f32 v12, v19, v24
	s_delay_alu instid0(VALU_DEP_3) | instskip(NEXT) | instid1(VALU_DEP_3)
	v_fma_f32 v14, -v20, v24, v3
	v_fmac_f32_e32 v16, v27, v23
	s_delay_alu instid0(VALU_DEP_3) | instskip(NEXT) | instid1(VALU_DEP_2)
	v_fmac_f32_e32 v13, v27, v24
	v_fma_f32 v16, -v28, v24, v16
	s_cbranch_scc0 .LBB216_24
; %bb.25:                               ;   in Loop: Header=BB216_23 Depth=1
	s_set_inst_prefetch_distance 0x2
	v_add_nc_u32_e32 v2, 64, v2
	v_add_nc_u32_e32 v5, 0x700, v5
	;; [unrolled: 1-line block ×3, first 2 shown]
	s_delay_alu instid0(VALU_DEP_3) | instskip(SKIP_1) | instid1(SALU_CYCLE_1)
	v_cmp_ge_i32_e32 vcc_lo, v2, v15
	s_or_b32 s2, vcc_lo, s2
	s_and_not1_b32 exec_lo, exec_lo, s2
	s_cbranch_execnz .LBB216_23
; %bb.26:
	s_or_b32 exec_lo, exec_lo, s2
.LBB216_27:
	s_delay_alu instid0(SALU_CYCLE_1)
	s_or_b32 exec_lo, exec_lo, s3
.LBB216_28:
	v_mbcnt_lo_u32_b32 v2, -1, 0
	s_delay_alu instid0(VALU_DEP_1) | instskip(SKIP_2) | instid1(VALU_DEP_3)
	v_or_b32_e32 v3, 32, v2
	v_xor_b32_e32 v7, 16, v2
	v_xor_b32_e32 v15, 8, v2
	v_cmp_gt_i32_e32 vcc_lo, 32, v3
	v_cndmask_b32_e32 v3, v2, v3, vcc_lo
	s_delay_alu instid0(VALU_DEP_4) | instskip(NEXT) | instid1(VALU_DEP_2)
	v_cmp_gt_i32_e32 vcc_lo, 32, v7
	v_lshlrev_b32_e32 v3, 2, v3
	ds_bpermute_b32 v4, v3, v14
	s_waitcnt lgkmcnt(0)
	v_add_f32_e32 v4, v14, v4
	ds_bpermute_b32 v6, v3, v16
	v_cndmask_b32_e32 v7, v2, v7, vcc_lo
	ds_bpermute_b32 v5, v3, v12
	ds_bpermute_b32 v3, v3, v13
	v_cmp_gt_i32_e32 vcc_lo, 32, v15
	v_cndmask_b32_e32 v15, v2, v15, vcc_lo
	s_waitcnt lgkmcnt(2)
	s_delay_alu instid0(VALU_DEP_1)
	v_dual_add_f32 v6, v16, v6 :: v_dual_lshlrev_b32 v15, 2, v15
	v_lshlrev_b32_e32 v7, 2, v7
	s_waitcnt lgkmcnt(1)
	v_add_f32_e32 v5, v12, v5
	ds_bpermute_b32 v14, v7, v6
	s_waitcnt lgkmcnt(0)
	v_dual_add_f32 v6, v6, v14 :: v_dual_add_f32 v3, v13, v3
	ds_bpermute_b32 v12, v7, v4
	ds_bpermute_b32 v13, v7, v5
	s_waitcnt lgkmcnt(0)
	v_dual_add_f32 v4, v4, v12 :: v_dual_add_f32 v5, v5, v13
	ds_bpermute_b32 v13, v15, v6
	s_waitcnt lgkmcnt(0)
	v_add_f32_e32 v6, v6, v13
	ds_bpermute_b32 v7, v7, v3
	s_waitcnt lgkmcnt(0)
	v_add_f32_e32 v3, v3, v7
	ds_bpermute_b32 v7, v15, v4
	ds_bpermute_b32 v14, v15, v3
	s_waitcnt lgkmcnt(1)
	v_add_f32_e32 v4, v4, v7
	ds_bpermute_b32 v12, v15, v5
	v_xor_b32_e32 v15, 4, v2
	s_delay_alu instid0(VALU_DEP_1) | instskip(SKIP_1) | instid1(VALU_DEP_1)
	v_cmp_gt_i32_e32 vcc_lo, 32, v15
	v_cndmask_b32_e32 v15, v2, v15, vcc_lo
	v_lshlrev_b32_e32 v15, 2, v15
	ds_bpermute_b32 v7, v15, v4
	s_waitcnt lgkmcnt(1)
	v_add_f32_e32 v5, v5, v12
	ds_bpermute_b32 v13, v15, v6
	s_waitcnt lgkmcnt(1)
	v_dual_add_f32 v4, v4, v7 :: v_dual_add_f32 v3, v3, v14
	ds_bpermute_b32 v12, v15, v5
	s_waitcnt lgkmcnt(1)
	v_add_f32_e32 v6, v6, v13
	ds_bpermute_b32 v14, v15, v3
	v_xor_b32_e32 v15, 2, v2
	s_delay_alu instid0(VALU_DEP_1) | instskip(SKIP_1) | instid1(VALU_DEP_1)
	v_cmp_gt_i32_e32 vcc_lo, 32, v15
	v_cndmask_b32_e32 v15, v2, v15, vcc_lo
	v_lshlrev_b32_e32 v15, 2, v15
	s_waitcnt lgkmcnt(1)
	v_add_f32_e32 v5, v5, v12
	ds_bpermute_b32 v7, v15, v4
	ds_bpermute_b32 v12, v15, v5
	;; [unrolled: 1-line block ×3, first 2 shown]
	s_waitcnt lgkmcnt(2)
	v_dual_add_f32 v4, v4, v7 :: v_dual_add_f32 v3, v3, v14
	s_waitcnt lgkmcnt(1)
	v_add_f32_e32 v5, v5, v12
	ds_bpermute_b32 v14, v15, v3
	v_xor_b32_e32 v15, 1, v2
	s_delay_alu instid0(VALU_DEP_1) | instskip(SKIP_3) | instid1(VALU_DEP_2)
	v_cmp_gt_i32_e32 vcc_lo, 32, v15
	v_cndmask_b32_e32 v2, v2, v15, vcc_lo
	v_cmp_eq_u32_e32 vcc_lo, 63, v0
	s_waitcnt lgkmcnt(1)
	v_dual_add_f32 v2, v6, v13 :: v_dual_lshlrev_b32 v15, 2, v2
	s_waitcnt lgkmcnt(0)
	v_add_f32_e32 v3, v3, v14
	ds_bpermute_b32 v12, v15, v4
	ds_bpermute_b32 v13, v15, v5
	;; [unrolled: 1-line block ×4, first 2 shown]
	s_and_b32 exec_lo, exec_lo, vcc_lo
	s_cbranch_execz .LBB216_33
; %bb.29:
	s_load_b64 s[2:3], s[0:1], 0x38
	v_cmp_eq_f32_e32 vcc_lo, 0, v10
	v_cmp_eq_f32_e64 s0, 0, v11
	s_waitcnt lgkmcnt(0)
	v_dual_add_f32 v0, v4, v12 :: v_dual_add_f32 v3, v3, v7
	v_add_f32_e32 v4, v5, v13
	v_add_f32_e32 v2, v2, v6
	s_and_b32 s0, vcc_lo, s0
	s_delay_alu instid0(SALU_CYCLE_1) | instskip(NEXT) | instid1(SALU_CYCLE_1)
	s_and_saveexec_b32 s1, s0
	s_xor_b32 s0, exec_lo, s1
	s_cbranch_execz .LBB216_31
; %bb.30:
	v_mul_f32_e64 v10, v4, -v9
	v_lshlrev_b32_e32 v5, 1, v1
	v_mul_f32_e32 v11, v4, v8
	v_mul_f32_e64 v12, v3, -v9
	v_mul_f32_e32 v13, v3, v8
	v_fmac_f32_e32 v10, v8, v0
	v_ashrrev_i32_e32 v6, 31, v5
	s_delay_alu instid0(VALU_DEP_4) | instskip(NEXT) | instid1(VALU_DEP_4)
	v_dual_fmac_f32 v11, v9, v0 :: v_dual_fmac_f32 v12, v8, v2
	v_fmac_f32_e32 v13, v9, v2
                                        ; implicit-def: $vgpr8
                                        ; implicit-def: $vgpr9
                                        ; implicit-def: $vgpr2
                                        ; implicit-def: $vgpr3
	s_delay_alu instid0(VALU_DEP_3) | instskip(NEXT) | instid1(VALU_DEP_1)
	v_lshlrev_b64 v[4:5], 3, v[5:6]
	v_add_co_u32 v0, vcc_lo, s2, v4
	s_delay_alu instid0(VALU_DEP_2)
	v_add_co_ci_u32_e32 v1, vcc_lo, s3, v5, vcc_lo
                                        ; implicit-def: $vgpr4
	global_store_b128 v[0:1], v[10:13], off
                                        ; implicit-def: $vgpr10
                                        ; implicit-def: $vgpr11
                                        ; implicit-def: $vgpr1
                                        ; implicit-def: $vgpr0
.LBB216_31:
	s_and_not1_saveexec_b32 s0, s0
	s_cbranch_execz .LBB216_33
; %bb.32:
	v_lshlrev_b32_e32 v5, 1, v1
	v_mul_f32_e64 v7, v4, -v9
	v_mul_f32_e32 v1, v4, v8
	v_mul_f32_e64 v4, v3, -v9
	v_mul_f32_e32 v3, v3, v8
	s_delay_alu instid0(VALU_DEP_4) | instskip(NEXT) | instid1(VALU_DEP_3)
	v_fmac_f32_e32 v7, v8, v0
	v_fmac_f32_e32 v4, v8, v2
	v_ashrrev_i32_e32 v6, 31, v5
	s_delay_alu instid0(VALU_DEP_4) | instskip(NEXT) | instid1(VALU_DEP_2)
	v_fmac_f32_e32 v3, v9, v2
	v_lshlrev_b64 v[5:6], 3, v[5:6]
	s_delay_alu instid0(VALU_DEP_1) | instskip(NEXT) | instid1(VALU_DEP_2)
	v_add_co_u32 v5, vcc_lo, s2, v5
	v_add_co_ci_u32_e32 v6, vcc_lo, s3, v6, vcc_lo
	global_load_b128 v[12:15], v[5:6], off
	s_waitcnt vmcnt(0)
	v_dual_fmac_f32 v4, v10, v14 :: v_dual_fmac_f32 v1, v9, v0
	v_fmac_f32_e32 v7, v10, v12
	v_fmac_f32_e32 v3, v11, v14
	s_delay_alu instid0(VALU_DEP_3) | instskip(NEXT) | instid1(VALU_DEP_4)
	v_fma_f32 v2, -v11, v15, v4
	v_fmac_f32_e32 v1, v11, v12
	s_delay_alu instid0(VALU_DEP_4) | instskip(NEXT) | instid1(VALU_DEP_4)
	v_fma_f32 v0, -v11, v13, v7
	v_fmac_f32_e32 v3, v10, v15
	s_delay_alu instid0(VALU_DEP_3)
	v_fmac_f32_e32 v1, v10, v13
	global_store_b128 v[5:6], v[0:3], off
.LBB216_33:
	s_nop 0
	s_sendmsg sendmsg(MSG_DEALLOC_VGPRS)
	s_endpgm
	.section	.rodata,"a",@progbits
	.p2align	6, 0x0
	.amdhsa_kernel _ZN9rocsparseL19gebsrmvn_2xn_kernelILj128ELj14ELj64E21rocsparse_complex_numIfEEEvi20rocsparse_direction_NS_24const_host_device_scalarIT2_EEPKiS8_PKS5_SA_S6_PS5_21rocsparse_index_base_b
		.amdhsa_group_segment_fixed_size 0
		.amdhsa_private_segment_fixed_size 0
		.amdhsa_kernarg_size 72
		.amdhsa_user_sgpr_count 15
		.amdhsa_user_sgpr_dispatch_ptr 0
		.amdhsa_user_sgpr_queue_ptr 0
		.amdhsa_user_sgpr_kernarg_segment_ptr 1
		.amdhsa_user_sgpr_dispatch_id 0
		.amdhsa_user_sgpr_private_segment_size 0
		.amdhsa_wavefront_size32 1
		.amdhsa_uses_dynamic_stack 0
		.amdhsa_enable_private_segment 0
		.amdhsa_system_sgpr_workgroup_id_x 1
		.amdhsa_system_sgpr_workgroup_id_y 0
		.amdhsa_system_sgpr_workgroup_id_z 0
		.amdhsa_system_sgpr_workgroup_info 0
		.amdhsa_system_vgpr_workitem_id 0
		.amdhsa_next_free_vgpr 30
		.amdhsa_next_free_sgpr 16
		.amdhsa_reserve_vcc 1
		.amdhsa_float_round_mode_32 0
		.amdhsa_float_round_mode_16_64 0
		.amdhsa_float_denorm_mode_32 3
		.amdhsa_float_denorm_mode_16_64 3
		.amdhsa_dx10_clamp 1
		.amdhsa_ieee_mode 1
		.amdhsa_fp16_overflow 0
		.amdhsa_workgroup_processor_mode 1
		.amdhsa_memory_ordered 1
		.amdhsa_forward_progress 0
		.amdhsa_shared_vgpr_count 0
		.amdhsa_exception_fp_ieee_invalid_op 0
		.amdhsa_exception_fp_denorm_src 0
		.amdhsa_exception_fp_ieee_div_zero 0
		.amdhsa_exception_fp_ieee_overflow 0
		.amdhsa_exception_fp_ieee_underflow 0
		.amdhsa_exception_fp_ieee_inexact 0
		.amdhsa_exception_int_div_zero 0
	.end_amdhsa_kernel
	.section	.text._ZN9rocsparseL19gebsrmvn_2xn_kernelILj128ELj14ELj64E21rocsparse_complex_numIfEEEvi20rocsparse_direction_NS_24const_host_device_scalarIT2_EEPKiS8_PKS5_SA_S6_PS5_21rocsparse_index_base_b,"axG",@progbits,_ZN9rocsparseL19gebsrmvn_2xn_kernelILj128ELj14ELj64E21rocsparse_complex_numIfEEEvi20rocsparse_direction_NS_24const_host_device_scalarIT2_EEPKiS8_PKS5_SA_S6_PS5_21rocsparse_index_base_b,comdat
.Lfunc_end216:
	.size	_ZN9rocsparseL19gebsrmvn_2xn_kernelILj128ELj14ELj64E21rocsparse_complex_numIfEEEvi20rocsparse_direction_NS_24const_host_device_scalarIT2_EEPKiS8_PKS5_SA_S6_PS5_21rocsparse_index_base_b, .Lfunc_end216-_ZN9rocsparseL19gebsrmvn_2xn_kernelILj128ELj14ELj64E21rocsparse_complex_numIfEEEvi20rocsparse_direction_NS_24const_host_device_scalarIT2_EEPKiS8_PKS5_SA_S6_PS5_21rocsparse_index_base_b
                                        ; -- End function
	.section	.AMDGPU.csdata,"",@progbits
; Kernel info:
; codeLenInByte = 2056
; NumSgprs: 18
; NumVgprs: 30
; ScratchSize: 0
; MemoryBound: 0
; FloatMode: 240
; IeeeMode: 1
; LDSByteSize: 0 bytes/workgroup (compile time only)
; SGPRBlocks: 2
; VGPRBlocks: 3
; NumSGPRsForWavesPerEU: 18
; NumVGPRsForWavesPerEU: 30
; Occupancy: 16
; WaveLimiterHint : 1
; COMPUTE_PGM_RSRC2:SCRATCH_EN: 0
; COMPUTE_PGM_RSRC2:USER_SGPR: 15
; COMPUTE_PGM_RSRC2:TRAP_HANDLER: 0
; COMPUTE_PGM_RSRC2:TGID_X_EN: 1
; COMPUTE_PGM_RSRC2:TGID_Y_EN: 0
; COMPUTE_PGM_RSRC2:TGID_Z_EN: 0
; COMPUTE_PGM_RSRC2:TIDIG_COMP_CNT: 0
	.section	.text._ZN9rocsparseL19gebsrmvn_2xn_kernelILj128ELj15ELj4E21rocsparse_complex_numIfEEEvi20rocsparse_direction_NS_24const_host_device_scalarIT2_EEPKiS8_PKS5_SA_S6_PS5_21rocsparse_index_base_b,"axG",@progbits,_ZN9rocsparseL19gebsrmvn_2xn_kernelILj128ELj15ELj4E21rocsparse_complex_numIfEEEvi20rocsparse_direction_NS_24const_host_device_scalarIT2_EEPKiS8_PKS5_SA_S6_PS5_21rocsparse_index_base_b,comdat
	.globl	_ZN9rocsparseL19gebsrmvn_2xn_kernelILj128ELj15ELj4E21rocsparse_complex_numIfEEEvi20rocsparse_direction_NS_24const_host_device_scalarIT2_EEPKiS8_PKS5_SA_S6_PS5_21rocsparse_index_base_b ; -- Begin function _ZN9rocsparseL19gebsrmvn_2xn_kernelILj128ELj15ELj4E21rocsparse_complex_numIfEEEvi20rocsparse_direction_NS_24const_host_device_scalarIT2_EEPKiS8_PKS5_SA_S6_PS5_21rocsparse_index_base_b
	.p2align	8
	.type	_ZN9rocsparseL19gebsrmvn_2xn_kernelILj128ELj15ELj4E21rocsparse_complex_numIfEEEvi20rocsparse_direction_NS_24const_host_device_scalarIT2_EEPKiS8_PKS5_SA_S6_PS5_21rocsparse_index_base_b,@function
_ZN9rocsparseL19gebsrmvn_2xn_kernelILj128ELj15ELj4E21rocsparse_complex_numIfEEEvi20rocsparse_direction_NS_24const_host_device_scalarIT2_EEPKiS8_PKS5_SA_S6_PS5_21rocsparse_index_base_b: ; @_ZN9rocsparseL19gebsrmvn_2xn_kernelILj128ELj15ELj4E21rocsparse_complex_numIfEEEvi20rocsparse_direction_NS_24const_host_device_scalarIT2_EEPKiS8_PKS5_SA_S6_PS5_21rocsparse_index_base_b
; %bb.0:
	s_clause 0x2
	s_load_b64 s[12:13], s[0:1], 0x40
	s_load_b64 s[4:5], s[0:1], 0x8
	;; [unrolled: 1-line block ×3, first 2 shown]
	s_waitcnt lgkmcnt(0)
	s_bitcmp1_b32 s13, 0
	v_mov_b32_e32 v8, s4
	s_cselect_b32 s6, -1, 0
	s_delay_alu instid0(SALU_CYCLE_1)
	s_and_b32 vcc_lo, exec_lo, s6
	s_xor_b32 s6, s6, -1
	s_cbranch_vccz .LBB217_17
; %bb.1:
	v_cndmask_b32_e64 v1, 0, 1, s6
	v_mov_b32_e32 v9, s5
	s_and_not1_b32 vcc_lo, exec_lo, s6
	s_cbranch_vccz .LBB217_18
.LBB217_2:
	s_delay_alu instid0(VALU_DEP_2)
	v_cmp_ne_u32_e32 vcc_lo, 1, v1
	v_mov_b32_e32 v10, s2
	s_cbranch_vccz .LBB217_19
.LBB217_3:
	v_cmp_ne_u32_e32 vcc_lo, 1, v1
	v_mov_b32_e32 v11, s3
	s_cbranch_vccnz .LBB217_5
.LBB217_4:
	v_dual_mov_b32 v1, s2 :: v_dual_mov_b32 v2, s3
	flat_load_b32 v11, v[1:2] offset:4
.LBB217_5:
	s_waitcnt vmcnt(0) lgkmcnt(0)
	v_cmp_eq_f32_e32 vcc_lo, 0, v8
	v_cmp_eq_f32_e64 s2, 0, v9
	s_delay_alu instid0(VALU_DEP_1)
	s_and_b32 s4, vcc_lo, s2
	s_mov_b32 s2, -1
	s_and_saveexec_b32 s3, s4
; %bb.6:
	v_cmp_neq_f32_e32 vcc_lo, 1.0, v10
	v_cmp_neq_f32_e64 s2, 0, v11
	s_delay_alu instid0(VALU_DEP_1) | instskip(NEXT) | instid1(SALU_CYCLE_1)
	s_or_b32 s2, vcc_lo, s2
	s_or_not1_b32 s2, s2, exec_lo
; %bb.7:
	s_or_b32 exec_lo, exec_lo, s3
	s_and_saveexec_b32 s3, s2
	s_cbranch_execz .LBB217_33
; %bb.8:
	s_load_b64 s[2:3], s[0:1], 0x0
	v_lshrrev_b32_e32 v1, 2, v0
	s_delay_alu instid0(VALU_DEP_1) | instskip(SKIP_1) | instid1(VALU_DEP_1)
	v_lshl_or_b32 v1, s15, 5, v1
	s_waitcnt lgkmcnt(0)
	v_cmp_gt_i32_e32 vcc_lo, s2, v1
	s_and_b32 exec_lo, exec_lo, vcc_lo
	s_cbranch_execz .LBB217_33
; %bb.9:
	s_load_b256 s[4:11], s[0:1], 0x10
	v_ashrrev_i32_e32 v2, 31, v1
	v_and_b32_e32 v0, 3, v0
	s_cmp_lg_u32 s3, 0
	s_delay_alu instid0(VALU_DEP_2) | instskip(SKIP_1) | instid1(VALU_DEP_1)
	v_lshlrev_b64 v[2:3], 2, v[1:2]
	s_waitcnt lgkmcnt(0)
	v_add_co_u32 v2, vcc_lo, s4, v2
	s_delay_alu instid0(VALU_DEP_2) | instskip(SKIP_4) | instid1(VALU_DEP_2)
	v_add_co_ci_u32_e32 v3, vcc_lo, s5, v3, vcc_lo
	global_load_b64 v[3:4], v[2:3], off
	s_waitcnt vmcnt(0)
	v_subrev_nc_u32_e32 v2, s12, v3
	v_subrev_nc_u32_e32 v13, s12, v4
	v_add_nc_u32_e32 v2, v2, v0
	s_delay_alu instid0(VALU_DEP_1)
	v_cmp_lt_i32_e64 s2, v2, v13
	s_cbranch_scc0 .LBB217_20
; %bb.10:
	v_dual_mov_b32 v12, 0 :: v_dual_mov_b32 v15, 0
	v_mov_b32_e32 v16, 0
	v_mov_b32_e32 v14, 0
	s_mov_b32 s3, 0
	s_and_saveexec_b32 s4, s2
	s_cbranch_execz .LBB217_16
; %bb.11:
	v_mul_lo_u32 v17, v2, 30
	v_dual_mov_b32 v5, 0 :: v_dual_mov_b32 v6, v2
	v_dual_mov_b32 v12, 0 :: v_dual_mov_b32 v15, 0
	v_mov_b32_e32 v16, 0
	v_mov_b32_e32 v14, 0
	s_mov_b32 s5, 0
.LBB217_12:                             ; =>This Loop Header: Depth=1
                                        ;     Child Loop BB217_13 Depth 2
	v_ashrrev_i32_e32 v7, 31, v6
	s_mov_b32 s13, 0
	s_delay_alu instid0(VALU_DEP_1) | instskip(NEXT) | instid1(VALU_DEP_1)
	v_lshlrev_b64 v[18:19], 2, v[6:7]
	v_add_co_u32 v18, vcc_lo, s6, v18
	s_delay_alu instid0(VALU_DEP_2) | instskip(SKIP_3) | instid1(VALU_DEP_1)
	v_add_co_ci_u32_e32 v19, vcc_lo, s7, v19, vcc_lo
	global_load_b32 v4, v[18:19], off
	s_waitcnt vmcnt(0)
	v_subrev_nc_u32_e32 v4, s12, v4
	v_mul_lo_u32 v7, v4, 15
	v_mov_b32_e32 v4, v17
.LBB217_13:                             ;   Parent Loop BB217_12 Depth=1
                                        ; =>  This Inner Loop Header: Depth=2
	s_delay_alu instid0(VALU_DEP_2) | instskip(NEXT) | instid1(VALU_DEP_2)
	v_dual_mov_b32 v21, v5 :: v_dual_add_nc_u32 v20, s13, v7
	v_dual_mov_b32 v23, v5 :: v_dual_add_nc_u32 v22, 2, v4
	v_lshlrev_b64 v[18:19], 3, v[4:5]
	v_dual_mov_b32 v24, v5 :: v_dual_add_nc_u32 v25, 4, v4
	s_delay_alu instid0(VALU_DEP_4)
	v_lshlrev_b64 v[28:29], 3, v[20:21]
	v_mov_b32_e32 v26, v5
	v_lshlrev_b64 v[30:31], 3, v[22:23]
	v_add_nc_u32_e32 v23, 1, v20
	v_add_co_u32 v18, vcc_lo, s8, v18
	v_add_co_ci_u32_e32 v19, vcc_lo, s9, v19, vcc_lo
	v_lshlrev_b64 v[32:33], 3, v[25:26]
	s_delay_alu instid0(VALU_DEP_4)
	v_lshlrev_b64 v[22:23], 3, v[23:24]
	v_add_co_u32 v24, vcc_lo, s10, v28
	v_add_co_ci_u32_e32 v25, vcc_lo, s11, v29, vcc_lo
	v_add_co_u32 v28, vcc_lo, s8, v30
	v_add_co_ci_u32_e32 v29, vcc_lo, s9, v31, vcc_lo
	v_add_co_u32 v30, vcc_lo, s8, v32
	v_dual_mov_b32 v27, v5 :: v_dual_add_nc_u32 v26, 2, v20
	global_load_b128 v[18:21], v[18:19], off
	v_add_co_ci_u32_e32 v31, vcc_lo, s9, v33, vcc_lo
	global_load_b64 v[32:33], v[24:25], off
	v_add_co_u32 v34, vcc_lo, s10, v22
	v_add_co_ci_u32_e32 v35, vcc_lo, s11, v23, vcc_lo
	v_lshlrev_b64 v[26:27], 3, v[26:27]
	v_add_nc_u32_e32 v4, 6, v4
	s_add_i32 s13, s13, 3
	global_load_b64 v[34:35], v[34:35], off
	global_load_b128 v[22:25], v[28:29], off
	s_cmp_eq_u32 s13, 15
	v_add_co_u32 v36, vcc_lo, s10, v26
	v_add_co_ci_u32_e32 v37, vcc_lo, s11, v27, vcc_lo
	global_load_b128 v[26:29], v[30:31], off
	global_load_b64 v[30:31], v[36:37], off
	s_waitcnt vmcnt(4)
	v_fmac_f32_e32 v14, v21, v32
	s_delay_alu instid0(VALU_DEP_1) | instskip(NEXT) | instid1(VALU_DEP_1)
	v_dual_fmac_f32 v15, v18, v32 :: v_dual_fmac_f32 v14, v20, v33
	v_fma_f32 v15, -v19, v33, v15
	v_fmac_f32_e32 v12, v19, v32
	s_waitcnt vmcnt(2)
	s_delay_alu instid0(VALU_DEP_3) | instskip(NEXT) | instid1(VALU_DEP_3)
	v_fmac_f32_e32 v14, v25, v34
	v_fmac_f32_e32 v15, v22, v34
	s_delay_alu instid0(VALU_DEP_3) | instskip(NEXT) | instid1(VALU_DEP_3)
	v_fmac_f32_e32 v12, v18, v33
	v_fmac_f32_e32 v14, v24, v35
	s_delay_alu instid0(VALU_DEP_3) | instskip(SKIP_1) | instid1(VALU_DEP_4)
	v_fma_f32 v15, -v23, v35, v15
	v_fmac_f32_e32 v16, v20, v32
	v_fmac_f32_e32 v12, v23, v34
	s_waitcnt vmcnt(0)
	v_fmac_f32_e32 v14, v29, v30
	v_fmac_f32_e32 v15, v26, v30
	v_fma_f32 v16, -v21, v33, v16
	v_fmac_f32_e32 v12, v22, v35
	s_delay_alu instid0(VALU_DEP_4) | instskip(NEXT) | instid1(VALU_DEP_4)
	v_fmac_f32_e32 v14, v28, v31
	v_fma_f32 v15, -v27, v31, v15
	s_delay_alu instid0(VALU_DEP_4) | instskip(NEXT) | instid1(VALU_DEP_4)
	v_fmac_f32_e32 v16, v24, v34
	v_fmac_f32_e32 v12, v27, v30
	s_delay_alu instid0(VALU_DEP_2) | instskip(NEXT) | instid1(VALU_DEP_2)
	v_fma_f32 v16, -v25, v35, v16
	v_fmac_f32_e32 v12, v26, v31
	s_delay_alu instid0(VALU_DEP_2) | instskip(NEXT) | instid1(VALU_DEP_1)
	v_fmac_f32_e32 v16, v28, v30
	v_fma_f32 v16, -v29, v31, v16
	s_cbranch_scc0 .LBB217_13
; %bb.14:                               ;   in Loop: Header=BB217_12 Depth=1
	v_add_nc_u32_e32 v6, 4, v6
	v_add_nc_u32_e32 v17, 0x78, v17
	s_delay_alu instid0(VALU_DEP_2) | instskip(SKIP_1) | instid1(SALU_CYCLE_1)
	v_cmp_ge_i32_e32 vcc_lo, v6, v13
	s_or_b32 s5, vcc_lo, s5
	s_and_not1_b32 exec_lo, exec_lo, s5
	s_cbranch_execnz .LBB217_12
; %bb.15:
	s_or_b32 exec_lo, exec_lo, s5
.LBB217_16:
	s_delay_alu instid0(SALU_CYCLE_1) | instskip(NEXT) | instid1(SALU_CYCLE_1)
	s_or_b32 exec_lo, exec_lo, s4
	s_and_not1_b32 vcc_lo, exec_lo, s3
	s_cbranch_vccz .LBB217_21
	s_branch .LBB217_28
.LBB217_17:
	v_dual_mov_b32 v1, s4 :: v_dual_mov_b32 v2, s5
	flat_load_b32 v8, v[1:2]
	v_cndmask_b32_e64 v1, 0, 1, s6
	v_mov_b32_e32 v9, s5
	s_and_not1_b32 vcc_lo, exec_lo, s6
	s_cbranch_vccnz .LBB217_2
.LBB217_18:
	v_dual_mov_b32 v2, s4 :: v_dual_mov_b32 v3, s5
	flat_load_b32 v9, v[2:3] offset:4
	v_cmp_ne_u32_e32 vcc_lo, 1, v1
	v_mov_b32_e32 v10, s2
	s_cbranch_vccnz .LBB217_3
.LBB217_19:
	v_dual_mov_b32 v2, s2 :: v_dual_mov_b32 v3, s3
	flat_load_b32 v10, v[2:3]
	v_cmp_ne_u32_e32 vcc_lo, 1, v1
	v_mov_b32_e32 v11, s3
	s_cbranch_vccz .LBB217_4
	s_branch .LBB217_5
.LBB217_20:
                                        ; implicit-def: $vgpr12
                                        ; implicit-def: $vgpr15
                                        ; implicit-def: $vgpr16
                                        ; implicit-def: $vgpr14
.LBB217_21:
	v_dual_mov_b32 v12, 0 :: v_dual_mov_b32 v15, 0
	v_mov_b32_e32 v16, 0
	v_mov_b32_e32 v14, 0
	s_and_saveexec_b32 s3, s2
	s_cbranch_execz .LBB217_27
; %bb.22:
	v_mul_lo_u32 v3, v3, 30
	v_mul_lo_u32 v5, v2, 30
	s_mul_i32 s2, s12, 30
	v_dual_mov_b32 v4, 0 :: v_dual_mov_b32 v15, 0
	v_mov_b32_e32 v12, 0
	v_mov_b32_e32 v16, 0
	;; [unrolled: 1-line block ×3, first 2 shown]
	v_mad_u32_u24 v3, v0, 30, v3
	s_delay_alu instid0(VALU_DEP_1)
	v_subrev_nc_u32_e32 v6, s2, v3
	s_mov_b32 s2, 0
.LBB217_23:                             ; =>This Loop Header: Depth=1
                                        ;     Child Loop BB217_24 Depth 2
	v_ashrrev_i32_e32 v3, 31, v2
	s_mov_b32 s4, 0
	s_delay_alu instid0(VALU_DEP_1) | instskip(NEXT) | instid1(VALU_DEP_1)
	v_lshlrev_b64 v[17:18], 2, v[2:3]
	v_add_co_u32 v17, vcc_lo, s6, v17
	s_delay_alu instid0(VALU_DEP_2) | instskip(SKIP_3) | instid1(VALU_DEP_1)
	v_add_co_ci_u32_e32 v18, vcc_lo, s7, v18, vcc_lo
	global_load_b32 v3, v[17:18], off
	s_waitcnt vmcnt(0)
	v_subrev_nc_u32_e32 v3, s12, v3
	v_mul_lo_u32 v7, v3, 15
.LBB217_24:                             ;   Parent Loop BB217_23 Depth=1
                                        ; =>  This Inner Loop Header: Depth=2
	v_dual_mov_b32 v18, v4 :: v_dual_add_nc_u32 v3, s4, v6
	v_dual_mov_b32 v21, v4 :: v_dual_add_nc_u32 v34, s4, v5
	v_mov_b32_e32 v20, v4
	s_delay_alu instid0(VALU_DEP_3) | instskip(SKIP_1) | instid1(VALU_DEP_4)
	v_lshlrev_b64 v[26:27], 3, v[3:4]
	v_add_nc_u32_e32 v3, s4, v7
	v_add_nc_u32_e32 v19, 1, v34
	v_dual_mov_b32 v23, v4 :: v_dual_add_nc_u32 v22, 16, v34
	v_dual_mov_b32 v25, v4 :: v_dual_add_nc_u32 v24, 2, v34
	v_add_co_u32 v26, vcc_lo, s8, v26
	v_add_co_ci_u32_e32 v27, vcc_lo, s9, v27, vcc_lo
	v_lshlrev_b64 v[28:29], 3, v[3:4]
	v_lshlrev_b64 v[30:31], 3, v[19:20]
	;; [unrolled: 1-line block ×3, first 2 shown]
	global_load_b64 v[26:27], v[26:27], off
	v_add_nc_u32_e32 v17, 15, v34
	v_lshlrev_b64 v[24:25], 3, v[24:25]
	v_add_co_u32 v28, vcc_lo, s10, v28
	v_add_co_ci_u32_e32 v29, vcc_lo, s11, v29, vcc_lo
	s_delay_alu instid0(VALU_DEP_4) | instskip(SKIP_1) | instid1(SALU_CYCLE_1)
	v_lshlrev_b64 v[17:18], 3, v[17:18]
	s_add_i32 s4, s4, 3
	s_cmp_eq_u32 s4, 15
	s_delay_alu instid0(VALU_DEP_1) | instskip(NEXT) | instid1(VALU_DEP_2)
	v_add_co_u32 v17, vcc_lo, s8, v17
	v_add_co_ci_u32_e32 v18, vcc_lo, s9, v18, vcc_lo
	v_add_co_u32 v30, vcc_lo, s8, v30
	v_add_co_ci_u32_e32 v31, vcc_lo, s9, v31, vcc_lo
	global_load_b64 v[28:29], v[28:29], off
	s_clause 0x1
	global_load_b64 v[17:18], v[17:18], off
	global_load_b64 v[30:31], v[30:31], off
	v_add_nc_u32_e32 v20, 1, v3
	v_add_nc_u32_e32 v3, 2, v3
	s_waitcnt vmcnt(2)
	v_fmac_f32_e32 v15, v26, v28
	s_waitcnt vmcnt(1)
	v_fmac_f32_e32 v14, v18, v28
	v_lshlrev_b64 v[19:20], 3, v[20:21]
	v_add_co_u32 v21, vcc_lo, s8, v22
	v_add_co_ci_u32_e32 v22, vcc_lo, s9, v23, vcc_lo
	v_add_co_u32 v23, vcc_lo, s8, v24
	v_add_co_ci_u32_e32 v24, vcc_lo, s9, v25, vcc_lo
	v_add_co_u32 v19, vcc_lo, s10, v19
	v_lshlrev_b64 v[32:33], 3, v[3:4]
	v_add_co_ci_u32_e32 v20, vcc_lo, s11, v20, vcc_lo
	v_dual_fmac_f32 v12, v27, v28 :: v_dual_add_nc_u32 v3, 17, v34
	global_load_b64 v[21:22], v[21:22], off
	global_load_b64 v[19:20], v[19:20], off
	v_add_co_u32 v32, vcc_lo, s10, v32
	v_fmac_f32_e32 v12, v26, v29
	v_lshlrev_b64 v[34:35], 3, v[3:4]
	v_add_co_ci_u32_e32 v33, vcc_lo, s11, v33, vcc_lo
	v_fmac_f32_e32 v16, v17, v28
	v_fma_f32 v3, -v27, v29, v15
	v_fmac_f32_e32 v14, v17, v29
	v_add_co_u32 v34, vcc_lo, s8, v34
	v_add_co_ci_u32_e32 v35, vcc_lo, s9, v35, vcc_lo
	global_load_b64 v[23:24], v[23:24], off
	global_load_b64 v[32:33], v[32:33], off
	;; [unrolled: 1-line block ×3, first 2 shown]
	v_fma_f32 v15, -v18, v29, v16
	s_waitcnt vmcnt(3)
	v_fmac_f32_e32 v3, v30, v19
	v_fmac_f32_e32 v12, v31, v19
	s_delay_alu instid0(VALU_DEP_3) | instskip(NEXT) | instid1(VALU_DEP_3)
	v_fmac_f32_e32 v15, v21, v19
	v_fma_f32 v3, -v31, v20, v3
	s_delay_alu instid0(VALU_DEP_3) | instskip(SKIP_1) | instid1(VALU_DEP_4)
	v_fmac_f32_e32 v12, v30, v20
	v_fmac_f32_e32 v14, v22, v19
	v_fma_f32 v16, -v22, v20, v15
	s_waitcnt vmcnt(1)
	v_fmac_f32_e32 v3, v23, v32
	s_delay_alu instid0(VALU_DEP_3)
	v_fmac_f32_e32 v14, v21, v20
	v_fmac_f32_e32 v12, v24, v32
	s_waitcnt vmcnt(0)
	v_fmac_f32_e32 v16, v34, v32
	v_fma_f32 v15, -v24, v33, v3
	v_fmac_f32_e32 v14, v35, v32
	v_fmac_f32_e32 v12, v23, v33
	s_delay_alu instid0(VALU_DEP_4) | instskip(NEXT) | instid1(VALU_DEP_3)
	v_fma_f32 v16, -v35, v33, v16
	v_fmac_f32_e32 v14, v34, v33
	s_cbranch_scc0 .LBB217_24
; %bb.25:                               ;   in Loop: Header=BB217_23 Depth=1
	v_add_nc_u32_e32 v2, 4, v2
	v_add_nc_u32_e32 v5, 0x78, v5
	;; [unrolled: 1-line block ×3, first 2 shown]
	s_delay_alu instid0(VALU_DEP_3) | instskip(SKIP_1) | instid1(SALU_CYCLE_1)
	v_cmp_ge_i32_e32 vcc_lo, v2, v13
	s_or_b32 s2, vcc_lo, s2
	s_and_not1_b32 exec_lo, exec_lo, s2
	s_cbranch_execnz .LBB217_23
; %bb.26:
	s_or_b32 exec_lo, exec_lo, s2
.LBB217_27:
	s_delay_alu instid0(SALU_CYCLE_1)
	s_or_b32 exec_lo, exec_lo, s3
.LBB217_28:
	v_mbcnt_lo_u32_b32 v2, -1, 0
	s_delay_alu instid0(VALU_DEP_1) | instskip(SKIP_1) | instid1(VALU_DEP_2)
	v_xor_b32_e32 v3, 2, v2
	v_xor_b32_e32 v7, 1, v2
	v_cmp_gt_i32_e32 vcc_lo, 32, v3
	v_cndmask_b32_e32 v3, v2, v3, vcc_lo
	s_delay_alu instid0(VALU_DEP_3) | instskip(NEXT) | instid1(VALU_DEP_2)
	v_cmp_gt_i32_e32 vcc_lo, 32, v7
	v_lshlrev_b32_e32 v3, 2, v3
	v_cndmask_b32_e32 v2, v2, v7, vcc_lo
	v_cmp_eq_u32_e32 vcc_lo, 3, v0
	ds_bpermute_b32 v6, v3, v16
	v_lshlrev_b32_e32 v7, 2, v2
	s_waitcnt lgkmcnt(0)
	v_add_f32_e32 v2, v16, v6
	ds_bpermute_b32 v4, v3, v15
	ds_bpermute_b32 v5, v3, v12
	;; [unrolled: 1-line block ×4, first 2 shown]
	s_waitcnt lgkmcnt(2)
	v_dual_add_f32 v4, v15, v4 :: v_dual_add_f32 v5, v12, v5
	s_waitcnt lgkmcnt(1)
	v_add_f32_e32 v3, v14, v3
	ds_bpermute_b32 v12, v7, v4
	ds_bpermute_b32 v13, v7, v5
	;; [unrolled: 1-line block ×3, first 2 shown]
	s_and_b32 exec_lo, exec_lo, vcc_lo
	s_cbranch_execz .LBB217_33
; %bb.29:
	s_load_b64 s[2:3], s[0:1], 0x38
	v_cmp_eq_f32_e32 vcc_lo, 0, v10
	v_cmp_eq_f32_e64 s0, 0, v11
	s_waitcnt lgkmcnt(0)
	v_dual_add_f32 v0, v4, v12 :: v_dual_add_f32 v3, v3, v7
	v_add_f32_e32 v4, v5, v13
	v_add_f32_e32 v2, v2, v6
	s_and_b32 s0, vcc_lo, s0
	s_delay_alu instid0(SALU_CYCLE_1) | instskip(NEXT) | instid1(SALU_CYCLE_1)
	s_and_saveexec_b32 s1, s0
	s_xor_b32 s0, exec_lo, s1
	s_cbranch_execz .LBB217_31
; %bb.30:
	v_mul_f32_e64 v10, v4, -v9
	v_lshlrev_b32_e32 v5, 1, v1
	v_mul_f32_e32 v11, v4, v8
	v_mul_f32_e64 v12, v3, -v9
	v_mul_f32_e32 v13, v3, v8
	v_fmac_f32_e32 v10, v8, v0
	v_ashrrev_i32_e32 v6, 31, v5
	s_delay_alu instid0(VALU_DEP_4) | instskip(NEXT) | instid1(VALU_DEP_4)
	v_dual_fmac_f32 v11, v9, v0 :: v_dual_fmac_f32 v12, v8, v2
	v_fmac_f32_e32 v13, v9, v2
                                        ; implicit-def: $vgpr8
                                        ; implicit-def: $vgpr9
                                        ; implicit-def: $vgpr2
                                        ; implicit-def: $vgpr3
	s_delay_alu instid0(VALU_DEP_3) | instskip(NEXT) | instid1(VALU_DEP_1)
	v_lshlrev_b64 v[4:5], 3, v[5:6]
	v_add_co_u32 v0, vcc_lo, s2, v4
	s_delay_alu instid0(VALU_DEP_2)
	v_add_co_ci_u32_e32 v1, vcc_lo, s3, v5, vcc_lo
                                        ; implicit-def: $vgpr4
	global_store_b128 v[0:1], v[10:13], off
                                        ; implicit-def: $vgpr10
                                        ; implicit-def: $vgpr11
                                        ; implicit-def: $vgpr1
                                        ; implicit-def: $vgpr0
.LBB217_31:
	s_and_not1_saveexec_b32 s0, s0
	s_cbranch_execz .LBB217_33
; %bb.32:
	v_lshlrev_b32_e32 v5, 1, v1
	v_mul_f32_e64 v7, v4, -v9
	v_mul_f32_e32 v1, v4, v8
	v_mul_f32_e64 v4, v3, -v9
	v_mul_f32_e32 v3, v3, v8
	s_delay_alu instid0(VALU_DEP_4) | instskip(NEXT) | instid1(VALU_DEP_3)
	v_fmac_f32_e32 v7, v8, v0
	v_fmac_f32_e32 v4, v8, v2
	v_ashrrev_i32_e32 v6, 31, v5
	s_delay_alu instid0(VALU_DEP_4) | instskip(NEXT) | instid1(VALU_DEP_2)
	v_fmac_f32_e32 v3, v9, v2
	v_lshlrev_b64 v[5:6], 3, v[5:6]
	s_delay_alu instid0(VALU_DEP_1) | instskip(NEXT) | instid1(VALU_DEP_2)
	v_add_co_u32 v5, vcc_lo, s2, v5
	v_add_co_ci_u32_e32 v6, vcc_lo, s3, v6, vcc_lo
	global_load_b128 v[12:15], v[5:6], off
	s_waitcnt vmcnt(0)
	v_dual_fmac_f32 v4, v10, v14 :: v_dual_fmac_f32 v1, v9, v0
	v_fmac_f32_e32 v7, v10, v12
	v_fmac_f32_e32 v3, v11, v14
	s_delay_alu instid0(VALU_DEP_3) | instskip(NEXT) | instid1(VALU_DEP_4)
	v_fma_f32 v2, -v11, v15, v4
	v_fmac_f32_e32 v1, v11, v12
	s_delay_alu instid0(VALU_DEP_4) | instskip(NEXT) | instid1(VALU_DEP_4)
	v_fma_f32 v0, -v11, v13, v7
	v_fmac_f32_e32 v3, v10, v15
	s_delay_alu instid0(VALU_DEP_3)
	v_fmac_f32_e32 v1, v10, v13
	global_store_b128 v[5:6], v[0:3], off
.LBB217_33:
	s_nop 0
	s_sendmsg sendmsg(MSG_DEALLOC_VGPRS)
	s_endpgm
	.section	.rodata,"a",@progbits
	.p2align	6, 0x0
	.amdhsa_kernel _ZN9rocsparseL19gebsrmvn_2xn_kernelILj128ELj15ELj4E21rocsparse_complex_numIfEEEvi20rocsparse_direction_NS_24const_host_device_scalarIT2_EEPKiS8_PKS5_SA_S6_PS5_21rocsparse_index_base_b
		.amdhsa_group_segment_fixed_size 0
		.amdhsa_private_segment_fixed_size 0
		.amdhsa_kernarg_size 72
		.amdhsa_user_sgpr_count 15
		.amdhsa_user_sgpr_dispatch_ptr 0
		.amdhsa_user_sgpr_queue_ptr 0
		.amdhsa_user_sgpr_kernarg_segment_ptr 1
		.amdhsa_user_sgpr_dispatch_id 0
		.amdhsa_user_sgpr_private_segment_size 0
		.amdhsa_wavefront_size32 1
		.amdhsa_uses_dynamic_stack 0
		.amdhsa_enable_private_segment 0
		.amdhsa_system_sgpr_workgroup_id_x 1
		.amdhsa_system_sgpr_workgroup_id_y 0
		.amdhsa_system_sgpr_workgroup_id_z 0
		.amdhsa_system_sgpr_workgroup_info 0
		.amdhsa_system_vgpr_workitem_id 0
		.amdhsa_next_free_vgpr 38
		.amdhsa_next_free_sgpr 16
		.amdhsa_reserve_vcc 1
		.amdhsa_float_round_mode_32 0
		.amdhsa_float_round_mode_16_64 0
		.amdhsa_float_denorm_mode_32 3
		.amdhsa_float_denorm_mode_16_64 3
		.amdhsa_dx10_clamp 1
		.amdhsa_ieee_mode 1
		.amdhsa_fp16_overflow 0
		.amdhsa_workgroup_processor_mode 1
		.amdhsa_memory_ordered 1
		.amdhsa_forward_progress 0
		.amdhsa_shared_vgpr_count 0
		.amdhsa_exception_fp_ieee_invalid_op 0
		.amdhsa_exception_fp_denorm_src 0
		.amdhsa_exception_fp_ieee_div_zero 0
		.amdhsa_exception_fp_ieee_overflow 0
		.amdhsa_exception_fp_ieee_underflow 0
		.amdhsa_exception_fp_ieee_inexact 0
		.amdhsa_exception_int_div_zero 0
	.end_amdhsa_kernel
	.section	.text._ZN9rocsparseL19gebsrmvn_2xn_kernelILj128ELj15ELj4E21rocsparse_complex_numIfEEEvi20rocsparse_direction_NS_24const_host_device_scalarIT2_EEPKiS8_PKS5_SA_S6_PS5_21rocsparse_index_base_b,"axG",@progbits,_ZN9rocsparseL19gebsrmvn_2xn_kernelILj128ELj15ELj4E21rocsparse_complex_numIfEEEvi20rocsparse_direction_NS_24const_host_device_scalarIT2_EEPKiS8_PKS5_SA_S6_PS5_21rocsparse_index_base_b,comdat
.Lfunc_end217:
	.size	_ZN9rocsparseL19gebsrmvn_2xn_kernelILj128ELj15ELj4E21rocsparse_complex_numIfEEEvi20rocsparse_direction_NS_24const_host_device_scalarIT2_EEPKiS8_PKS5_SA_S6_PS5_21rocsparse_index_base_b, .Lfunc_end217-_ZN9rocsparseL19gebsrmvn_2xn_kernelILj128ELj15ELj4E21rocsparse_complex_numIfEEEvi20rocsparse_direction_NS_24const_host_device_scalarIT2_EEPKiS8_PKS5_SA_S6_PS5_21rocsparse_index_base_b
                                        ; -- End function
	.section	.AMDGPU.csdata,"",@progbits
; Kernel info:
; codeLenInByte = 2168
; NumSgprs: 18
; NumVgprs: 38
; ScratchSize: 0
; MemoryBound: 0
; FloatMode: 240
; IeeeMode: 1
; LDSByteSize: 0 bytes/workgroup (compile time only)
; SGPRBlocks: 2
; VGPRBlocks: 4
; NumSGPRsForWavesPerEU: 18
; NumVGPRsForWavesPerEU: 38
; Occupancy: 16
; WaveLimiterHint : 1
; COMPUTE_PGM_RSRC2:SCRATCH_EN: 0
; COMPUTE_PGM_RSRC2:USER_SGPR: 15
; COMPUTE_PGM_RSRC2:TRAP_HANDLER: 0
; COMPUTE_PGM_RSRC2:TGID_X_EN: 1
; COMPUTE_PGM_RSRC2:TGID_Y_EN: 0
; COMPUTE_PGM_RSRC2:TGID_Z_EN: 0
; COMPUTE_PGM_RSRC2:TIDIG_COMP_CNT: 0
	.section	.text._ZN9rocsparseL19gebsrmvn_2xn_kernelILj128ELj15ELj8E21rocsparse_complex_numIfEEEvi20rocsparse_direction_NS_24const_host_device_scalarIT2_EEPKiS8_PKS5_SA_S6_PS5_21rocsparse_index_base_b,"axG",@progbits,_ZN9rocsparseL19gebsrmvn_2xn_kernelILj128ELj15ELj8E21rocsparse_complex_numIfEEEvi20rocsparse_direction_NS_24const_host_device_scalarIT2_EEPKiS8_PKS5_SA_S6_PS5_21rocsparse_index_base_b,comdat
	.globl	_ZN9rocsparseL19gebsrmvn_2xn_kernelILj128ELj15ELj8E21rocsparse_complex_numIfEEEvi20rocsparse_direction_NS_24const_host_device_scalarIT2_EEPKiS8_PKS5_SA_S6_PS5_21rocsparse_index_base_b ; -- Begin function _ZN9rocsparseL19gebsrmvn_2xn_kernelILj128ELj15ELj8E21rocsparse_complex_numIfEEEvi20rocsparse_direction_NS_24const_host_device_scalarIT2_EEPKiS8_PKS5_SA_S6_PS5_21rocsparse_index_base_b
	.p2align	8
	.type	_ZN9rocsparseL19gebsrmvn_2xn_kernelILj128ELj15ELj8E21rocsparse_complex_numIfEEEvi20rocsparse_direction_NS_24const_host_device_scalarIT2_EEPKiS8_PKS5_SA_S6_PS5_21rocsparse_index_base_b,@function
_ZN9rocsparseL19gebsrmvn_2xn_kernelILj128ELj15ELj8E21rocsparse_complex_numIfEEEvi20rocsparse_direction_NS_24const_host_device_scalarIT2_EEPKiS8_PKS5_SA_S6_PS5_21rocsparse_index_base_b: ; @_ZN9rocsparseL19gebsrmvn_2xn_kernelILj128ELj15ELj8E21rocsparse_complex_numIfEEEvi20rocsparse_direction_NS_24const_host_device_scalarIT2_EEPKiS8_PKS5_SA_S6_PS5_21rocsparse_index_base_b
; %bb.0:
	s_clause 0x2
	s_load_b64 s[12:13], s[0:1], 0x40
	s_load_b64 s[4:5], s[0:1], 0x8
	;; [unrolled: 1-line block ×3, first 2 shown]
	s_waitcnt lgkmcnt(0)
	s_bitcmp1_b32 s13, 0
	v_mov_b32_e32 v8, s4
	s_cselect_b32 s6, -1, 0
	s_delay_alu instid0(SALU_CYCLE_1)
	s_and_b32 vcc_lo, exec_lo, s6
	s_xor_b32 s6, s6, -1
	s_cbranch_vccz .LBB218_17
; %bb.1:
	v_cndmask_b32_e64 v1, 0, 1, s6
	v_mov_b32_e32 v9, s5
	s_and_not1_b32 vcc_lo, exec_lo, s6
	s_cbranch_vccz .LBB218_18
.LBB218_2:
	s_delay_alu instid0(VALU_DEP_2)
	v_cmp_ne_u32_e32 vcc_lo, 1, v1
	v_mov_b32_e32 v10, s2
	s_cbranch_vccz .LBB218_19
.LBB218_3:
	v_cmp_ne_u32_e32 vcc_lo, 1, v1
	v_mov_b32_e32 v11, s3
	s_cbranch_vccnz .LBB218_5
.LBB218_4:
	v_dual_mov_b32 v1, s2 :: v_dual_mov_b32 v2, s3
	flat_load_b32 v11, v[1:2] offset:4
.LBB218_5:
	s_waitcnt vmcnt(0) lgkmcnt(0)
	v_cmp_eq_f32_e32 vcc_lo, 0, v8
	v_cmp_eq_f32_e64 s2, 0, v9
	s_delay_alu instid0(VALU_DEP_1)
	s_and_b32 s4, vcc_lo, s2
	s_mov_b32 s2, -1
	s_and_saveexec_b32 s3, s4
; %bb.6:
	v_cmp_neq_f32_e32 vcc_lo, 1.0, v10
	v_cmp_neq_f32_e64 s2, 0, v11
	s_delay_alu instid0(VALU_DEP_1) | instskip(NEXT) | instid1(SALU_CYCLE_1)
	s_or_b32 s2, vcc_lo, s2
	s_or_not1_b32 s2, s2, exec_lo
; %bb.7:
	s_or_b32 exec_lo, exec_lo, s3
	s_and_saveexec_b32 s3, s2
	s_cbranch_execz .LBB218_33
; %bb.8:
	s_load_b64 s[2:3], s[0:1], 0x0
	v_lshrrev_b32_e32 v1, 3, v0
	s_delay_alu instid0(VALU_DEP_1) | instskip(SKIP_1) | instid1(VALU_DEP_1)
	v_lshl_or_b32 v1, s15, 4, v1
	s_waitcnt lgkmcnt(0)
	v_cmp_gt_i32_e32 vcc_lo, s2, v1
	s_and_b32 exec_lo, exec_lo, vcc_lo
	s_cbranch_execz .LBB218_33
; %bb.9:
	s_load_b256 s[4:11], s[0:1], 0x10
	v_ashrrev_i32_e32 v2, 31, v1
	v_and_b32_e32 v0, 7, v0
	s_cmp_lg_u32 s3, 0
	s_delay_alu instid0(VALU_DEP_2) | instskip(SKIP_1) | instid1(VALU_DEP_1)
	v_lshlrev_b64 v[2:3], 2, v[1:2]
	s_waitcnt lgkmcnt(0)
	v_add_co_u32 v2, vcc_lo, s4, v2
	s_delay_alu instid0(VALU_DEP_2) | instskip(SKIP_4) | instid1(VALU_DEP_2)
	v_add_co_ci_u32_e32 v3, vcc_lo, s5, v3, vcc_lo
	global_load_b64 v[3:4], v[2:3], off
	s_waitcnt vmcnt(0)
	v_subrev_nc_u32_e32 v2, s12, v3
	v_subrev_nc_u32_e32 v14, s12, v4
	v_add_nc_u32_e32 v2, v2, v0
	s_delay_alu instid0(VALU_DEP_1)
	v_cmp_lt_i32_e64 s2, v2, v14
	s_cbranch_scc0 .LBB218_20
; %bb.10:
	v_dual_mov_b32 v12, 0 :: v_dual_mov_b32 v15, 0
	v_dual_mov_b32 v16, 0 :: v_dual_mov_b32 v13, 0
	s_mov_b32 s3, 0
	s_and_saveexec_b32 s4, s2
	s_cbranch_execz .LBB218_16
; %bb.11:
	v_mul_lo_u32 v17, v2, 30
	v_dual_mov_b32 v5, 0 :: v_dual_mov_b32 v6, v2
	v_dual_mov_b32 v12, 0 :: v_dual_mov_b32 v15, 0
	;; [unrolled: 1-line block ×3, first 2 shown]
	s_mov_b32 s5, 0
.LBB218_12:                             ; =>This Loop Header: Depth=1
                                        ;     Child Loop BB218_13 Depth 2
	s_delay_alu instid0(VALU_DEP_3) | instskip(SKIP_1) | instid1(VALU_DEP_1)
	v_ashrrev_i32_e32 v7, 31, v6
	s_mov_b32 s13, 0
	v_lshlrev_b64 v[18:19], 2, v[6:7]
	s_delay_alu instid0(VALU_DEP_1) | instskip(NEXT) | instid1(VALU_DEP_2)
	v_add_co_u32 v18, vcc_lo, s6, v18
	v_add_co_ci_u32_e32 v19, vcc_lo, s7, v19, vcc_lo
	global_load_b32 v4, v[18:19], off
	s_waitcnt vmcnt(0)
	v_subrev_nc_u32_e32 v4, s12, v4
	s_delay_alu instid0(VALU_DEP_1)
	v_mul_lo_u32 v7, v4, 15
	v_mov_b32_e32 v4, v17
.LBB218_13:                             ;   Parent Loop BB218_12 Depth=1
                                        ; =>  This Inner Loop Header: Depth=2
	s_delay_alu instid0(VALU_DEP_2) | instskip(NEXT) | instid1(VALU_DEP_2)
	v_dual_mov_b32 v21, v5 :: v_dual_add_nc_u32 v20, s13, v7
	v_dual_mov_b32 v23, v5 :: v_dual_add_nc_u32 v22, 2, v4
	v_lshlrev_b64 v[18:19], 3, v[4:5]
	v_dual_mov_b32 v24, v5 :: v_dual_add_nc_u32 v25, 4, v4
	s_delay_alu instid0(VALU_DEP_4)
	v_lshlrev_b64 v[28:29], 3, v[20:21]
	v_mov_b32_e32 v26, v5
	v_lshlrev_b64 v[30:31], 3, v[22:23]
	v_add_nc_u32_e32 v23, 1, v20
	v_add_co_u32 v18, vcc_lo, s8, v18
	v_add_co_ci_u32_e32 v19, vcc_lo, s9, v19, vcc_lo
	v_lshlrev_b64 v[32:33], 3, v[25:26]
	s_delay_alu instid0(VALU_DEP_4)
	v_lshlrev_b64 v[22:23], 3, v[23:24]
	v_add_co_u32 v24, vcc_lo, s10, v28
	v_add_co_ci_u32_e32 v25, vcc_lo, s11, v29, vcc_lo
	v_add_co_u32 v28, vcc_lo, s8, v30
	v_add_co_ci_u32_e32 v29, vcc_lo, s9, v31, vcc_lo
	v_add_co_u32 v30, vcc_lo, s8, v32
	v_dual_mov_b32 v27, v5 :: v_dual_add_nc_u32 v26, 2, v20
	global_load_b128 v[18:21], v[18:19], off
	v_add_co_ci_u32_e32 v31, vcc_lo, s9, v33, vcc_lo
	global_load_b64 v[32:33], v[24:25], off
	v_add_co_u32 v34, vcc_lo, s10, v22
	v_add_co_ci_u32_e32 v35, vcc_lo, s11, v23, vcc_lo
	v_lshlrev_b64 v[26:27], 3, v[26:27]
	s_add_i32 s13, s13, 3
	v_add_nc_u32_e32 v4, 6, v4
	global_load_b64 v[34:35], v[34:35], off
	global_load_b128 v[22:25], v[28:29], off
	s_cmp_eq_u32 s13, 15
	v_add_co_u32 v36, vcc_lo, s10, v26
	v_add_co_ci_u32_e32 v37, vcc_lo, s11, v27, vcc_lo
	global_load_b128 v[26:29], v[30:31], off
	global_load_b64 v[30:31], v[36:37], off
	s_waitcnt vmcnt(4)
	v_fmac_f32_e32 v13, v21, v32
	s_delay_alu instid0(VALU_DEP_1) | instskip(NEXT) | instid1(VALU_DEP_1)
	v_dual_fmac_f32 v12, v19, v32 :: v_dual_fmac_f32 v13, v20, v33
	v_fmac_f32_e32 v12, v18, v33
	s_waitcnt vmcnt(2)
	s_delay_alu instid0(VALU_DEP_1) | instskip(NEXT) | instid1(VALU_DEP_1)
	v_dual_fmac_f32 v15, v18, v32 :: v_dual_fmac_f32 v12, v23, v34
	v_fma_f32 v15, -v19, v33, v15
	v_dual_fmac_f32 v16, v20, v32 :: v_dual_fmac_f32 v13, v25, v34
	s_delay_alu instid0(VALU_DEP_3) | instskip(NEXT) | instid1(VALU_DEP_3)
	v_fmac_f32_e32 v12, v22, v35
	v_fmac_f32_e32 v15, v22, v34
	s_delay_alu instid0(VALU_DEP_3) | instskip(SKIP_1) | instid1(VALU_DEP_3)
	v_fma_f32 v16, -v21, v33, v16
	s_waitcnt vmcnt(0)
	v_dual_fmac_f32 v13, v24, v35 :: v_dual_fmac_f32 v12, v27, v30
	s_delay_alu instid0(VALU_DEP_3) | instskip(NEXT) | instid1(VALU_DEP_3)
	v_fma_f32 v15, -v23, v35, v15
	v_fmac_f32_e32 v16, v24, v34
	s_delay_alu instid0(VALU_DEP_3) | instskip(NEXT) | instid1(VALU_DEP_3)
	v_dual_fmac_f32 v13, v29, v30 :: v_dual_fmac_f32 v12, v26, v31
	v_fmac_f32_e32 v15, v26, v30
	s_delay_alu instid0(VALU_DEP_3) | instskip(NEXT) | instid1(VALU_DEP_3)
	v_fma_f32 v16, -v25, v35, v16
	v_fmac_f32_e32 v13, v28, v31
	s_delay_alu instid0(VALU_DEP_3) | instskip(NEXT) | instid1(VALU_DEP_3)
	v_fma_f32 v15, -v27, v31, v15
	v_fmac_f32_e32 v16, v28, v30
	s_delay_alu instid0(VALU_DEP_1)
	v_fma_f32 v16, -v29, v31, v16
	s_cbranch_scc0 .LBB218_13
; %bb.14:                               ;   in Loop: Header=BB218_12 Depth=1
	v_add_nc_u32_e32 v6, 8, v6
	v_add_nc_u32_e32 v17, 0xf0, v17
	s_delay_alu instid0(VALU_DEP_2) | instskip(SKIP_1) | instid1(SALU_CYCLE_1)
	v_cmp_ge_i32_e32 vcc_lo, v6, v14
	s_or_b32 s5, vcc_lo, s5
	s_and_not1_b32 exec_lo, exec_lo, s5
	s_cbranch_execnz .LBB218_12
; %bb.15:
	s_or_b32 exec_lo, exec_lo, s5
.LBB218_16:
	s_delay_alu instid0(SALU_CYCLE_1) | instskip(NEXT) | instid1(SALU_CYCLE_1)
	s_or_b32 exec_lo, exec_lo, s4
	s_and_not1_b32 vcc_lo, exec_lo, s3
	s_cbranch_vccz .LBB218_21
	s_branch .LBB218_28
.LBB218_17:
	v_dual_mov_b32 v1, s4 :: v_dual_mov_b32 v2, s5
	flat_load_b32 v8, v[1:2]
	v_cndmask_b32_e64 v1, 0, 1, s6
	v_mov_b32_e32 v9, s5
	s_and_not1_b32 vcc_lo, exec_lo, s6
	s_cbranch_vccnz .LBB218_2
.LBB218_18:
	v_dual_mov_b32 v2, s4 :: v_dual_mov_b32 v3, s5
	flat_load_b32 v9, v[2:3] offset:4
	v_cmp_ne_u32_e32 vcc_lo, 1, v1
	v_mov_b32_e32 v10, s2
	s_cbranch_vccnz .LBB218_3
.LBB218_19:
	v_dual_mov_b32 v2, s2 :: v_dual_mov_b32 v3, s3
	flat_load_b32 v10, v[2:3]
	v_cmp_ne_u32_e32 vcc_lo, 1, v1
	v_mov_b32_e32 v11, s3
	s_cbranch_vccz .LBB218_4
	s_branch .LBB218_5
.LBB218_20:
                                        ; implicit-def: $vgpr12
                                        ; implicit-def: $vgpr15
                                        ; implicit-def: $vgpr16
                                        ; implicit-def: $vgpr13
.LBB218_21:
	v_dual_mov_b32 v12, 0 :: v_dual_mov_b32 v15, 0
	v_dual_mov_b32 v16, 0 :: v_dual_mov_b32 v13, 0
	s_delay_alu instid0(VALU_DEP_3)
	s_and_saveexec_b32 s3, s2
	s_cbranch_execz .LBB218_27
; %bb.22:
	v_mul_lo_u32 v3, v3, 30
	v_mul_lo_u32 v5, v2, 30
	s_mul_i32 s2, s12, 30
	v_dual_mov_b32 v4, 0 :: v_dual_mov_b32 v15, 0
	v_dual_mov_b32 v12, 0 :: v_dual_mov_b32 v13, 0
	v_mov_b32_e32 v16, 0
	v_mad_u32_u24 v3, v0, 30, v3
	s_delay_alu instid0(VALU_DEP_1)
	v_subrev_nc_u32_e32 v6, s2, v3
	s_mov_b32 s2, 0
.LBB218_23:                             ; =>This Loop Header: Depth=1
                                        ;     Child Loop BB218_24 Depth 2
	v_ashrrev_i32_e32 v3, 31, v2
	s_mov_b32 s4, 0
	s_delay_alu instid0(VALU_DEP_1) | instskip(NEXT) | instid1(VALU_DEP_1)
	v_lshlrev_b64 v[17:18], 2, v[2:3]
	v_add_co_u32 v17, vcc_lo, s6, v17
	s_delay_alu instid0(VALU_DEP_2) | instskip(SKIP_3) | instid1(VALU_DEP_1)
	v_add_co_ci_u32_e32 v18, vcc_lo, s7, v18, vcc_lo
	global_load_b32 v3, v[17:18], off
	s_waitcnt vmcnt(0)
	v_subrev_nc_u32_e32 v3, s12, v3
	v_mul_lo_u32 v7, v3, 15
.LBB218_24:                             ;   Parent Loop BB218_23 Depth=1
                                        ; =>  This Inner Loop Header: Depth=2
	v_dual_mov_b32 v18, v4 :: v_dual_add_nc_u32 v3, s4, v6
	v_dual_mov_b32 v21, v4 :: v_dual_add_nc_u32 v34, s4, v5
	v_mov_b32_e32 v20, v4
	s_delay_alu instid0(VALU_DEP_3) | instskip(SKIP_1) | instid1(VALU_DEP_4)
	v_lshlrev_b64 v[26:27], 3, v[3:4]
	v_add_nc_u32_e32 v3, s4, v7
	v_add_nc_u32_e32 v19, 1, v34
	v_dual_mov_b32 v23, v4 :: v_dual_add_nc_u32 v22, 16, v34
	v_dual_mov_b32 v25, v4 :: v_dual_add_nc_u32 v24, 2, v34
	v_add_co_u32 v26, vcc_lo, s8, v26
	v_add_co_ci_u32_e32 v27, vcc_lo, s9, v27, vcc_lo
	v_lshlrev_b64 v[28:29], 3, v[3:4]
	v_lshlrev_b64 v[30:31], 3, v[19:20]
	;; [unrolled: 1-line block ×3, first 2 shown]
	global_load_b64 v[26:27], v[26:27], off
	v_add_nc_u32_e32 v17, 15, v34
	v_lshlrev_b64 v[24:25], 3, v[24:25]
	v_add_co_u32 v28, vcc_lo, s10, v28
	v_add_co_ci_u32_e32 v29, vcc_lo, s11, v29, vcc_lo
	s_delay_alu instid0(VALU_DEP_4) | instskip(SKIP_1) | instid1(SALU_CYCLE_1)
	v_lshlrev_b64 v[17:18], 3, v[17:18]
	s_add_i32 s4, s4, 3
	s_cmp_eq_u32 s4, 15
	s_delay_alu instid0(VALU_DEP_1) | instskip(NEXT) | instid1(VALU_DEP_2)
	v_add_co_u32 v17, vcc_lo, s8, v17
	v_add_co_ci_u32_e32 v18, vcc_lo, s9, v18, vcc_lo
	v_add_co_u32 v30, vcc_lo, s8, v30
	v_add_co_ci_u32_e32 v31, vcc_lo, s9, v31, vcc_lo
	global_load_b64 v[28:29], v[28:29], off
	s_clause 0x1
	global_load_b64 v[17:18], v[17:18], off
	global_load_b64 v[30:31], v[30:31], off
	s_waitcnt vmcnt(2)
	v_dual_fmac_f32 v15, v26, v28 :: v_dual_add_nc_u32 v20, 1, v3
	s_delay_alu instid0(VALU_DEP_1)
	v_lshlrev_b64 v[19:20], 3, v[20:21]
	v_add_co_u32 v21, vcc_lo, s8, v22
	v_add_co_ci_u32_e32 v22, vcc_lo, s9, v23, vcc_lo
	v_add_co_u32 v23, vcc_lo, s8, v24
	v_add_co_ci_u32_e32 v24, vcc_lo, s9, v25, vcc_lo
	;; [unrolled: 2-line block ×3, first 2 shown]
	v_dual_fmac_f32 v12, v27, v28 :: v_dual_add_nc_u32 v3, 2, v3
	global_load_b64 v[21:22], v[21:22], off
	global_load_b64 v[19:20], v[19:20], off
	s_waitcnt vmcnt(3)
	v_fmac_f32_e32 v16, v17, v28
	v_fmac_f32_e32 v12, v26, v29
	v_lshlrev_b64 v[32:33], 3, v[3:4]
	v_add_nc_u32_e32 v3, 17, v34
	s_delay_alu instid0(VALU_DEP_2) | instskip(NEXT) | instid1(VALU_DEP_3)
	v_add_co_u32 v32, vcc_lo, s10, v32
	v_add_co_ci_u32_e32 v33, vcc_lo, s11, v33, vcc_lo
	s_waitcnt vmcnt(0)
	v_fmac_f32_e32 v12, v31, v19
	v_lshlrev_b64 v[34:35], 3, v[3:4]
	v_fma_f32 v3, -v27, v29, v15
	v_fma_f32 v15, -v18, v29, v16
	s_delay_alu instid0(VALU_DEP_4) | instskip(NEXT) | instid1(VALU_DEP_4)
	v_fmac_f32_e32 v12, v30, v20
	v_add_co_u32 v34, vcc_lo, s8, v34
	v_add_co_ci_u32_e32 v35, vcc_lo, s9, v35, vcc_lo
	global_load_b64 v[23:24], v[23:24], off
	global_load_b64 v[32:33], v[32:33], off
	;; [unrolled: 1-line block ×3, first 2 shown]
	v_fmac_f32_e32 v15, v21, v19
	v_fmac_f32_e32 v3, v30, v19
	s_delay_alu instid0(VALU_DEP_2)
	v_fma_f32 v16, -v22, v20, v15
	s_waitcnt vmcnt(1)
	v_fmac_f32_e32 v12, v24, v32
	v_fmac_f32_e32 v13, v18, v28
	s_waitcnt vmcnt(0)
	v_fmac_f32_e32 v16, v34, v32
	v_fma_f32 v3, -v31, v20, v3
	v_fmac_f32_e32 v12, v23, v33
	v_fmac_f32_e32 v13, v17, v29
	s_delay_alu instid0(VALU_DEP_4) | instskip(NEXT) | instid1(VALU_DEP_4)
	v_fma_f32 v16, -v35, v33, v16
	v_fmac_f32_e32 v3, v23, v32
	s_delay_alu instid0(VALU_DEP_3) | instskip(NEXT) | instid1(VALU_DEP_2)
	v_fmac_f32_e32 v13, v22, v19
	v_fma_f32 v15, -v24, v33, v3
	s_delay_alu instid0(VALU_DEP_2) | instskip(NEXT) | instid1(VALU_DEP_1)
	v_fmac_f32_e32 v13, v21, v20
	v_fmac_f32_e32 v13, v35, v32
	s_delay_alu instid0(VALU_DEP_1)
	v_fmac_f32_e32 v13, v34, v33
	s_cbranch_scc0 .LBB218_24
; %bb.25:                               ;   in Loop: Header=BB218_23 Depth=1
	v_add_nc_u32_e32 v2, 8, v2
	v_add_nc_u32_e32 v5, 0xf0, v5
	v_add_nc_u32_e32 v6, 0xf0, v6
	s_delay_alu instid0(VALU_DEP_3) | instskip(SKIP_1) | instid1(SALU_CYCLE_1)
	v_cmp_ge_i32_e32 vcc_lo, v2, v14
	s_or_b32 s2, vcc_lo, s2
	s_and_not1_b32 exec_lo, exec_lo, s2
	s_cbranch_execnz .LBB218_23
; %bb.26:
	s_or_b32 exec_lo, exec_lo, s2
.LBB218_27:
	s_delay_alu instid0(SALU_CYCLE_1)
	s_or_b32 exec_lo, exec_lo, s3
.LBB218_28:
	v_mbcnt_lo_u32_b32 v2, -1, 0
	s_delay_alu instid0(VALU_DEP_1) | instskip(SKIP_1) | instid1(VALU_DEP_2)
	v_xor_b32_e32 v3, 4, v2
	v_xor_b32_e32 v7, 2, v2
	v_cmp_gt_i32_e32 vcc_lo, 32, v3
	v_cndmask_b32_e32 v3, v2, v3, vcc_lo
	s_delay_alu instid0(VALU_DEP_3) | instskip(NEXT) | instid1(VALU_DEP_2)
	v_cmp_gt_i32_e32 vcc_lo, 32, v7
	v_lshlrev_b32_e32 v3, 2, v3
	ds_bpermute_b32 v6, v3, v16
	s_waitcnt lgkmcnt(0)
	v_add_f32_e32 v6, v16, v6
	ds_bpermute_b32 v4, v3, v15
	ds_bpermute_b32 v5, v3, v12
	ds_bpermute_b32 v3, v3, v13
	s_waitcnt lgkmcnt(2)
	v_dual_add_f32 v4, v15, v4 :: v_dual_cndmask_b32 v7, v2, v7
	v_xor_b32_e32 v15, 1, v2
	s_waitcnt lgkmcnt(0)
	v_add_f32_e32 v3, v13, v3
	s_delay_alu instid0(VALU_DEP_3) | instskip(NEXT) | instid1(VALU_DEP_3)
	v_lshlrev_b32_e32 v7, 2, v7
	v_cmp_gt_i32_e32 vcc_lo, 32, v15
	v_add_f32_e32 v5, v12, v5
	ds_bpermute_b32 v14, v7, v6
	v_cndmask_b32_e32 v2, v2, v15, vcc_lo
	v_cmp_eq_u32_e32 vcc_lo, 7, v0
	s_delay_alu instid0(VALU_DEP_2)
	v_lshlrev_b32_e32 v15, 2, v2
	s_waitcnt lgkmcnt(0)
	v_add_f32_e32 v2, v6, v14
	ds_bpermute_b32 v12, v7, v4
	ds_bpermute_b32 v13, v7, v5
	;; [unrolled: 1-line block ×4, first 2 shown]
	s_waitcnt lgkmcnt(2)
	v_dual_add_f32 v4, v4, v12 :: v_dual_add_f32 v5, v5, v13
	s_waitcnt lgkmcnt(1)
	v_add_f32_e32 v3, v3, v7
	ds_bpermute_b32 v12, v15, v4
	ds_bpermute_b32 v13, v15, v5
	;; [unrolled: 1-line block ×3, first 2 shown]
	s_and_b32 exec_lo, exec_lo, vcc_lo
	s_cbranch_execz .LBB218_33
; %bb.29:
	s_load_b64 s[2:3], s[0:1], 0x38
	v_cmp_eq_f32_e32 vcc_lo, 0, v10
	v_cmp_eq_f32_e64 s0, 0, v11
	s_waitcnt lgkmcnt(0)
	v_dual_add_f32 v0, v4, v12 :: v_dual_add_f32 v3, v3, v7
	v_add_f32_e32 v4, v5, v13
	v_add_f32_e32 v2, v2, v6
	s_and_b32 s0, vcc_lo, s0
	s_delay_alu instid0(SALU_CYCLE_1) | instskip(NEXT) | instid1(SALU_CYCLE_1)
	s_and_saveexec_b32 s1, s0
	s_xor_b32 s0, exec_lo, s1
	s_cbranch_execz .LBB218_31
; %bb.30:
	v_mul_f32_e64 v10, v4, -v9
	v_lshlrev_b32_e32 v5, 1, v1
	v_mul_f32_e32 v11, v4, v8
	v_mul_f32_e64 v12, v3, -v9
	v_mul_f32_e32 v13, v3, v8
	v_fmac_f32_e32 v10, v8, v0
	v_ashrrev_i32_e32 v6, 31, v5
	s_delay_alu instid0(VALU_DEP_4) | instskip(NEXT) | instid1(VALU_DEP_4)
	v_dual_fmac_f32 v11, v9, v0 :: v_dual_fmac_f32 v12, v8, v2
	v_fmac_f32_e32 v13, v9, v2
                                        ; implicit-def: $vgpr8
                                        ; implicit-def: $vgpr9
                                        ; implicit-def: $vgpr2
                                        ; implicit-def: $vgpr3
	s_delay_alu instid0(VALU_DEP_3) | instskip(NEXT) | instid1(VALU_DEP_1)
	v_lshlrev_b64 v[4:5], 3, v[5:6]
	v_add_co_u32 v0, vcc_lo, s2, v4
	s_delay_alu instid0(VALU_DEP_2)
	v_add_co_ci_u32_e32 v1, vcc_lo, s3, v5, vcc_lo
                                        ; implicit-def: $vgpr4
	global_store_b128 v[0:1], v[10:13], off
                                        ; implicit-def: $vgpr10
                                        ; implicit-def: $vgpr11
                                        ; implicit-def: $vgpr1
                                        ; implicit-def: $vgpr0
.LBB218_31:
	s_and_not1_saveexec_b32 s0, s0
	s_cbranch_execz .LBB218_33
; %bb.32:
	v_lshlrev_b32_e32 v5, 1, v1
	v_mul_f32_e64 v7, v4, -v9
	v_mul_f32_e32 v1, v4, v8
	v_mul_f32_e64 v4, v3, -v9
	v_mul_f32_e32 v3, v3, v8
	s_delay_alu instid0(VALU_DEP_4) | instskip(NEXT) | instid1(VALU_DEP_3)
	v_fmac_f32_e32 v7, v8, v0
	v_fmac_f32_e32 v4, v8, v2
	v_ashrrev_i32_e32 v6, 31, v5
	s_delay_alu instid0(VALU_DEP_4) | instskip(NEXT) | instid1(VALU_DEP_2)
	v_fmac_f32_e32 v3, v9, v2
	v_lshlrev_b64 v[5:6], 3, v[5:6]
	s_delay_alu instid0(VALU_DEP_1) | instskip(NEXT) | instid1(VALU_DEP_2)
	v_add_co_u32 v5, vcc_lo, s2, v5
	v_add_co_ci_u32_e32 v6, vcc_lo, s3, v6, vcc_lo
	global_load_b128 v[12:15], v[5:6], off
	s_waitcnt vmcnt(0)
	v_dual_fmac_f32 v4, v10, v14 :: v_dual_fmac_f32 v1, v9, v0
	v_fmac_f32_e32 v7, v10, v12
	v_fmac_f32_e32 v3, v11, v14
	s_delay_alu instid0(VALU_DEP_3) | instskip(NEXT) | instid1(VALU_DEP_4)
	v_fma_f32 v2, -v11, v15, v4
	v_fmac_f32_e32 v1, v11, v12
	s_delay_alu instid0(VALU_DEP_4) | instskip(NEXT) | instid1(VALU_DEP_4)
	v_fma_f32 v0, -v11, v13, v7
	v_fmac_f32_e32 v3, v10, v15
	s_delay_alu instid0(VALU_DEP_3)
	v_fmac_f32_e32 v1, v10, v13
	global_store_b128 v[5:6], v[0:3], off
.LBB218_33:
	s_nop 0
	s_sendmsg sendmsg(MSG_DEALLOC_VGPRS)
	s_endpgm
	.section	.rodata,"a",@progbits
	.p2align	6, 0x0
	.amdhsa_kernel _ZN9rocsparseL19gebsrmvn_2xn_kernelILj128ELj15ELj8E21rocsparse_complex_numIfEEEvi20rocsparse_direction_NS_24const_host_device_scalarIT2_EEPKiS8_PKS5_SA_S6_PS5_21rocsparse_index_base_b
		.amdhsa_group_segment_fixed_size 0
		.amdhsa_private_segment_fixed_size 0
		.amdhsa_kernarg_size 72
		.amdhsa_user_sgpr_count 15
		.amdhsa_user_sgpr_dispatch_ptr 0
		.amdhsa_user_sgpr_queue_ptr 0
		.amdhsa_user_sgpr_kernarg_segment_ptr 1
		.amdhsa_user_sgpr_dispatch_id 0
		.amdhsa_user_sgpr_private_segment_size 0
		.amdhsa_wavefront_size32 1
		.amdhsa_uses_dynamic_stack 0
		.amdhsa_enable_private_segment 0
		.amdhsa_system_sgpr_workgroup_id_x 1
		.amdhsa_system_sgpr_workgroup_id_y 0
		.amdhsa_system_sgpr_workgroup_id_z 0
		.amdhsa_system_sgpr_workgroup_info 0
		.amdhsa_system_vgpr_workitem_id 0
		.amdhsa_next_free_vgpr 38
		.amdhsa_next_free_sgpr 16
		.amdhsa_reserve_vcc 1
		.amdhsa_float_round_mode_32 0
		.amdhsa_float_round_mode_16_64 0
		.amdhsa_float_denorm_mode_32 3
		.amdhsa_float_denorm_mode_16_64 3
		.amdhsa_dx10_clamp 1
		.amdhsa_ieee_mode 1
		.amdhsa_fp16_overflow 0
		.amdhsa_workgroup_processor_mode 1
		.amdhsa_memory_ordered 1
		.amdhsa_forward_progress 0
		.amdhsa_shared_vgpr_count 0
		.amdhsa_exception_fp_ieee_invalid_op 0
		.amdhsa_exception_fp_denorm_src 0
		.amdhsa_exception_fp_ieee_div_zero 0
		.amdhsa_exception_fp_ieee_overflow 0
		.amdhsa_exception_fp_ieee_underflow 0
		.amdhsa_exception_fp_ieee_inexact 0
		.amdhsa_exception_int_div_zero 0
	.end_amdhsa_kernel
	.section	.text._ZN9rocsparseL19gebsrmvn_2xn_kernelILj128ELj15ELj8E21rocsparse_complex_numIfEEEvi20rocsparse_direction_NS_24const_host_device_scalarIT2_EEPKiS8_PKS5_SA_S6_PS5_21rocsparse_index_base_b,"axG",@progbits,_ZN9rocsparseL19gebsrmvn_2xn_kernelILj128ELj15ELj8E21rocsparse_complex_numIfEEEvi20rocsparse_direction_NS_24const_host_device_scalarIT2_EEPKiS8_PKS5_SA_S6_PS5_21rocsparse_index_base_b,comdat
.Lfunc_end218:
	.size	_ZN9rocsparseL19gebsrmvn_2xn_kernelILj128ELj15ELj8E21rocsparse_complex_numIfEEEvi20rocsparse_direction_NS_24const_host_device_scalarIT2_EEPKiS8_PKS5_SA_S6_PS5_21rocsparse_index_base_b, .Lfunc_end218-_ZN9rocsparseL19gebsrmvn_2xn_kernelILj128ELj15ELj8E21rocsparse_complex_numIfEEEvi20rocsparse_direction_NS_24const_host_device_scalarIT2_EEPKiS8_PKS5_SA_S6_PS5_21rocsparse_index_base_b
                                        ; -- End function
	.section	.AMDGPU.csdata,"",@progbits
; Kernel info:
; codeLenInByte = 2280
; NumSgprs: 18
; NumVgprs: 38
; ScratchSize: 0
; MemoryBound: 0
; FloatMode: 240
; IeeeMode: 1
; LDSByteSize: 0 bytes/workgroup (compile time only)
; SGPRBlocks: 2
; VGPRBlocks: 4
; NumSGPRsForWavesPerEU: 18
; NumVGPRsForWavesPerEU: 38
; Occupancy: 16
; WaveLimiterHint : 1
; COMPUTE_PGM_RSRC2:SCRATCH_EN: 0
; COMPUTE_PGM_RSRC2:USER_SGPR: 15
; COMPUTE_PGM_RSRC2:TRAP_HANDLER: 0
; COMPUTE_PGM_RSRC2:TGID_X_EN: 1
; COMPUTE_PGM_RSRC2:TGID_Y_EN: 0
; COMPUTE_PGM_RSRC2:TGID_Z_EN: 0
; COMPUTE_PGM_RSRC2:TIDIG_COMP_CNT: 0
	.section	.text._ZN9rocsparseL19gebsrmvn_2xn_kernelILj128ELj15ELj16E21rocsparse_complex_numIfEEEvi20rocsparse_direction_NS_24const_host_device_scalarIT2_EEPKiS8_PKS5_SA_S6_PS5_21rocsparse_index_base_b,"axG",@progbits,_ZN9rocsparseL19gebsrmvn_2xn_kernelILj128ELj15ELj16E21rocsparse_complex_numIfEEEvi20rocsparse_direction_NS_24const_host_device_scalarIT2_EEPKiS8_PKS5_SA_S6_PS5_21rocsparse_index_base_b,comdat
	.globl	_ZN9rocsparseL19gebsrmvn_2xn_kernelILj128ELj15ELj16E21rocsparse_complex_numIfEEEvi20rocsparse_direction_NS_24const_host_device_scalarIT2_EEPKiS8_PKS5_SA_S6_PS5_21rocsparse_index_base_b ; -- Begin function _ZN9rocsparseL19gebsrmvn_2xn_kernelILj128ELj15ELj16E21rocsparse_complex_numIfEEEvi20rocsparse_direction_NS_24const_host_device_scalarIT2_EEPKiS8_PKS5_SA_S6_PS5_21rocsparse_index_base_b
	.p2align	8
	.type	_ZN9rocsparseL19gebsrmvn_2xn_kernelILj128ELj15ELj16E21rocsparse_complex_numIfEEEvi20rocsparse_direction_NS_24const_host_device_scalarIT2_EEPKiS8_PKS5_SA_S6_PS5_21rocsparse_index_base_b,@function
_ZN9rocsparseL19gebsrmvn_2xn_kernelILj128ELj15ELj16E21rocsparse_complex_numIfEEEvi20rocsparse_direction_NS_24const_host_device_scalarIT2_EEPKiS8_PKS5_SA_S6_PS5_21rocsparse_index_base_b: ; @_ZN9rocsparseL19gebsrmvn_2xn_kernelILj128ELj15ELj16E21rocsparse_complex_numIfEEEvi20rocsparse_direction_NS_24const_host_device_scalarIT2_EEPKiS8_PKS5_SA_S6_PS5_21rocsparse_index_base_b
; %bb.0:
	s_clause 0x2
	s_load_b64 s[12:13], s[0:1], 0x40
	s_load_b64 s[4:5], s[0:1], 0x8
	;; [unrolled: 1-line block ×3, first 2 shown]
	s_waitcnt lgkmcnt(0)
	s_bitcmp1_b32 s13, 0
	v_mov_b32_e32 v8, s4
	s_cselect_b32 s6, -1, 0
	s_delay_alu instid0(SALU_CYCLE_1)
	s_and_b32 vcc_lo, exec_lo, s6
	s_xor_b32 s6, s6, -1
	s_cbranch_vccz .LBB219_17
; %bb.1:
	v_cndmask_b32_e64 v1, 0, 1, s6
	v_mov_b32_e32 v9, s5
	s_and_not1_b32 vcc_lo, exec_lo, s6
	s_cbranch_vccz .LBB219_18
.LBB219_2:
	s_delay_alu instid0(VALU_DEP_2)
	v_cmp_ne_u32_e32 vcc_lo, 1, v1
	v_mov_b32_e32 v10, s2
	s_cbranch_vccz .LBB219_19
.LBB219_3:
	v_cmp_ne_u32_e32 vcc_lo, 1, v1
	v_mov_b32_e32 v11, s3
	s_cbranch_vccnz .LBB219_5
.LBB219_4:
	v_dual_mov_b32 v1, s2 :: v_dual_mov_b32 v2, s3
	flat_load_b32 v11, v[1:2] offset:4
.LBB219_5:
	s_waitcnt vmcnt(0) lgkmcnt(0)
	v_cmp_eq_f32_e32 vcc_lo, 0, v8
	v_cmp_eq_f32_e64 s2, 0, v9
	s_delay_alu instid0(VALU_DEP_1)
	s_and_b32 s4, vcc_lo, s2
	s_mov_b32 s2, -1
	s_and_saveexec_b32 s3, s4
; %bb.6:
	v_cmp_neq_f32_e32 vcc_lo, 1.0, v10
	v_cmp_neq_f32_e64 s2, 0, v11
	s_delay_alu instid0(VALU_DEP_1) | instskip(NEXT) | instid1(SALU_CYCLE_1)
	s_or_b32 s2, vcc_lo, s2
	s_or_not1_b32 s2, s2, exec_lo
; %bb.7:
	s_or_b32 exec_lo, exec_lo, s3
	s_and_saveexec_b32 s3, s2
	s_cbranch_execz .LBB219_33
; %bb.8:
	s_load_b64 s[2:3], s[0:1], 0x0
	v_lshrrev_b32_e32 v1, 4, v0
	s_delay_alu instid0(VALU_DEP_1) | instskip(SKIP_1) | instid1(VALU_DEP_1)
	v_lshl_or_b32 v1, s15, 3, v1
	s_waitcnt lgkmcnt(0)
	v_cmp_gt_i32_e32 vcc_lo, s2, v1
	s_and_b32 exec_lo, exec_lo, vcc_lo
	s_cbranch_execz .LBB219_33
; %bb.9:
	s_load_b256 s[4:11], s[0:1], 0x10
	v_ashrrev_i32_e32 v2, 31, v1
	v_and_b32_e32 v0, 15, v0
	s_cmp_lg_u32 s3, 0
	s_delay_alu instid0(VALU_DEP_2) | instskip(SKIP_1) | instid1(VALU_DEP_1)
	v_lshlrev_b64 v[2:3], 2, v[1:2]
	s_waitcnt lgkmcnt(0)
	v_add_co_u32 v2, vcc_lo, s4, v2
	s_delay_alu instid0(VALU_DEP_2) | instskip(SKIP_4) | instid1(VALU_DEP_2)
	v_add_co_ci_u32_e32 v3, vcc_lo, s5, v3, vcc_lo
	global_load_b64 v[3:4], v[2:3], off
	s_waitcnt vmcnt(0)
	v_subrev_nc_u32_e32 v2, s12, v3
	v_subrev_nc_u32_e32 v14, s12, v4
	v_add_nc_u32_e32 v2, v2, v0
	s_delay_alu instid0(VALU_DEP_1)
	v_cmp_lt_i32_e64 s2, v2, v14
	s_cbranch_scc0 .LBB219_20
; %bb.10:
	v_dual_mov_b32 v12, 0 :: v_dual_mov_b32 v15, 0
	v_dual_mov_b32 v16, 0 :: v_dual_mov_b32 v13, 0
	s_mov_b32 s3, 0
	s_and_saveexec_b32 s4, s2
	s_cbranch_execz .LBB219_16
; %bb.11:
	v_mul_lo_u32 v17, v2, 30
	v_dual_mov_b32 v5, 0 :: v_dual_mov_b32 v6, v2
	v_dual_mov_b32 v12, 0 :: v_dual_mov_b32 v15, 0
	;; [unrolled: 1-line block ×3, first 2 shown]
	s_mov_b32 s5, 0
.LBB219_12:                             ; =>This Loop Header: Depth=1
                                        ;     Child Loop BB219_13 Depth 2
	s_delay_alu instid0(VALU_DEP_3) | instskip(SKIP_1) | instid1(VALU_DEP_1)
	v_ashrrev_i32_e32 v7, 31, v6
	s_mov_b32 s13, 0
	v_lshlrev_b64 v[18:19], 2, v[6:7]
	s_delay_alu instid0(VALU_DEP_1) | instskip(NEXT) | instid1(VALU_DEP_2)
	v_add_co_u32 v18, vcc_lo, s6, v18
	v_add_co_ci_u32_e32 v19, vcc_lo, s7, v19, vcc_lo
	global_load_b32 v4, v[18:19], off
	s_waitcnt vmcnt(0)
	v_subrev_nc_u32_e32 v4, s12, v4
	s_delay_alu instid0(VALU_DEP_1)
	v_mul_lo_u32 v7, v4, 15
	v_mov_b32_e32 v4, v17
.LBB219_13:                             ;   Parent Loop BB219_12 Depth=1
                                        ; =>  This Inner Loop Header: Depth=2
	s_delay_alu instid0(VALU_DEP_2) | instskip(NEXT) | instid1(VALU_DEP_2)
	v_dual_mov_b32 v21, v5 :: v_dual_add_nc_u32 v20, s13, v7
	v_dual_mov_b32 v23, v5 :: v_dual_add_nc_u32 v22, 2, v4
	v_lshlrev_b64 v[18:19], 3, v[4:5]
	v_dual_mov_b32 v24, v5 :: v_dual_add_nc_u32 v25, 4, v4
	s_delay_alu instid0(VALU_DEP_4)
	v_lshlrev_b64 v[28:29], 3, v[20:21]
	v_mov_b32_e32 v26, v5
	v_lshlrev_b64 v[30:31], 3, v[22:23]
	v_add_nc_u32_e32 v23, 1, v20
	v_add_co_u32 v18, vcc_lo, s8, v18
	v_add_co_ci_u32_e32 v19, vcc_lo, s9, v19, vcc_lo
	v_lshlrev_b64 v[32:33], 3, v[25:26]
	s_delay_alu instid0(VALU_DEP_4)
	v_lshlrev_b64 v[22:23], 3, v[23:24]
	v_add_co_u32 v24, vcc_lo, s10, v28
	v_add_co_ci_u32_e32 v25, vcc_lo, s11, v29, vcc_lo
	v_add_co_u32 v28, vcc_lo, s8, v30
	v_add_co_ci_u32_e32 v29, vcc_lo, s9, v31, vcc_lo
	v_add_co_u32 v30, vcc_lo, s8, v32
	v_dual_mov_b32 v27, v5 :: v_dual_add_nc_u32 v26, 2, v20
	global_load_b128 v[18:21], v[18:19], off
	v_add_co_ci_u32_e32 v31, vcc_lo, s9, v33, vcc_lo
	global_load_b64 v[32:33], v[24:25], off
	v_add_co_u32 v34, vcc_lo, s10, v22
	v_add_co_ci_u32_e32 v35, vcc_lo, s11, v23, vcc_lo
	v_lshlrev_b64 v[26:27], 3, v[26:27]
	s_add_i32 s13, s13, 3
	v_add_nc_u32_e32 v4, 6, v4
	global_load_b64 v[34:35], v[34:35], off
	global_load_b128 v[22:25], v[28:29], off
	s_cmp_eq_u32 s13, 15
	v_add_co_u32 v36, vcc_lo, s10, v26
	v_add_co_ci_u32_e32 v37, vcc_lo, s11, v27, vcc_lo
	global_load_b128 v[26:29], v[30:31], off
	global_load_b64 v[30:31], v[36:37], off
	s_waitcnt vmcnt(4)
	v_fmac_f32_e32 v13, v21, v32
	s_delay_alu instid0(VALU_DEP_1) | instskip(NEXT) | instid1(VALU_DEP_1)
	v_dual_fmac_f32 v12, v19, v32 :: v_dual_fmac_f32 v13, v20, v33
	v_fmac_f32_e32 v12, v18, v33
	s_waitcnt vmcnt(2)
	s_delay_alu instid0(VALU_DEP_1) | instskip(NEXT) | instid1(VALU_DEP_1)
	v_dual_fmac_f32 v15, v18, v32 :: v_dual_fmac_f32 v12, v23, v34
	v_fma_f32 v15, -v19, v33, v15
	v_dual_fmac_f32 v16, v20, v32 :: v_dual_fmac_f32 v13, v25, v34
	s_delay_alu instid0(VALU_DEP_3) | instskip(NEXT) | instid1(VALU_DEP_3)
	v_fmac_f32_e32 v12, v22, v35
	v_fmac_f32_e32 v15, v22, v34
	s_delay_alu instid0(VALU_DEP_3) | instskip(SKIP_1) | instid1(VALU_DEP_3)
	v_fma_f32 v16, -v21, v33, v16
	s_waitcnt vmcnt(0)
	v_dual_fmac_f32 v13, v24, v35 :: v_dual_fmac_f32 v12, v27, v30
	s_delay_alu instid0(VALU_DEP_3) | instskip(NEXT) | instid1(VALU_DEP_3)
	v_fma_f32 v15, -v23, v35, v15
	v_fmac_f32_e32 v16, v24, v34
	s_delay_alu instid0(VALU_DEP_3) | instskip(NEXT) | instid1(VALU_DEP_3)
	v_dual_fmac_f32 v13, v29, v30 :: v_dual_fmac_f32 v12, v26, v31
	v_fmac_f32_e32 v15, v26, v30
	s_delay_alu instid0(VALU_DEP_3) | instskip(NEXT) | instid1(VALU_DEP_3)
	v_fma_f32 v16, -v25, v35, v16
	v_fmac_f32_e32 v13, v28, v31
	s_delay_alu instid0(VALU_DEP_3) | instskip(NEXT) | instid1(VALU_DEP_3)
	v_fma_f32 v15, -v27, v31, v15
	v_fmac_f32_e32 v16, v28, v30
	s_delay_alu instid0(VALU_DEP_1)
	v_fma_f32 v16, -v29, v31, v16
	s_cbranch_scc0 .LBB219_13
; %bb.14:                               ;   in Loop: Header=BB219_12 Depth=1
	v_add_nc_u32_e32 v6, 16, v6
	v_add_nc_u32_e32 v17, 0x1e0, v17
	s_delay_alu instid0(VALU_DEP_2) | instskip(SKIP_1) | instid1(SALU_CYCLE_1)
	v_cmp_ge_i32_e32 vcc_lo, v6, v14
	s_or_b32 s5, vcc_lo, s5
	s_and_not1_b32 exec_lo, exec_lo, s5
	s_cbranch_execnz .LBB219_12
; %bb.15:
	s_or_b32 exec_lo, exec_lo, s5
.LBB219_16:
	s_delay_alu instid0(SALU_CYCLE_1) | instskip(NEXT) | instid1(SALU_CYCLE_1)
	s_or_b32 exec_lo, exec_lo, s4
	s_and_not1_b32 vcc_lo, exec_lo, s3
	s_cbranch_vccz .LBB219_21
	s_branch .LBB219_28
.LBB219_17:
	v_dual_mov_b32 v1, s4 :: v_dual_mov_b32 v2, s5
	flat_load_b32 v8, v[1:2]
	v_cndmask_b32_e64 v1, 0, 1, s6
	v_mov_b32_e32 v9, s5
	s_and_not1_b32 vcc_lo, exec_lo, s6
	s_cbranch_vccnz .LBB219_2
.LBB219_18:
	v_dual_mov_b32 v2, s4 :: v_dual_mov_b32 v3, s5
	flat_load_b32 v9, v[2:3] offset:4
	v_cmp_ne_u32_e32 vcc_lo, 1, v1
	v_mov_b32_e32 v10, s2
	s_cbranch_vccnz .LBB219_3
.LBB219_19:
	v_dual_mov_b32 v2, s2 :: v_dual_mov_b32 v3, s3
	flat_load_b32 v10, v[2:3]
	v_cmp_ne_u32_e32 vcc_lo, 1, v1
	v_mov_b32_e32 v11, s3
	s_cbranch_vccz .LBB219_4
	s_branch .LBB219_5
.LBB219_20:
                                        ; implicit-def: $vgpr12
                                        ; implicit-def: $vgpr15
                                        ; implicit-def: $vgpr16
                                        ; implicit-def: $vgpr13
.LBB219_21:
	v_dual_mov_b32 v12, 0 :: v_dual_mov_b32 v15, 0
	v_dual_mov_b32 v16, 0 :: v_dual_mov_b32 v13, 0
	s_delay_alu instid0(VALU_DEP_3)
	s_and_saveexec_b32 s3, s2
	s_cbranch_execz .LBB219_27
; %bb.22:
	v_mul_lo_u32 v3, v3, 30
	v_mul_lo_u32 v5, v2, 30
	s_mul_i32 s2, s12, 30
	v_dual_mov_b32 v4, 0 :: v_dual_mov_b32 v15, 0
	v_dual_mov_b32 v12, 0 :: v_dual_mov_b32 v13, 0
	v_mov_b32_e32 v16, 0
	v_mad_u32_u24 v3, v0, 30, v3
	s_delay_alu instid0(VALU_DEP_1)
	v_subrev_nc_u32_e32 v6, s2, v3
	s_mov_b32 s2, 0
.LBB219_23:                             ; =>This Loop Header: Depth=1
                                        ;     Child Loop BB219_24 Depth 2
	v_ashrrev_i32_e32 v3, 31, v2
	s_mov_b32 s4, 0
	s_delay_alu instid0(VALU_DEP_1) | instskip(NEXT) | instid1(VALU_DEP_1)
	v_lshlrev_b64 v[17:18], 2, v[2:3]
	v_add_co_u32 v17, vcc_lo, s6, v17
	s_delay_alu instid0(VALU_DEP_2) | instskip(SKIP_3) | instid1(VALU_DEP_1)
	v_add_co_ci_u32_e32 v18, vcc_lo, s7, v18, vcc_lo
	global_load_b32 v3, v[17:18], off
	s_waitcnt vmcnt(0)
	v_subrev_nc_u32_e32 v3, s12, v3
	v_mul_lo_u32 v7, v3, 15
.LBB219_24:                             ;   Parent Loop BB219_23 Depth=1
                                        ; =>  This Inner Loop Header: Depth=2
	v_dual_mov_b32 v18, v4 :: v_dual_add_nc_u32 v3, s4, v6
	v_dual_mov_b32 v21, v4 :: v_dual_add_nc_u32 v34, s4, v5
	v_mov_b32_e32 v20, v4
	s_delay_alu instid0(VALU_DEP_3) | instskip(SKIP_1) | instid1(VALU_DEP_4)
	v_lshlrev_b64 v[26:27], 3, v[3:4]
	v_add_nc_u32_e32 v3, s4, v7
	v_add_nc_u32_e32 v19, 1, v34
	v_dual_mov_b32 v23, v4 :: v_dual_add_nc_u32 v22, 16, v34
	v_dual_mov_b32 v25, v4 :: v_dual_add_nc_u32 v24, 2, v34
	v_add_co_u32 v26, vcc_lo, s8, v26
	v_add_co_ci_u32_e32 v27, vcc_lo, s9, v27, vcc_lo
	v_lshlrev_b64 v[28:29], 3, v[3:4]
	v_lshlrev_b64 v[30:31], 3, v[19:20]
	;; [unrolled: 1-line block ×3, first 2 shown]
	global_load_b64 v[26:27], v[26:27], off
	v_add_nc_u32_e32 v17, 15, v34
	v_lshlrev_b64 v[24:25], 3, v[24:25]
	v_add_co_u32 v28, vcc_lo, s10, v28
	v_add_co_ci_u32_e32 v29, vcc_lo, s11, v29, vcc_lo
	s_delay_alu instid0(VALU_DEP_4) | instskip(SKIP_1) | instid1(SALU_CYCLE_1)
	v_lshlrev_b64 v[17:18], 3, v[17:18]
	s_add_i32 s4, s4, 3
	s_cmp_eq_u32 s4, 15
	s_delay_alu instid0(VALU_DEP_1) | instskip(NEXT) | instid1(VALU_DEP_2)
	v_add_co_u32 v17, vcc_lo, s8, v17
	v_add_co_ci_u32_e32 v18, vcc_lo, s9, v18, vcc_lo
	v_add_co_u32 v30, vcc_lo, s8, v30
	v_add_co_ci_u32_e32 v31, vcc_lo, s9, v31, vcc_lo
	global_load_b64 v[28:29], v[28:29], off
	s_clause 0x1
	global_load_b64 v[17:18], v[17:18], off
	global_load_b64 v[30:31], v[30:31], off
	s_waitcnt vmcnt(2)
	v_dual_fmac_f32 v15, v26, v28 :: v_dual_add_nc_u32 v20, 1, v3
	s_delay_alu instid0(VALU_DEP_1)
	v_lshlrev_b64 v[19:20], 3, v[20:21]
	v_add_co_u32 v21, vcc_lo, s8, v22
	v_add_co_ci_u32_e32 v22, vcc_lo, s9, v23, vcc_lo
	v_add_co_u32 v23, vcc_lo, s8, v24
	v_add_co_ci_u32_e32 v24, vcc_lo, s9, v25, vcc_lo
	v_add_co_u32 v19, vcc_lo, s10, v19
	v_add_co_ci_u32_e32 v20, vcc_lo, s11, v20, vcc_lo
	v_dual_fmac_f32 v12, v27, v28 :: v_dual_add_nc_u32 v3, 2, v3
	global_load_b64 v[21:22], v[21:22], off
	global_load_b64 v[19:20], v[19:20], off
	s_waitcnt vmcnt(3)
	v_fmac_f32_e32 v16, v17, v28
	v_fmac_f32_e32 v12, v26, v29
	v_lshlrev_b64 v[32:33], 3, v[3:4]
	v_add_nc_u32_e32 v3, 17, v34
	s_delay_alu instid0(VALU_DEP_2) | instskip(NEXT) | instid1(VALU_DEP_3)
	v_add_co_u32 v32, vcc_lo, s10, v32
	v_add_co_ci_u32_e32 v33, vcc_lo, s11, v33, vcc_lo
	s_waitcnt vmcnt(0)
	v_fmac_f32_e32 v12, v31, v19
	v_lshlrev_b64 v[34:35], 3, v[3:4]
	v_fma_f32 v3, -v27, v29, v15
	v_fma_f32 v15, -v18, v29, v16
	s_delay_alu instid0(VALU_DEP_4) | instskip(NEXT) | instid1(VALU_DEP_4)
	v_fmac_f32_e32 v12, v30, v20
	v_add_co_u32 v34, vcc_lo, s8, v34
	v_add_co_ci_u32_e32 v35, vcc_lo, s9, v35, vcc_lo
	global_load_b64 v[23:24], v[23:24], off
	global_load_b64 v[32:33], v[32:33], off
	;; [unrolled: 1-line block ×3, first 2 shown]
	v_fmac_f32_e32 v15, v21, v19
	v_fmac_f32_e32 v3, v30, v19
	s_delay_alu instid0(VALU_DEP_2)
	v_fma_f32 v16, -v22, v20, v15
	s_waitcnt vmcnt(1)
	v_fmac_f32_e32 v12, v24, v32
	v_fmac_f32_e32 v13, v18, v28
	s_waitcnt vmcnt(0)
	v_fmac_f32_e32 v16, v34, v32
	v_fma_f32 v3, -v31, v20, v3
	v_fmac_f32_e32 v12, v23, v33
	v_fmac_f32_e32 v13, v17, v29
	s_delay_alu instid0(VALU_DEP_4) | instskip(NEXT) | instid1(VALU_DEP_4)
	v_fma_f32 v16, -v35, v33, v16
	v_fmac_f32_e32 v3, v23, v32
	s_delay_alu instid0(VALU_DEP_3) | instskip(NEXT) | instid1(VALU_DEP_2)
	v_fmac_f32_e32 v13, v22, v19
	v_fma_f32 v15, -v24, v33, v3
	s_delay_alu instid0(VALU_DEP_2) | instskip(NEXT) | instid1(VALU_DEP_1)
	v_fmac_f32_e32 v13, v21, v20
	v_fmac_f32_e32 v13, v35, v32
	s_delay_alu instid0(VALU_DEP_1)
	v_fmac_f32_e32 v13, v34, v33
	s_cbranch_scc0 .LBB219_24
; %bb.25:                               ;   in Loop: Header=BB219_23 Depth=1
	v_add_nc_u32_e32 v2, 16, v2
	v_add_nc_u32_e32 v5, 0x1e0, v5
	;; [unrolled: 1-line block ×3, first 2 shown]
	s_delay_alu instid0(VALU_DEP_3) | instskip(SKIP_1) | instid1(SALU_CYCLE_1)
	v_cmp_ge_i32_e32 vcc_lo, v2, v14
	s_or_b32 s2, vcc_lo, s2
	s_and_not1_b32 exec_lo, exec_lo, s2
	s_cbranch_execnz .LBB219_23
; %bb.26:
	s_or_b32 exec_lo, exec_lo, s2
.LBB219_27:
	s_delay_alu instid0(SALU_CYCLE_1)
	s_or_b32 exec_lo, exec_lo, s3
.LBB219_28:
	v_mbcnt_lo_u32_b32 v2, -1, 0
	s_delay_alu instid0(VALU_DEP_1) | instskip(SKIP_1) | instid1(VALU_DEP_2)
	v_xor_b32_e32 v3, 8, v2
	v_xor_b32_e32 v7, 4, v2
	v_cmp_gt_i32_e32 vcc_lo, 32, v3
	v_cndmask_b32_e32 v3, v2, v3, vcc_lo
	s_delay_alu instid0(VALU_DEP_3) | instskip(NEXT) | instid1(VALU_DEP_2)
	v_cmp_gt_i32_e32 vcc_lo, 32, v7
	v_lshlrev_b32_e32 v3, 2, v3
	ds_bpermute_b32 v6, v3, v16
	s_waitcnt lgkmcnt(0)
	v_add_f32_e32 v6, v16, v6
	ds_bpermute_b32 v4, v3, v15
	ds_bpermute_b32 v5, v3, v12
	;; [unrolled: 1-line block ×3, first 2 shown]
	s_waitcnt lgkmcnt(2)
	v_dual_add_f32 v4, v15, v4 :: v_dual_cndmask_b32 v7, v2, v7
	s_waitcnt lgkmcnt(1)
	v_add_f32_e32 v5, v12, v5
	v_xor_b32_e32 v15, 2, v2
	s_delay_alu instid0(VALU_DEP_3) | instskip(NEXT) | instid1(VALU_DEP_2)
	v_lshlrev_b32_e32 v7, 2, v7
	v_cmp_gt_i32_e32 vcc_lo, 32, v15
	ds_bpermute_b32 v14, v7, v6
	v_cndmask_b32_e32 v15, v2, v15, vcc_lo
	s_waitcnt lgkmcnt(0)
	s_delay_alu instid0(VALU_DEP_1)
	v_dual_add_f32 v6, v6, v14 :: v_dual_lshlrev_b32 v15, 2, v15
	v_add_f32_e32 v3, v13, v3
	ds_bpermute_b32 v12, v7, v4
	ds_bpermute_b32 v13, v7, v5
	;; [unrolled: 1-line block ×3, first 2 shown]
	s_waitcnt lgkmcnt(0)
	v_dual_add_f32 v4, v4, v12 :: v_dual_add_f32 v3, v3, v7
	ds_bpermute_b32 v7, v15, v4
	v_add_f32_e32 v5, v5, v13
	ds_bpermute_b32 v13, v15, v6
	ds_bpermute_b32 v14, v15, v3
	s_waitcnt lgkmcnt(2)
	v_add_f32_e32 v4, v4, v7
	ds_bpermute_b32 v12, v15, v5
	v_xor_b32_e32 v15, 1, v2
	s_waitcnt lgkmcnt(1)
	v_add_f32_e32 v3, v3, v14
	s_delay_alu instid0(VALU_DEP_2) | instskip(SKIP_2) | instid1(VALU_DEP_2)
	v_cmp_gt_i32_e32 vcc_lo, 32, v15
	v_cndmask_b32_e32 v2, v2, v15, vcc_lo
	v_cmp_eq_u32_e32 vcc_lo, 15, v0
	v_dual_add_f32 v2, v6, v13 :: v_dual_lshlrev_b32 v15, 2, v2
	s_waitcnt lgkmcnt(0)
	v_add_f32_e32 v5, v5, v12
	ds_bpermute_b32 v12, v15, v4
	ds_bpermute_b32 v6, v15, v2
	;; [unrolled: 1-line block ×4, first 2 shown]
	s_and_b32 exec_lo, exec_lo, vcc_lo
	s_cbranch_execz .LBB219_33
; %bb.29:
	s_load_b64 s[2:3], s[0:1], 0x38
	v_cmp_eq_f32_e32 vcc_lo, 0, v10
	v_cmp_eq_f32_e64 s0, 0, v11
	s_waitcnt lgkmcnt(0)
	v_dual_add_f32 v0, v4, v12 :: v_dual_add_f32 v3, v3, v7
	v_add_f32_e32 v4, v5, v13
	v_add_f32_e32 v2, v2, v6
	s_and_b32 s0, vcc_lo, s0
	s_delay_alu instid0(SALU_CYCLE_1) | instskip(NEXT) | instid1(SALU_CYCLE_1)
	s_and_saveexec_b32 s1, s0
	s_xor_b32 s0, exec_lo, s1
	s_cbranch_execz .LBB219_31
; %bb.30:
	v_mul_f32_e64 v10, v4, -v9
	v_lshlrev_b32_e32 v5, 1, v1
	v_mul_f32_e32 v11, v4, v8
	v_mul_f32_e64 v12, v3, -v9
	v_mul_f32_e32 v13, v3, v8
	v_fmac_f32_e32 v10, v8, v0
	v_ashrrev_i32_e32 v6, 31, v5
	s_delay_alu instid0(VALU_DEP_4) | instskip(NEXT) | instid1(VALU_DEP_4)
	v_dual_fmac_f32 v11, v9, v0 :: v_dual_fmac_f32 v12, v8, v2
	v_fmac_f32_e32 v13, v9, v2
                                        ; implicit-def: $vgpr8
                                        ; implicit-def: $vgpr9
                                        ; implicit-def: $vgpr2
                                        ; implicit-def: $vgpr3
	s_delay_alu instid0(VALU_DEP_3) | instskip(NEXT) | instid1(VALU_DEP_1)
	v_lshlrev_b64 v[4:5], 3, v[5:6]
	v_add_co_u32 v0, vcc_lo, s2, v4
	s_delay_alu instid0(VALU_DEP_2)
	v_add_co_ci_u32_e32 v1, vcc_lo, s3, v5, vcc_lo
                                        ; implicit-def: $vgpr4
	global_store_b128 v[0:1], v[10:13], off
                                        ; implicit-def: $vgpr10
                                        ; implicit-def: $vgpr11
                                        ; implicit-def: $vgpr1
                                        ; implicit-def: $vgpr0
.LBB219_31:
	s_and_not1_saveexec_b32 s0, s0
	s_cbranch_execz .LBB219_33
; %bb.32:
	v_lshlrev_b32_e32 v5, 1, v1
	v_mul_f32_e64 v7, v4, -v9
	v_mul_f32_e32 v1, v4, v8
	v_mul_f32_e64 v4, v3, -v9
	v_mul_f32_e32 v3, v3, v8
	s_delay_alu instid0(VALU_DEP_4) | instskip(NEXT) | instid1(VALU_DEP_3)
	v_fmac_f32_e32 v7, v8, v0
	v_fmac_f32_e32 v4, v8, v2
	v_ashrrev_i32_e32 v6, 31, v5
	s_delay_alu instid0(VALU_DEP_4) | instskip(NEXT) | instid1(VALU_DEP_2)
	v_fmac_f32_e32 v3, v9, v2
	v_lshlrev_b64 v[5:6], 3, v[5:6]
	s_delay_alu instid0(VALU_DEP_1) | instskip(NEXT) | instid1(VALU_DEP_2)
	v_add_co_u32 v5, vcc_lo, s2, v5
	v_add_co_ci_u32_e32 v6, vcc_lo, s3, v6, vcc_lo
	global_load_b128 v[12:15], v[5:6], off
	s_waitcnt vmcnt(0)
	v_dual_fmac_f32 v4, v10, v14 :: v_dual_fmac_f32 v1, v9, v0
	v_fmac_f32_e32 v7, v10, v12
	v_fmac_f32_e32 v3, v11, v14
	s_delay_alu instid0(VALU_DEP_3) | instskip(NEXT) | instid1(VALU_DEP_4)
	v_fma_f32 v2, -v11, v15, v4
	v_fmac_f32_e32 v1, v11, v12
	s_delay_alu instid0(VALU_DEP_4) | instskip(NEXT) | instid1(VALU_DEP_4)
	v_fma_f32 v0, -v11, v13, v7
	v_fmac_f32_e32 v3, v10, v15
	s_delay_alu instid0(VALU_DEP_3)
	v_fmac_f32_e32 v1, v10, v13
	global_store_b128 v[5:6], v[0:3], off
.LBB219_33:
	s_nop 0
	s_sendmsg sendmsg(MSG_DEALLOC_VGPRS)
	s_endpgm
	.section	.rodata,"a",@progbits
	.p2align	6, 0x0
	.amdhsa_kernel _ZN9rocsparseL19gebsrmvn_2xn_kernelILj128ELj15ELj16E21rocsparse_complex_numIfEEEvi20rocsparse_direction_NS_24const_host_device_scalarIT2_EEPKiS8_PKS5_SA_S6_PS5_21rocsparse_index_base_b
		.amdhsa_group_segment_fixed_size 0
		.amdhsa_private_segment_fixed_size 0
		.amdhsa_kernarg_size 72
		.amdhsa_user_sgpr_count 15
		.amdhsa_user_sgpr_dispatch_ptr 0
		.amdhsa_user_sgpr_queue_ptr 0
		.amdhsa_user_sgpr_kernarg_segment_ptr 1
		.amdhsa_user_sgpr_dispatch_id 0
		.amdhsa_user_sgpr_private_segment_size 0
		.amdhsa_wavefront_size32 1
		.amdhsa_uses_dynamic_stack 0
		.amdhsa_enable_private_segment 0
		.amdhsa_system_sgpr_workgroup_id_x 1
		.amdhsa_system_sgpr_workgroup_id_y 0
		.amdhsa_system_sgpr_workgroup_id_z 0
		.amdhsa_system_sgpr_workgroup_info 0
		.amdhsa_system_vgpr_workitem_id 0
		.amdhsa_next_free_vgpr 38
		.amdhsa_next_free_sgpr 16
		.amdhsa_reserve_vcc 1
		.amdhsa_float_round_mode_32 0
		.amdhsa_float_round_mode_16_64 0
		.amdhsa_float_denorm_mode_32 3
		.amdhsa_float_denorm_mode_16_64 3
		.amdhsa_dx10_clamp 1
		.amdhsa_ieee_mode 1
		.amdhsa_fp16_overflow 0
		.amdhsa_workgroup_processor_mode 1
		.amdhsa_memory_ordered 1
		.amdhsa_forward_progress 0
		.amdhsa_shared_vgpr_count 0
		.amdhsa_exception_fp_ieee_invalid_op 0
		.amdhsa_exception_fp_denorm_src 0
		.amdhsa_exception_fp_ieee_div_zero 0
		.amdhsa_exception_fp_ieee_overflow 0
		.amdhsa_exception_fp_ieee_underflow 0
		.amdhsa_exception_fp_ieee_inexact 0
		.amdhsa_exception_int_div_zero 0
	.end_amdhsa_kernel
	.section	.text._ZN9rocsparseL19gebsrmvn_2xn_kernelILj128ELj15ELj16E21rocsparse_complex_numIfEEEvi20rocsparse_direction_NS_24const_host_device_scalarIT2_EEPKiS8_PKS5_SA_S6_PS5_21rocsparse_index_base_b,"axG",@progbits,_ZN9rocsparseL19gebsrmvn_2xn_kernelILj128ELj15ELj16E21rocsparse_complex_numIfEEEvi20rocsparse_direction_NS_24const_host_device_scalarIT2_EEPKiS8_PKS5_SA_S6_PS5_21rocsparse_index_base_b,comdat
.Lfunc_end219:
	.size	_ZN9rocsparseL19gebsrmvn_2xn_kernelILj128ELj15ELj16E21rocsparse_complex_numIfEEEvi20rocsparse_direction_NS_24const_host_device_scalarIT2_EEPKiS8_PKS5_SA_S6_PS5_21rocsparse_index_base_b, .Lfunc_end219-_ZN9rocsparseL19gebsrmvn_2xn_kernelILj128ELj15ELj16E21rocsparse_complex_numIfEEEvi20rocsparse_direction_NS_24const_host_device_scalarIT2_EEPKiS8_PKS5_SA_S6_PS5_21rocsparse_index_base_b
                                        ; -- End function
	.section	.AMDGPU.csdata,"",@progbits
; Kernel info:
; codeLenInByte = 2356
; NumSgprs: 18
; NumVgprs: 38
; ScratchSize: 0
; MemoryBound: 0
; FloatMode: 240
; IeeeMode: 1
; LDSByteSize: 0 bytes/workgroup (compile time only)
; SGPRBlocks: 2
; VGPRBlocks: 4
; NumSGPRsForWavesPerEU: 18
; NumVGPRsForWavesPerEU: 38
; Occupancy: 16
; WaveLimiterHint : 1
; COMPUTE_PGM_RSRC2:SCRATCH_EN: 0
; COMPUTE_PGM_RSRC2:USER_SGPR: 15
; COMPUTE_PGM_RSRC2:TRAP_HANDLER: 0
; COMPUTE_PGM_RSRC2:TGID_X_EN: 1
; COMPUTE_PGM_RSRC2:TGID_Y_EN: 0
; COMPUTE_PGM_RSRC2:TGID_Z_EN: 0
; COMPUTE_PGM_RSRC2:TIDIG_COMP_CNT: 0
	.section	.text._ZN9rocsparseL19gebsrmvn_2xn_kernelILj128ELj15ELj32E21rocsparse_complex_numIfEEEvi20rocsparse_direction_NS_24const_host_device_scalarIT2_EEPKiS8_PKS5_SA_S6_PS5_21rocsparse_index_base_b,"axG",@progbits,_ZN9rocsparseL19gebsrmvn_2xn_kernelILj128ELj15ELj32E21rocsparse_complex_numIfEEEvi20rocsparse_direction_NS_24const_host_device_scalarIT2_EEPKiS8_PKS5_SA_S6_PS5_21rocsparse_index_base_b,comdat
	.globl	_ZN9rocsparseL19gebsrmvn_2xn_kernelILj128ELj15ELj32E21rocsparse_complex_numIfEEEvi20rocsparse_direction_NS_24const_host_device_scalarIT2_EEPKiS8_PKS5_SA_S6_PS5_21rocsparse_index_base_b ; -- Begin function _ZN9rocsparseL19gebsrmvn_2xn_kernelILj128ELj15ELj32E21rocsparse_complex_numIfEEEvi20rocsparse_direction_NS_24const_host_device_scalarIT2_EEPKiS8_PKS5_SA_S6_PS5_21rocsparse_index_base_b
	.p2align	8
	.type	_ZN9rocsparseL19gebsrmvn_2xn_kernelILj128ELj15ELj32E21rocsparse_complex_numIfEEEvi20rocsparse_direction_NS_24const_host_device_scalarIT2_EEPKiS8_PKS5_SA_S6_PS5_21rocsparse_index_base_b,@function
_ZN9rocsparseL19gebsrmvn_2xn_kernelILj128ELj15ELj32E21rocsparse_complex_numIfEEEvi20rocsparse_direction_NS_24const_host_device_scalarIT2_EEPKiS8_PKS5_SA_S6_PS5_21rocsparse_index_base_b: ; @_ZN9rocsparseL19gebsrmvn_2xn_kernelILj128ELj15ELj32E21rocsparse_complex_numIfEEEvi20rocsparse_direction_NS_24const_host_device_scalarIT2_EEPKiS8_PKS5_SA_S6_PS5_21rocsparse_index_base_b
; %bb.0:
	s_clause 0x2
	s_load_b64 s[12:13], s[0:1], 0x40
	s_load_b64 s[4:5], s[0:1], 0x8
	;; [unrolled: 1-line block ×3, first 2 shown]
	s_waitcnt lgkmcnt(0)
	s_bitcmp1_b32 s13, 0
	v_mov_b32_e32 v8, s4
	s_cselect_b32 s6, -1, 0
	s_delay_alu instid0(SALU_CYCLE_1)
	s_and_b32 vcc_lo, exec_lo, s6
	s_xor_b32 s6, s6, -1
	s_cbranch_vccz .LBB220_17
; %bb.1:
	v_cndmask_b32_e64 v1, 0, 1, s6
	v_mov_b32_e32 v9, s5
	s_and_not1_b32 vcc_lo, exec_lo, s6
	s_cbranch_vccz .LBB220_18
.LBB220_2:
	s_delay_alu instid0(VALU_DEP_2)
	v_cmp_ne_u32_e32 vcc_lo, 1, v1
	v_mov_b32_e32 v10, s2
	s_cbranch_vccz .LBB220_19
.LBB220_3:
	v_cmp_ne_u32_e32 vcc_lo, 1, v1
	v_mov_b32_e32 v11, s3
	s_cbranch_vccnz .LBB220_5
.LBB220_4:
	v_dual_mov_b32 v1, s2 :: v_dual_mov_b32 v2, s3
	flat_load_b32 v11, v[1:2] offset:4
.LBB220_5:
	s_waitcnt vmcnt(0) lgkmcnt(0)
	v_cmp_eq_f32_e32 vcc_lo, 0, v8
	v_cmp_eq_f32_e64 s2, 0, v9
	s_delay_alu instid0(VALU_DEP_1)
	s_and_b32 s4, vcc_lo, s2
	s_mov_b32 s2, -1
	s_and_saveexec_b32 s3, s4
; %bb.6:
	v_cmp_neq_f32_e32 vcc_lo, 1.0, v10
	v_cmp_neq_f32_e64 s2, 0, v11
	s_delay_alu instid0(VALU_DEP_1) | instskip(NEXT) | instid1(SALU_CYCLE_1)
	s_or_b32 s2, vcc_lo, s2
	s_or_not1_b32 s2, s2, exec_lo
; %bb.7:
	s_or_b32 exec_lo, exec_lo, s3
	s_and_saveexec_b32 s3, s2
	s_cbranch_execz .LBB220_33
; %bb.8:
	s_load_b64 s[2:3], s[0:1], 0x0
	v_lshrrev_b32_e32 v1, 5, v0
	s_delay_alu instid0(VALU_DEP_1) | instskip(SKIP_1) | instid1(VALU_DEP_1)
	v_lshl_or_b32 v1, s15, 2, v1
	s_waitcnt lgkmcnt(0)
	v_cmp_gt_i32_e32 vcc_lo, s2, v1
	s_and_b32 exec_lo, exec_lo, vcc_lo
	s_cbranch_execz .LBB220_33
; %bb.9:
	s_load_b256 s[4:11], s[0:1], 0x10
	v_ashrrev_i32_e32 v2, 31, v1
	v_and_b32_e32 v0, 31, v0
	s_cmp_lg_u32 s3, 0
	s_delay_alu instid0(VALU_DEP_2) | instskip(SKIP_1) | instid1(VALU_DEP_1)
	v_lshlrev_b64 v[2:3], 2, v[1:2]
	s_waitcnt lgkmcnt(0)
	v_add_co_u32 v2, vcc_lo, s4, v2
	s_delay_alu instid0(VALU_DEP_2) | instskip(SKIP_4) | instid1(VALU_DEP_2)
	v_add_co_ci_u32_e32 v3, vcc_lo, s5, v3, vcc_lo
	global_load_b64 v[3:4], v[2:3], off
	s_waitcnt vmcnt(0)
	v_subrev_nc_u32_e32 v2, s12, v3
	v_subrev_nc_u32_e32 v14, s12, v4
	v_add_nc_u32_e32 v2, v2, v0
	s_delay_alu instid0(VALU_DEP_1)
	v_cmp_lt_i32_e64 s2, v2, v14
	s_cbranch_scc0 .LBB220_20
; %bb.10:
	v_dual_mov_b32 v12, 0 :: v_dual_mov_b32 v15, 0
	v_dual_mov_b32 v16, 0 :: v_dual_mov_b32 v13, 0
	s_mov_b32 s3, 0
	s_and_saveexec_b32 s4, s2
	s_cbranch_execz .LBB220_16
; %bb.11:
	v_mul_lo_u32 v17, v2, 30
	v_dual_mov_b32 v5, 0 :: v_dual_mov_b32 v6, v2
	v_dual_mov_b32 v12, 0 :: v_dual_mov_b32 v15, 0
	;; [unrolled: 1-line block ×3, first 2 shown]
	s_mov_b32 s5, 0
.LBB220_12:                             ; =>This Loop Header: Depth=1
                                        ;     Child Loop BB220_13 Depth 2
	s_delay_alu instid0(VALU_DEP_3) | instskip(SKIP_1) | instid1(VALU_DEP_1)
	v_ashrrev_i32_e32 v7, 31, v6
	s_mov_b32 s13, 0
	v_lshlrev_b64 v[18:19], 2, v[6:7]
	s_delay_alu instid0(VALU_DEP_1) | instskip(NEXT) | instid1(VALU_DEP_2)
	v_add_co_u32 v18, vcc_lo, s6, v18
	v_add_co_ci_u32_e32 v19, vcc_lo, s7, v19, vcc_lo
	global_load_b32 v4, v[18:19], off
	s_waitcnt vmcnt(0)
	v_subrev_nc_u32_e32 v4, s12, v4
	s_delay_alu instid0(VALU_DEP_1)
	v_mul_lo_u32 v7, v4, 15
	v_mov_b32_e32 v4, v17
.LBB220_13:                             ;   Parent Loop BB220_12 Depth=1
                                        ; =>  This Inner Loop Header: Depth=2
	s_delay_alu instid0(VALU_DEP_2) | instskip(NEXT) | instid1(VALU_DEP_2)
	v_dual_mov_b32 v21, v5 :: v_dual_add_nc_u32 v20, s13, v7
	v_dual_mov_b32 v23, v5 :: v_dual_add_nc_u32 v22, 2, v4
	v_lshlrev_b64 v[18:19], 3, v[4:5]
	v_dual_mov_b32 v24, v5 :: v_dual_add_nc_u32 v25, 4, v4
	s_delay_alu instid0(VALU_DEP_4)
	v_lshlrev_b64 v[28:29], 3, v[20:21]
	v_mov_b32_e32 v26, v5
	v_lshlrev_b64 v[30:31], 3, v[22:23]
	v_add_nc_u32_e32 v23, 1, v20
	v_add_co_u32 v18, vcc_lo, s8, v18
	v_add_co_ci_u32_e32 v19, vcc_lo, s9, v19, vcc_lo
	v_lshlrev_b64 v[32:33], 3, v[25:26]
	s_delay_alu instid0(VALU_DEP_4)
	v_lshlrev_b64 v[22:23], 3, v[23:24]
	v_add_co_u32 v24, vcc_lo, s10, v28
	v_add_co_ci_u32_e32 v25, vcc_lo, s11, v29, vcc_lo
	v_add_co_u32 v28, vcc_lo, s8, v30
	v_add_co_ci_u32_e32 v29, vcc_lo, s9, v31, vcc_lo
	v_add_co_u32 v30, vcc_lo, s8, v32
	v_dual_mov_b32 v27, v5 :: v_dual_add_nc_u32 v26, 2, v20
	global_load_b128 v[18:21], v[18:19], off
	v_add_co_ci_u32_e32 v31, vcc_lo, s9, v33, vcc_lo
	global_load_b64 v[32:33], v[24:25], off
	v_add_co_u32 v34, vcc_lo, s10, v22
	v_add_co_ci_u32_e32 v35, vcc_lo, s11, v23, vcc_lo
	v_lshlrev_b64 v[26:27], 3, v[26:27]
	s_add_i32 s13, s13, 3
	v_add_nc_u32_e32 v4, 6, v4
	global_load_b64 v[34:35], v[34:35], off
	global_load_b128 v[22:25], v[28:29], off
	s_cmp_eq_u32 s13, 15
	v_add_co_u32 v36, vcc_lo, s10, v26
	v_add_co_ci_u32_e32 v37, vcc_lo, s11, v27, vcc_lo
	global_load_b128 v[26:29], v[30:31], off
	global_load_b64 v[30:31], v[36:37], off
	s_waitcnt vmcnt(4)
	v_fmac_f32_e32 v13, v21, v32
	s_delay_alu instid0(VALU_DEP_1) | instskip(NEXT) | instid1(VALU_DEP_1)
	v_dual_fmac_f32 v12, v19, v32 :: v_dual_fmac_f32 v13, v20, v33
	v_fmac_f32_e32 v12, v18, v33
	s_waitcnt vmcnt(2)
	s_delay_alu instid0(VALU_DEP_1) | instskip(NEXT) | instid1(VALU_DEP_1)
	v_dual_fmac_f32 v15, v18, v32 :: v_dual_fmac_f32 v12, v23, v34
	v_fma_f32 v15, -v19, v33, v15
	v_dual_fmac_f32 v16, v20, v32 :: v_dual_fmac_f32 v13, v25, v34
	s_delay_alu instid0(VALU_DEP_3) | instskip(NEXT) | instid1(VALU_DEP_3)
	v_fmac_f32_e32 v12, v22, v35
	v_fmac_f32_e32 v15, v22, v34
	s_delay_alu instid0(VALU_DEP_3) | instskip(SKIP_1) | instid1(VALU_DEP_3)
	v_fma_f32 v16, -v21, v33, v16
	s_waitcnt vmcnt(0)
	v_dual_fmac_f32 v13, v24, v35 :: v_dual_fmac_f32 v12, v27, v30
	s_delay_alu instid0(VALU_DEP_3) | instskip(NEXT) | instid1(VALU_DEP_3)
	v_fma_f32 v15, -v23, v35, v15
	v_fmac_f32_e32 v16, v24, v34
	s_delay_alu instid0(VALU_DEP_3) | instskip(NEXT) | instid1(VALU_DEP_3)
	v_dual_fmac_f32 v13, v29, v30 :: v_dual_fmac_f32 v12, v26, v31
	v_fmac_f32_e32 v15, v26, v30
	s_delay_alu instid0(VALU_DEP_3) | instskip(NEXT) | instid1(VALU_DEP_3)
	v_fma_f32 v16, -v25, v35, v16
	v_fmac_f32_e32 v13, v28, v31
	s_delay_alu instid0(VALU_DEP_3) | instskip(NEXT) | instid1(VALU_DEP_3)
	v_fma_f32 v15, -v27, v31, v15
	v_fmac_f32_e32 v16, v28, v30
	s_delay_alu instid0(VALU_DEP_1)
	v_fma_f32 v16, -v29, v31, v16
	s_cbranch_scc0 .LBB220_13
; %bb.14:                               ;   in Loop: Header=BB220_12 Depth=1
	v_add_nc_u32_e32 v6, 32, v6
	v_add_nc_u32_e32 v17, 0x3c0, v17
	s_delay_alu instid0(VALU_DEP_2) | instskip(SKIP_1) | instid1(SALU_CYCLE_1)
	v_cmp_ge_i32_e32 vcc_lo, v6, v14
	s_or_b32 s5, vcc_lo, s5
	s_and_not1_b32 exec_lo, exec_lo, s5
	s_cbranch_execnz .LBB220_12
; %bb.15:
	s_or_b32 exec_lo, exec_lo, s5
.LBB220_16:
	s_delay_alu instid0(SALU_CYCLE_1) | instskip(NEXT) | instid1(SALU_CYCLE_1)
	s_or_b32 exec_lo, exec_lo, s4
	s_and_not1_b32 vcc_lo, exec_lo, s3
	s_cbranch_vccz .LBB220_21
	s_branch .LBB220_28
.LBB220_17:
	v_dual_mov_b32 v1, s4 :: v_dual_mov_b32 v2, s5
	flat_load_b32 v8, v[1:2]
	v_cndmask_b32_e64 v1, 0, 1, s6
	v_mov_b32_e32 v9, s5
	s_and_not1_b32 vcc_lo, exec_lo, s6
	s_cbranch_vccnz .LBB220_2
.LBB220_18:
	v_dual_mov_b32 v2, s4 :: v_dual_mov_b32 v3, s5
	flat_load_b32 v9, v[2:3] offset:4
	v_cmp_ne_u32_e32 vcc_lo, 1, v1
	v_mov_b32_e32 v10, s2
	s_cbranch_vccnz .LBB220_3
.LBB220_19:
	v_dual_mov_b32 v2, s2 :: v_dual_mov_b32 v3, s3
	flat_load_b32 v10, v[2:3]
	v_cmp_ne_u32_e32 vcc_lo, 1, v1
	v_mov_b32_e32 v11, s3
	s_cbranch_vccz .LBB220_4
	s_branch .LBB220_5
.LBB220_20:
                                        ; implicit-def: $vgpr12
                                        ; implicit-def: $vgpr15
                                        ; implicit-def: $vgpr16
                                        ; implicit-def: $vgpr13
.LBB220_21:
	v_dual_mov_b32 v12, 0 :: v_dual_mov_b32 v15, 0
	v_dual_mov_b32 v16, 0 :: v_dual_mov_b32 v13, 0
	s_delay_alu instid0(VALU_DEP_3)
	s_and_saveexec_b32 s3, s2
	s_cbranch_execz .LBB220_27
; %bb.22:
	v_mul_lo_u32 v3, v3, 30
	v_mul_lo_u32 v5, v2, 30
	s_mul_i32 s2, s12, 30
	v_dual_mov_b32 v4, 0 :: v_dual_mov_b32 v15, 0
	v_dual_mov_b32 v12, 0 :: v_dual_mov_b32 v13, 0
	v_mov_b32_e32 v16, 0
	v_mad_u32_u24 v3, v0, 30, v3
	s_delay_alu instid0(VALU_DEP_1)
	v_subrev_nc_u32_e32 v6, s2, v3
	s_mov_b32 s2, 0
.LBB220_23:                             ; =>This Loop Header: Depth=1
                                        ;     Child Loop BB220_24 Depth 2
	v_ashrrev_i32_e32 v3, 31, v2
	s_mov_b32 s4, 0
	s_delay_alu instid0(VALU_DEP_1) | instskip(NEXT) | instid1(VALU_DEP_1)
	v_lshlrev_b64 v[17:18], 2, v[2:3]
	v_add_co_u32 v17, vcc_lo, s6, v17
	s_delay_alu instid0(VALU_DEP_2) | instskip(SKIP_3) | instid1(VALU_DEP_1)
	v_add_co_ci_u32_e32 v18, vcc_lo, s7, v18, vcc_lo
	global_load_b32 v3, v[17:18], off
	s_waitcnt vmcnt(0)
	v_subrev_nc_u32_e32 v3, s12, v3
	v_mul_lo_u32 v7, v3, 15
.LBB220_24:                             ;   Parent Loop BB220_23 Depth=1
                                        ; =>  This Inner Loop Header: Depth=2
	v_dual_mov_b32 v18, v4 :: v_dual_add_nc_u32 v3, s4, v6
	v_dual_mov_b32 v21, v4 :: v_dual_add_nc_u32 v34, s4, v5
	v_mov_b32_e32 v20, v4
	s_delay_alu instid0(VALU_DEP_3) | instskip(SKIP_1) | instid1(VALU_DEP_4)
	v_lshlrev_b64 v[26:27], 3, v[3:4]
	v_add_nc_u32_e32 v3, s4, v7
	v_add_nc_u32_e32 v19, 1, v34
	v_dual_mov_b32 v23, v4 :: v_dual_add_nc_u32 v22, 16, v34
	v_dual_mov_b32 v25, v4 :: v_dual_add_nc_u32 v24, 2, v34
	v_add_co_u32 v26, vcc_lo, s8, v26
	v_add_co_ci_u32_e32 v27, vcc_lo, s9, v27, vcc_lo
	v_lshlrev_b64 v[28:29], 3, v[3:4]
	v_lshlrev_b64 v[30:31], 3, v[19:20]
	;; [unrolled: 1-line block ×3, first 2 shown]
	global_load_b64 v[26:27], v[26:27], off
	v_add_nc_u32_e32 v17, 15, v34
	v_lshlrev_b64 v[24:25], 3, v[24:25]
	v_add_co_u32 v28, vcc_lo, s10, v28
	v_add_co_ci_u32_e32 v29, vcc_lo, s11, v29, vcc_lo
	s_delay_alu instid0(VALU_DEP_4) | instskip(SKIP_1) | instid1(SALU_CYCLE_1)
	v_lshlrev_b64 v[17:18], 3, v[17:18]
	s_add_i32 s4, s4, 3
	s_cmp_eq_u32 s4, 15
	s_delay_alu instid0(VALU_DEP_1) | instskip(NEXT) | instid1(VALU_DEP_2)
	v_add_co_u32 v17, vcc_lo, s8, v17
	v_add_co_ci_u32_e32 v18, vcc_lo, s9, v18, vcc_lo
	v_add_co_u32 v30, vcc_lo, s8, v30
	v_add_co_ci_u32_e32 v31, vcc_lo, s9, v31, vcc_lo
	global_load_b64 v[28:29], v[28:29], off
	s_clause 0x1
	global_load_b64 v[17:18], v[17:18], off
	global_load_b64 v[30:31], v[30:31], off
	s_waitcnt vmcnt(2)
	v_dual_fmac_f32 v15, v26, v28 :: v_dual_add_nc_u32 v20, 1, v3
	s_delay_alu instid0(VALU_DEP_1)
	v_lshlrev_b64 v[19:20], 3, v[20:21]
	v_add_co_u32 v21, vcc_lo, s8, v22
	v_add_co_ci_u32_e32 v22, vcc_lo, s9, v23, vcc_lo
	v_add_co_u32 v23, vcc_lo, s8, v24
	v_add_co_ci_u32_e32 v24, vcc_lo, s9, v25, vcc_lo
	;; [unrolled: 2-line block ×3, first 2 shown]
	v_dual_fmac_f32 v12, v27, v28 :: v_dual_add_nc_u32 v3, 2, v3
	global_load_b64 v[21:22], v[21:22], off
	global_load_b64 v[19:20], v[19:20], off
	s_waitcnt vmcnt(3)
	v_fmac_f32_e32 v16, v17, v28
	v_fmac_f32_e32 v12, v26, v29
	v_lshlrev_b64 v[32:33], 3, v[3:4]
	v_add_nc_u32_e32 v3, 17, v34
	s_delay_alu instid0(VALU_DEP_2) | instskip(NEXT) | instid1(VALU_DEP_3)
	v_add_co_u32 v32, vcc_lo, s10, v32
	v_add_co_ci_u32_e32 v33, vcc_lo, s11, v33, vcc_lo
	s_waitcnt vmcnt(0)
	v_fmac_f32_e32 v12, v31, v19
	v_lshlrev_b64 v[34:35], 3, v[3:4]
	v_fma_f32 v3, -v27, v29, v15
	v_fma_f32 v15, -v18, v29, v16
	s_delay_alu instid0(VALU_DEP_4) | instskip(NEXT) | instid1(VALU_DEP_4)
	v_fmac_f32_e32 v12, v30, v20
	v_add_co_u32 v34, vcc_lo, s8, v34
	v_add_co_ci_u32_e32 v35, vcc_lo, s9, v35, vcc_lo
	global_load_b64 v[23:24], v[23:24], off
	global_load_b64 v[32:33], v[32:33], off
	;; [unrolled: 1-line block ×3, first 2 shown]
	v_fmac_f32_e32 v15, v21, v19
	v_fmac_f32_e32 v3, v30, v19
	s_delay_alu instid0(VALU_DEP_2)
	v_fma_f32 v16, -v22, v20, v15
	s_waitcnt vmcnt(1)
	v_fmac_f32_e32 v12, v24, v32
	v_fmac_f32_e32 v13, v18, v28
	s_waitcnt vmcnt(0)
	v_fmac_f32_e32 v16, v34, v32
	v_fma_f32 v3, -v31, v20, v3
	v_fmac_f32_e32 v12, v23, v33
	v_fmac_f32_e32 v13, v17, v29
	s_delay_alu instid0(VALU_DEP_4) | instskip(NEXT) | instid1(VALU_DEP_4)
	v_fma_f32 v16, -v35, v33, v16
	v_fmac_f32_e32 v3, v23, v32
	s_delay_alu instid0(VALU_DEP_3) | instskip(NEXT) | instid1(VALU_DEP_2)
	v_fmac_f32_e32 v13, v22, v19
	v_fma_f32 v15, -v24, v33, v3
	s_delay_alu instid0(VALU_DEP_2) | instskip(NEXT) | instid1(VALU_DEP_1)
	v_fmac_f32_e32 v13, v21, v20
	v_fmac_f32_e32 v13, v35, v32
	s_delay_alu instid0(VALU_DEP_1)
	v_fmac_f32_e32 v13, v34, v33
	s_cbranch_scc0 .LBB220_24
; %bb.25:                               ;   in Loop: Header=BB220_23 Depth=1
	v_add_nc_u32_e32 v2, 32, v2
	v_add_nc_u32_e32 v5, 0x3c0, v5
	;; [unrolled: 1-line block ×3, first 2 shown]
	s_delay_alu instid0(VALU_DEP_3) | instskip(SKIP_1) | instid1(SALU_CYCLE_1)
	v_cmp_ge_i32_e32 vcc_lo, v2, v14
	s_or_b32 s2, vcc_lo, s2
	s_and_not1_b32 exec_lo, exec_lo, s2
	s_cbranch_execnz .LBB220_23
; %bb.26:
	s_or_b32 exec_lo, exec_lo, s2
.LBB220_27:
	s_delay_alu instid0(SALU_CYCLE_1)
	s_or_b32 exec_lo, exec_lo, s3
.LBB220_28:
	v_mbcnt_lo_u32_b32 v2, -1, 0
	s_delay_alu instid0(VALU_DEP_1) | instskip(SKIP_1) | instid1(VALU_DEP_2)
	v_xor_b32_e32 v3, 16, v2
	v_xor_b32_e32 v7, 8, v2
	v_cmp_gt_i32_e32 vcc_lo, 32, v3
	v_cndmask_b32_e32 v3, v2, v3, vcc_lo
	s_delay_alu instid0(VALU_DEP_3) | instskip(NEXT) | instid1(VALU_DEP_2)
	v_cmp_gt_i32_e32 vcc_lo, 32, v7
	v_lshlrev_b32_e32 v3, 2, v3
	ds_bpermute_b32 v6, v3, v16
	s_waitcnt lgkmcnt(0)
	v_add_f32_e32 v6, v16, v6
	ds_bpermute_b32 v4, v3, v15
	ds_bpermute_b32 v5, v3, v12
	;; [unrolled: 1-line block ×3, first 2 shown]
	s_waitcnt lgkmcnt(2)
	v_dual_add_f32 v4, v15, v4 :: v_dual_cndmask_b32 v7, v2, v7
	s_waitcnt lgkmcnt(1)
	v_add_f32_e32 v5, v12, v5
	v_xor_b32_e32 v15, 4, v2
	s_delay_alu instid0(VALU_DEP_3) | instskip(NEXT) | instid1(VALU_DEP_2)
	v_lshlrev_b32_e32 v7, 2, v7
	v_cmp_gt_i32_e32 vcc_lo, 32, v15
	ds_bpermute_b32 v14, v7, v6
	v_cndmask_b32_e32 v15, v2, v15, vcc_lo
	s_waitcnt lgkmcnt(0)
	s_delay_alu instid0(VALU_DEP_1)
	v_dual_add_f32 v6, v6, v14 :: v_dual_lshlrev_b32 v15, 2, v15
	v_add_f32_e32 v3, v13, v3
	ds_bpermute_b32 v12, v7, v4
	ds_bpermute_b32 v13, v7, v5
	s_waitcnt lgkmcnt(0)
	v_dual_add_f32 v4, v4, v12 :: v_dual_add_f32 v5, v5, v13
	ds_bpermute_b32 v13, v15, v6
	s_waitcnt lgkmcnt(0)
	v_add_f32_e32 v6, v6, v13
	ds_bpermute_b32 v7, v7, v3
	s_waitcnt lgkmcnt(0)
	v_add_f32_e32 v3, v3, v7
	ds_bpermute_b32 v7, v15, v4
	ds_bpermute_b32 v14, v15, v3
	s_waitcnt lgkmcnt(1)
	v_add_f32_e32 v4, v4, v7
	ds_bpermute_b32 v12, v15, v5
	v_xor_b32_e32 v15, 2, v2
	s_waitcnt lgkmcnt(1)
	v_add_f32_e32 v3, v3, v14
	s_delay_alu instid0(VALU_DEP_2) | instskip(SKIP_1) | instid1(VALU_DEP_1)
	v_cmp_gt_i32_e32 vcc_lo, 32, v15
	v_cndmask_b32_e32 v15, v2, v15, vcc_lo
	v_lshlrev_b32_e32 v15, 2, v15
	ds_bpermute_b32 v7, v15, v4
	s_waitcnt lgkmcnt(1)
	v_add_f32_e32 v5, v5, v12
	ds_bpermute_b32 v13, v15, v6
	ds_bpermute_b32 v14, v15, v3
	s_waitcnt lgkmcnt(2)
	v_add_f32_e32 v4, v4, v7
	ds_bpermute_b32 v12, v15, v5
	v_xor_b32_e32 v15, 1, v2
	s_waitcnt lgkmcnt(1)
	v_add_f32_e32 v3, v3, v14
	s_delay_alu instid0(VALU_DEP_2) | instskip(SKIP_2) | instid1(VALU_DEP_2)
	v_cmp_gt_i32_e32 vcc_lo, 32, v15
	v_cndmask_b32_e32 v2, v2, v15, vcc_lo
	v_cmp_eq_u32_e32 vcc_lo, 31, v0
	v_dual_add_f32 v2, v6, v13 :: v_dual_lshlrev_b32 v15, 2, v2
	s_waitcnt lgkmcnt(0)
	v_add_f32_e32 v5, v5, v12
	ds_bpermute_b32 v12, v15, v4
	ds_bpermute_b32 v6, v15, v2
	;; [unrolled: 1-line block ×4, first 2 shown]
	s_and_b32 exec_lo, exec_lo, vcc_lo
	s_cbranch_execz .LBB220_33
; %bb.29:
	s_load_b64 s[2:3], s[0:1], 0x38
	v_cmp_eq_f32_e32 vcc_lo, 0, v10
	v_cmp_eq_f32_e64 s0, 0, v11
	s_waitcnt lgkmcnt(0)
	v_dual_add_f32 v0, v4, v12 :: v_dual_add_f32 v3, v3, v7
	v_add_f32_e32 v4, v5, v13
	v_add_f32_e32 v2, v2, v6
	s_and_b32 s0, vcc_lo, s0
	s_delay_alu instid0(SALU_CYCLE_1) | instskip(NEXT) | instid1(SALU_CYCLE_1)
	s_and_saveexec_b32 s1, s0
	s_xor_b32 s0, exec_lo, s1
	s_cbranch_execz .LBB220_31
; %bb.30:
	v_mul_f32_e64 v10, v4, -v9
	v_lshlrev_b32_e32 v5, 1, v1
	v_mul_f32_e32 v11, v4, v8
	v_mul_f32_e64 v12, v3, -v9
	v_mul_f32_e32 v13, v3, v8
	v_fmac_f32_e32 v10, v8, v0
	v_ashrrev_i32_e32 v6, 31, v5
	s_delay_alu instid0(VALU_DEP_4) | instskip(NEXT) | instid1(VALU_DEP_4)
	v_dual_fmac_f32 v11, v9, v0 :: v_dual_fmac_f32 v12, v8, v2
	v_fmac_f32_e32 v13, v9, v2
                                        ; implicit-def: $vgpr8
                                        ; implicit-def: $vgpr9
                                        ; implicit-def: $vgpr2
                                        ; implicit-def: $vgpr3
	s_delay_alu instid0(VALU_DEP_3) | instskip(NEXT) | instid1(VALU_DEP_1)
	v_lshlrev_b64 v[4:5], 3, v[5:6]
	v_add_co_u32 v0, vcc_lo, s2, v4
	s_delay_alu instid0(VALU_DEP_2)
	v_add_co_ci_u32_e32 v1, vcc_lo, s3, v5, vcc_lo
                                        ; implicit-def: $vgpr4
	global_store_b128 v[0:1], v[10:13], off
                                        ; implicit-def: $vgpr10
                                        ; implicit-def: $vgpr11
                                        ; implicit-def: $vgpr1
                                        ; implicit-def: $vgpr0
.LBB220_31:
	s_and_not1_saveexec_b32 s0, s0
	s_cbranch_execz .LBB220_33
; %bb.32:
	v_lshlrev_b32_e32 v5, 1, v1
	v_mul_f32_e64 v7, v4, -v9
	v_mul_f32_e32 v1, v4, v8
	v_mul_f32_e64 v4, v3, -v9
	v_mul_f32_e32 v3, v3, v8
	s_delay_alu instid0(VALU_DEP_4) | instskip(NEXT) | instid1(VALU_DEP_3)
	v_fmac_f32_e32 v7, v8, v0
	v_fmac_f32_e32 v4, v8, v2
	v_ashrrev_i32_e32 v6, 31, v5
	s_delay_alu instid0(VALU_DEP_4) | instskip(NEXT) | instid1(VALU_DEP_2)
	v_fmac_f32_e32 v3, v9, v2
	v_lshlrev_b64 v[5:6], 3, v[5:6]
	s_delay_alu instid0(VALU_DEP_1) | instskip(NEXT) | instid1(VALU_DEP_2)
	v_add_co_u32 v5, vcc_lo, s2, v5
	v_add_co_ci_u32_e32 v6, vcc_lo, s3, v6, vcc_lo
	global_load_b128 v[12:15], v[5:6], off
	s_waitcnt vmcnt(0)
	v_dual_fmac_f32 v4, v10, v14 :: v_dual_fmac_f32 v1, v9, v0
	v_fmac_f32_e32 v7, v10, v12
	v_fmac_f32_e32 v3, v11, v14
	s_delay_alu instid0(VALU_DEP_3) | instskip(NEXT) | instid1(VALU_DEP_4)
	v_fma_f32 v2, -v11, v15, v4
	v_fmac_f32_e32 v1, v11, v12
	s_delay_alu instid0(VALU_DEP_4) | instskip(NEXT) | instid1(VALU_DEP_4)
	v_fma_f32 v0, -v11, v13, v7
	v_fmac_f32_e32 v3, v10, v15
	s_delay_alu instid0(VALU_DEP_3)
	v_fmac_f32_e32 v1, v10, v13
	global_store_b128 v[5:6], v[0:3], off
.LBB220_33:
	s_nop 0
	s_sendmsg sendmsg(MSG_DEALLOC_VGPRS)
	s_endpgm
	.section	.rodata,"a",@progbits
	.p2align	6, 0x0
	.amdhsa_kernel _ZN9rocsparseL19gebsrmvn_2xn_kernelILj128ELj15ELj32E21rocsparse_complex_numIfEEEvi20rocsparse_direction_NS_24const_host_device_scalarIT2_EEPKiS8_PKS5_SA_S6_PS5_21rocsparse_index_base_b
		.amdhsa_group_segment_fixed_size 0
		.amdhsa_private_segment_fixed_size 0
		.amdhsa_kernarg_size 72
		.amdhsa_user_sgpr_count 15
		.amdhsa_user_sgpr_dispatch_ptr 0
		.amdhsa_user_sgpr_queue_ptr 0
		.amdhsa_user_sgpr_kernarg_segment_ptr 1
		.amdhsa_user_sgpr_dispatch_id 0
		.amdhsa_user_sgpr_private_segment_size 0
		.amdhsa_wavefront_size32 1
		.amdhsa_uses_dynamic_stack 0
		.amdhsa_enable_private_segment 0
		.amdhsa_system_sgpr_workgroup_id_x 1
		.amdhsa_system_sgpr_workgroup_id_y 0
		.amdhsa_system_sgpr_workgroup_id_z 0
		.amdhsa_system_sgpr_workgroup_info 0
		.amdhsa_system_vgpr_workitem_id 0
		.amdhsa_next_free_vgpr 38
		.amdhsa_next_free_sgpr 16
		.amdhsa_reserve_vcc 1
		.amdhsa_float_round_mode_32 0
		.amdhsa_float_round_mode_16_64 0
		.amdhsa_float_denorm_mode_32 3
		.amdhsa_float_denorm_mode_16_64 3
		.amdhsa_dx10_clamp 1
		.amdhsa_ieee_mode 1
		.amdhsa_fp16_overflow 0
		.amdhsa_workgroup_processor_mode 1
		.amdhsa_memory_ordered 1
		.amdhsa_forward_progress 0
		.amdhsa_shared_vgpr_count 0
		.amdhsa_exception_fp_ieee_invalid_op 0
		.amdhsa_exception_fp_denorm_src 0
		.amdhsa_exception_fp_ieee_div_zero 0
		.amdhsa_exception_fp_ieee_overflow 0
		.amdhsa_exception_fp_ieee_underflow 0
		.amdhsa_exception_fp_ieee_inexact 0
		.amdhsa_exception_int_div_zero 0
	.end_amdhsa_kernel
	.section	.text._ZN9rocsparseL19gebsrmvn_2xn_kernelILj128ELj15ELj32E21rocsparse_complex_numIfEEEvi20rocsparse_direction_NS_24const_host_device_scalarIT2_EEPKiS8_PKS5_SA_S6_PS5_21rocsparse_index_base_b,"axG",@progbits,_ZN9rocsparseL19gebsrmvn_2xn_kernelILj128ELj15ELj32E21rocsparse_complex_numIfEEEvi20rocsparse_direction_NS_24const_host_device_scalarIT2_EEPKiS8_PKS5_SA_S6_PS5_21rocsparse_index_base_b,comdat
.Lfunc_end220:
	.size	_ZN9rocsparseL19gebsrmvn_2xn_kernelILj128ELj15ELj32E21rocsparse_complex_numIfEEEvi20rocsparse_direction_NS_24const_host_device_scalarIT2_EEPKiS8_PKS5_SA_S6_PS5_21rocsparse_index_base_b, .Lfunc_end220-_ZN9rocsparseL19gebsrmvn_2xn_kernelILj128ELj15ELj32E21rocsparse_complex_numIfEEEvi20rocsparse_direction_NS_24const_host_device_scalarIT2_EEPKiS8_PKS5_SA_S6_PS5_21rocsparse_index_base_b
                                        ; -- End function
	.section	.AMDGPU.csdata,"",@progbits
; Kernel info:
; codeLenInByte = 2444
; NumSgprs: 18
; NumVgprs: 38
; ScratchSize: 0
; MemoryBound: 0
; FloatMode: 240
; IeeeMode: 1
; LDSByteSize: 0 bytes/workgroup (compile time only)
; SGPRBlocks: 2
; VGPRBlocks: 4
; NumSGPRsForWavesPerEU: 18
; NumVGPRsForWavesPerEU: 38
; Occupancy: 16
; WaveLimiterHint : 1
; COMPUTE_PGM_RSRC2:SCRATCH_EN: 0
; COMPUTE_PGM_RSRC2:USER_SGPR: 15
; COMPUTE_PGM_RSRC2:TRAP_HANDLER: 0
; COMPUTE_PGM_RSRC2:TGID_X_EN: 1
; COMPUTE_PGM_RSRC2:TGID_Y_EN: 0
; COMPUTE_PGM_RSRC2:TGID_Z_EN: 0
; COMPUTE_PGM_RSRC2:TIDIG_COMP_CNT: 0
	.section	.text._ZN9rocsparseL19gebsrmvn_2xn_kernelILj128ELj15ELj64E21rocsparse_complex_numIfEEEvi20rocsparse_direction_NS_24const_host_device_scalarIT2_EEPKiS8_PKS5_SA_S6_PS5_21rocsparse_index_base_b,"axG",@progbits,_ZN9rocsparseL19gebsrmvn_2xn_kernelILj128ELj15ELj64E21rocsparse_complex_numIfEEEvi20rocsparse_direction_NS_24const_host_device_scalarIT2_EEPKiS8_PKS5_SA_S6_PS5_21rocsparse_index_base_b,comdat
	.globl	_ZN9rocsparseL19gebsrmvn_2xn_kernelILj128ELj15ELj64E21rocsparse_complex_numIfEEEvi20rocsparse_direction_NS_24const_host_device_scalarIT2_EEPKiS8_PKS5_SA_S6_PS5_21rocsparse_index_base_b ; -- Begin function _ZN9rocsparseL19gebsrmvn_2xn_kernelILj128ELj15ELj64E21rocsparse_complex_numIfEEEvi20rocsparse_direction_NS_24const_host_device_scalarIT2_EEPKiS8_PKS5_SA_S6_PS5_21rocsparse_index_base_b
	.p2align	8
	.type	_ZN9rocsparseL19gebsrmvn_2xn_kernelILj128ELj15ELj64E21rocsparse_complex_numIfEEEvi20rocsparse_direction_NS_24const_host_device_scalarIT2_EEPKiS8_PKS5_SA_S6_PS5_21rocsparse_index_base_b,@function
_ZN9rocsparseL19gebsrmvn_2xn_kernelILj128ELj15ELj64E21rocsparse_complex_numIfEEEvi20rocsparse_direction_NS_24const_host_device_scalarIT2_EEPKiS8_PKS5_SA_S6_PS5_21rocsparse_index_base_b: ; @_ZN9rocsparseL19gebsrmvn_2xn_kernelILj128ELj15ELj64E21rocsparse_complex_numIfEEEvi20rocsparse_direction_NS_24const_host_device_scalarIT2_EEPKiS8_PKS5_SA_S6_PS5_21rocsparse_index_base_b
; %bb.0:
	s_clause 0x2
	s_load_b64 s[12:13], s[0:1], 0x40
	s_load_b64 s[4:5], s[0:1], 0x8
	;; [unrolled: 1-line block ×3, first 2 shown]
	s_waitcnt lgkmcnt(0)
	s_bitcmp1_b32 s13, 0
	v_mov_b32_e32 v8, s4
	s_cselect_b32 s6, -1, 0
	s_delay_alu instid0(SALU_CYCLE_1)
	s_and_b32 vcc_lo, exec_lo, s6
	s_xor_b32 s6, s6, -1
	s_cbranch_vccz .LBB221_17
; %bb.1:
	v_cndmask_b32_e64 v1, 0, 1, s6
	v_mov_b32_e32 v9, s5
	s_and_not1_b32 vcc_lo, exec_lo, s6
	s_cbranch_vccz .LBB221_18
.LBB221_2:
	s_delay_alu instid0(VALU_DEP_2)
	v_cmp_ne_u32_e32 vcc_lo, 1, v1
	v_mov_b32_e32 v10, s2
	s_cbranch_vccz .LBB221_19
.LBB221_3:
	v_cmp_ne_u32_e32 vcc_lo, 1, v1
	v_mov_b32_e32 v11, s3
	s_cbranch_vccnz .LBB221_5
.LBB221_4:
	v_dual_mov_b32 v1, s2 :: v_dual_mov_b32 v2, s3
	flat_load_b32 v11, v[1:2] offset:4
.LBB221_5:
	s_waitcnt vmcnt(0) lgkmcnt(0)
	v_cmp_eq_f32_e32 vcc_lo, 0, v8
	v_cmp_eq_f32_e64 s2, 0, v9
	s_delay_alu instid0(VALU_DEP_1)
	s_and_b32 s4, vcc_lo, s2
	s_mov_b32 s2, -1
	s_and_saveexec_b32 s3, s4
; %bb.6:
	v_cmp_neq_f32_e32 vcc_lo, 1.0, v10
	v_cmp_neq_f32_e64 s2, 0, v11
	s_delay_alu instid0(VALU_DEP_1) | instskip(NEXT) | instid1(SALU_CYCLE_1)
	s_or_b32 s2, vcc_lo, s2
	s_or_not1_b32 s2, s2, exec_lo
; %bb.7:
	s_or_b32 exec_lo, exec_lo, s3
	s_and_saveexec_b32 s3, s2
	s_cbranch_execz .LBB221_33
; %bb.8:
	s_load_b64 s[2:3], s[0:1], 0x0
	v_lshrrev_b32_e32 v1, 6, v0
	s_delay_alu instid0(VALU_DEP_1) | instskip(SKIP_1) | instid1(VALU_DEP_1)
	v_lshl_or_b32 v1, s15, 1, v1
	s_waitcnt lgkmcnt(0)
	v_cmp_gt_i32_e32 vcc_lo, s2, v1
	s_and_b32 exec_lo, exec_lo, vcc_lo
	s_cbranch_execz .LBB221_33
; %bb.9:
	s_load_b256 s[4:11], s[0:1], 0x10
	v_ashrrev_i32_e32 v2, 31, v1
	v_and_b32_e32 v0, 63, v0
	s_cmp_lg_u32 s3, 0
	s_delay_alu instid0(VALU_DEP_2) | instskip(SKIP_1) | instid1(VALU_DEP_1)
	v_lshlrev_b64 v[2:3], 2, v[1:2]
	s_waitcnt lgkmcnt(0)
	v_add_co_u32 v2, vcc_lo, s4, v2
	s_delay_alu instid0(VALU_DEP_2) | instskip(SKIP_4) | instid1(VALU_DEP_2)
	v_add_co_ci_u32_e32 v3, vcc_lo, s5, v3, vcc_lo
	global_load_b64 v[3:4], v[2:3], off
	s_waitcnt vmcnt(0)
	v_subrev_nc_u32_e32 v2, s12, v3
	v_subrev_nc_u32_e32 v14, s12, v4
	v_add_nc_u32_e32 v2, v2, v0
	s_delay_alu instid0(VALU_DEP_1)
	v_cmp_lt_i32_e64 s2, v2, v14
	s_cbranch_scc0 .LBB221_20
; %bb.10:
	v_dual_mov_b32 v12, 0 :: v_dual_mov_b32 v15, 0
	v_dual_mov_b32 v16, 0 :: v_dual_mov_b32 v13, 0
	s_mov_b32 s3, 0
	s_and_saveexec_b32 s4, s2
	s_cbranch_execz .LBB221_16
; %bb.11:
	v_mul_lo_u32 v17, v2, 30
	v_dual_mov_b32 v5, 0 :: v_dual_mov_b32 v6, v2
	v_dual_mov_b32 v12, 0 :: v_dual_mov_b32 v15, 0
	;; [unrolled: 1-line block ×3, first 2 shown]
	s_mov_b32 s5, 0
.LBB221_12:                             ; =>This Loop Header: Depth=1
                                        ;     Child Loop BB221_13 Depth 2
	s_delay_alu instid0(VALU_DEP_3) | instskip(SKIP_1) | instid1(VALU_DEP_1)
	v_ashrrev_i32_e32 v7, 31, v6
	s_mov_b32 s13, 0
	v_lshlrev_b64 v[18:19], 2, v[6:7]
	s_delay_alu instid0(VALU_DEP_1) | instskip(NEXT) | instid1(VALU_DEP_2)
	v_add_co_u32 v18, vcc_lo, s6, v18
	v_add_co_ci_u32_e32 v19, vcc_lo, s7, v19, vcc_lo
	global_load_b32 v4, v[18:19], off
	s_waitcnt vmcnt(0)
	v_subrev_nc_u32_e32 v4, s12, v4
	s_delay_alu instid0(VALU_DEP_1)
	v_mul_lo_u32 v7, v4, 15
	v_mov_b32_e32 v4, v17
.LBB221_13:                             ;   Parent Loop BB221_12 Depth=1
                                        ; =>  This Inner Loop Header: Depth=2
	s_delay_alu instid0(VALU_DEP_2) | instskip(NEXT) | instid1(VALU_DEP_2)
	v_dual_mov_b32 v21, v5 :: v_dual_add_nc_u32 v20, s13, v7
	v_dual_mov_b32 v23, v5 :: v_dual_add_nc_u32 v22, 2, v4
	v_lshlrev_b64 v[18:19], 3, v[4:5]
	v_dual_mov_b32 v24, v5 :: v_dual_add_nc_u32 v25, 4, v4
	s_delay_alu instid0(VALU_DEP_4)
	v_lshlrev_b64 v[28:29], 3, v[20:21]
	v_mov_b32_e32 v26, v5
	v_lshlrev_b64 v[30:31], 3, v[22:23]
	v_add_nc_u32_e32 v23, 1, v20
	v_add_co_u32 v18, vcc_lo, s8, v18
	v_add_co_ci_u32_e32 v19, vcc_lo, s9, v19, vcc_lo
	v_lshlrev_b64 v[32:33], 3, v[25:26]
	s_delay_alu instid0(VALU_DEP_4)
	v_lshlrev_b64 v[22:23], 3, v[23:24]
	v_add_co_u32 v24, vcc_lo, s10, v28
	v_add_co_ci_u32_e32 v25, vcc_lo, s11, v29, vcc_lo
	v_add_co_u32 v28, vcc_lo, s8, v30
	v_add_co_ci_u32_e32 v29, vcc_lo, s9, v31, vcc_lo
	v_add_co_u32 v30, vcc_lo, s8, v32
	v_dual_mov_b32 v27, v5 :: v_dual_add_nc_u32 v26, 2, v20
	global_load_b128 v[18:21], v[18:19], off
	v_add_co_ci_u32_e32 v31, vcc_lo, s9, v33, vcc_lo
	global_load_b64 v[32:33], v[24:25], off
	v_add_co_u32 v34, vcc_lo, s10, v22
	v_add_co_ci_u32_e32 v35, vcc_lo, s11, v23, vcc_lo
	v_lshlrev_b64 v[26:27], 3, v[26:27]
	s_add_i32 s13, s13, 3
	v_add_nc_u32_e32 v4, 6, v4
	global_load_b64 v[34:35], v[34:35], off
	global_load_b128 v[22:25], v[28:29], off
	s_cmp_eq_u32 s13, 15
	v_add_co_u32 v36, vcc_lo, s10, v26
	v_add_co_ci_u32_e32 v37, vcc_lo, s11, v27, vcc_lo
	global_load_b128 v[26:29], v[30:31], off
	global_load_b64 v[30:31], v[36:37], off
	s_waitcnt vmcnt(4)
	v_fmac_f32_e32 v13, v21, v32
	s_delay_alu instid0(VALU_DEP_1) | instskip(NEXT) | instid1(VALU_DEP_1)
	v_dual_fmac_f32 v12, v19, v32 :: v_dual_fmac_f32 v13, v20, v33
	v_fmac_f32_e32 v12, v18, v33
	s_waitcnt vmcnt(2)
	s_delay_alu instid0(VALU_DEP_1) | instskip(NEXT) | instid1(VALU_DEP_1)
	v_dual_fmac_f32 v15, v18, v32 :: v_dual_fmac_f32 v12, v23, v34
	v_fma_f32 v15, -v19, v33, v15
	v_dual_fmac_f32 v16, v20, v32 :: v_dual_fmac_f32 v13, v25, v34
	s_delay_alu instid0(VALU_DEP_3) | instskip(NEXT) | instid1(VALU_DEP_3)
	v_fmac_f32_e32 v12, v22, v35
	v_fmac_f32_e32 v15, v22, v34
	s_delay_alu instid0(VALU_DEP_3) | instskip(SKIP_1) | instid1(VALU_DEP_3)
	v_fma_f32 v16, -v21, v33, v16
	s_waitcnt vmcnt(0)
	v_dual_fmac_f32 v13, v24, v35 :: v_dual_fmac_f32 v12, v27, v30
	s_delay_alu instid0(VALU_DEP_3) | instskip(NEXT) | instid1(VALU_DEP_3)
	v_fma_f32 v15, -v23, v35, v15
	v_fmac_f32_e32 v16, v24, v34
	s_delay_alu instid0(VALU_DEP_3) | instskip(NEXT) | instid1(VALU_DEP_3)
	v_dual_fmac_f32 v13, v29, v30 :: v_dual_fmac_f32 v12, v26, v31
	v_fmac_f32_e32 v15, v26, v30
	s_delay_alu instid0(VALU_DEP_3) | instskip(NEXT) | instid1(VALU_DEP_3)
	v_fma_f32 v16, -v25, v35, v16
	v_fmac_f32_e32 v13, v28, v31
	s_delay_alu instid0(VALU_DEP_3) | instskip(NEXT) | instid1(VALU_DEP_3)
	v_fma_f32 v15, -v27, v31, v15
	v_fmac_f32_e32 v16, v28, v30
	s_delay_alu instid0(VALU_DEP_1)
	v_fma_f32 v16, -v29, v31, v16
	s_cbranch_scc0 .LBB221_13
; %bb.14:                               ;   in Loop: Header=BB221_12 Depth=1
	v_add_nc_u32_e32 v6, 64, v6
	v_add_nc_u32_e32 v17, 0x780, v17
	s_delay_alu instid0(VALU_DEP_2) | instskip(SKIP_1) | instid1(SALU_CYCLE_1)
	v_cmp_ge_i32_e32 vcc_lo, v6, v14
	s_or_b32 s5, vcc_lo, s5
	s_and_not1_b32 exec_lo, exec_lo, s5
	s_cbranch_execnz .LBB221_12
; %bb.15:
	s_or_b32 exec_lo, exec_lo, s5
.LBB221_16:
	s_delay_alu instid0(SALU_CYCLE_1) | instskip(NEXT) | instid1(SALU_CYCLE_1)
	s_or_b32 exec_lo, exec_lo, s4
	s_and_not1_b32 vcc_lo, exec_lo, s3
	s_cbranch_vccz .LBB221_21
	s_branch .LBB221_28
.LBB221_17:
	v_dual_mov_b32 v1, s4 :: v_dual_mov_b32 v2, s5
	flat_load_b32 v8, v[1:2]
	v_cndmask_b32_e64 v1, 0, 1, s6
	v_mov_b32_e32 v9, s5
	s_and_not1_b32 vcc_lo, exec_lo, s6
	s_cbranch_vccnz .LBB221_2
.LBB221_18:
	v_dual_mov_b32 v2, s4 :: v_dual_mov_b32 v3, s5
	flat_load_b32 v9, v[2:3] offset:4
	v_cmp_ne_u32_e32 vcc_lo, 1, v1
	v_mov_b32_e32 v10, s2
	s_cbranch_vccnz .LBB221_3
.LBB221_19:
	v_dual_mov_b32 v2, s2 :: v_dual_mov_b32 v3, s3
	flat_load_b32 v10, v[2:3]
	v_cmp_ne_u32_e32 vcc_lo, 1, v1
	v_mov_b32_e32 v11, s3
	s_cbranch_vccz .LBB221_4
	s_branch .LBB221_5
.LBB221_20:
                                        ; implicit-def: $vgpr12
                                        ; implicit-def: $vgpr15
                                        ; implicit-def: $vgpr16
                                        ; implicit-def: $vgpr13
.LBB221_21:
	v_dual_mov_b32 v12, 0 :: v_dual_mov_b32 v15, 0
	v_dual_mov_b32 v16, 0 :: v_dual_mov_b32 v13, 0
	s_delay_alu instid0(VALU_DEP_3)
	s_and_saveexec_b32 s3, s2
	s_cbranch_execz .LBB221_27
; %bb.22:
	v_mul_lo_u32 v3, v3, 30
	v_mul_lo_u32 v5, v2, 30
	s_mul_i32 s2, s12, 30
	v_dual_mov_b32 v4, 0 :: v_dual_mov_b32 v15, 0
	v_dual_mov_b32 v12, 0 :: v_dual_mov_b32 v13, 0
	v_mov_b32_e32 v16, 0
	v_mad_u32_u24 v3, v0, 30, v3
	s_delay_alu instid0(VALU_DEP_1)
	v_subrev_nc_u32_e32 v6, s2, v3
	s_mov_b32 s2, 0
.LBB221_23:                             ; =>This Loop Header: Depth=1
                                        ;     Child Loop BB221_24 Depth 2
	v_ashrrev_i32_e32 v3, 31, v2
	s_mov_b32 s4, 0
	s_delay_alu instid0(VALU_DEP_1) | instskip(NEXT) | instid1(VALU_DEP_1)
	v_lshlrev_b64 v[17:18], 2, v[2:3]
	v_add_co_u32 v17, vcc_lo, s6, v17
	s_delay_alu instid0(VALU_DEP_2) | instskip(SKIP_3) | instid1(VALU_DEP_1)
	v_add_co_ci_u32_e32 v18, vcc_lo, s7, v18, vcc_lo
	global_load_b32 v3, v[17:18], off
	s_waitcnt vmcnt(0)
	v_subrev_nc_u32_e32 v3, s12, v3
	v_mul_lo_u32 v7, v3, 15
.LBB221_24:                             ;   Parent Loop BB221_23 Depth=1
                                        ; =>  This Inner Loop Header: Depth=2
	v_dual_mov_b32 v18, v4 :: v_dual_add_nc_u32 v3, s4, v6
	v_dual_mov_b32 v21, v4 :: v_dual_add_nc_u32 v34, s4, v5
	v_mov_b32_e32 v20, v4
	s_delay_alu instid0(VALU_DEP_3) | instskip(SKIP_1) | instid1(VALU_DEP_4)
	v_lshlrev_b64 v[26:27], 3, v[3:4]
	v_add_nc_u32_e32 v3, s4, v7
	v_add_nc_u32_e32 v19, 1, v34
	v_dual_mov_b32 v23, v4 :: v_dual_add_nc_u32 v22, 16, v34
	v_dual_mov_b32 v25, v4 :: v_dual_add_nc_u32 v24, 2, v34
	v_add_co_u32 v26, vcc_lo, s8, v26
	v_add_co_ci_u32_e32 v27, vcc_lo, s9, v27, vcc_lo
	v_lshlrev_b64 v[28:29], 3, v[3:4]
	v_lshlrev_b64 v[30:31], 3, v[19:20]
	;; [unrolled: 1-line block ×3, first 2 shown]
	global_load_b64 v[26:27], v[26:27], off
	v_add_nc_u32_e32 v17, 15, v34
	v_lshlrev_b64 v[24:25], 3, v[24:25]
	v_add_co_u32 v28, vcc_lo, s10, v28
	v_add_co_ci_u32_e32 v29, vcc_lo, s11, v29, vcc_lo
	s_delay_alu instid0(VALU_DEP_4) | instskip(SKIP_1) | instid1(SALU_CYCLE_1)
	v_lshlrev_b64 v[17:18], 3, v[17:18]
	s_add_i32 s4, s4, 3
	s_cmp_eq_u32 s4, 15
	s_delay_alu instid0(VALU_DEP_1) | instskip(NEXT) | instid1(VALU_DEP_2)
	v_add_co_u32 v17, vcc_lo, s8, v17
	v_add_co_ci_u32_e32 v18, vcc_lo, s9, v18, vcc_lo
	v_add_co_u32 v30, vcc_lo, s8, v30
	v_add_co_ci_u32_e32 v31, vcc_lo, s9, v31, vcc_lo
	global_load_b64 v[28:29], v[28:29], off
	s_clause 0x1
	global_load_b64 v[17:18], v[17:18], off
	global_load_b64 v[30:31], v[30:31], off
	s_waitcnt vmcnt(2)
	v_dual_fmac_f32 v15, v26, v28 :: v_dual_add_nc_u32 v20, 1, v3
	s_delay_alu instid0(VALU_DEP_1)
	v_lshlrev_b64 v[19:20], 3, v[20:21]
	v_add_co_u32 v21, vcc_lo, s8, v22
	v_add_co_ci_u32_e32 v22, vcc_lo, s9, v23, vcc_lo
	v_add_co_u32 v23, vcc_lo, s8, v24
	v_add_co_ci_u32_e32 v24, vcc_lo, s9, v25, vcc_lo
	;; [unrolled: 2-line block ×3, first 2 shown]
	v_dual_fmac_f32 v12, v27, v28 :: v_dual_add_nc_u32 v3, 2, v3
	global_load_b64 v[21:22], v[21:22], off
	global_load_b64 v[19:20], v[19:20], off
	s_waitcnt vmcnt(3)
	v_fmac_f32_e32 v16, v17, v28
	v_fmac_f32_e32 v12, v26, v29
	v_lshlrev_b64 v[32:33], 3, v[3:4]
	v_add_nc_u32_e32 v3, 17, v34
	s_delay_alu instid0(VALU_DEP_2) | instskip(NEXT) | instid1(VALU_DEP_3)
	v_add_co_u32 v32, vcc_lo, s10, v32
	v_add_co_ci_u32_e32 v33, vcc_lo, s11, v33, vcc_lo
	s_waitcnt vmcnt(0)
	v_fmac_f32_e32 v12, v31, v19
	v_lshlrev_b64 v[34:35], 3, v[3:4]
	v_fma_f32 v3, -v27, v29, v15
	v_fma_f32 v15, -v18, v29, v16
	s_delay_alu instid0(VALU_DEP_4) | instskip(NEXT) | instid1(VALU_DEP_4)
	v_fmac_f32_e32 v12, v30, v20
	v_add_co_u32 v34, vcc_lo, s8, v34
	v_add_co_ci_u32_e32 v35, vcc_lo, s9, v35, vcc_lo
	global_load_b64 v[23:24], v[23:24], off
	global_load_b64 v[32:33], v[32:33], off
	;; [unrolled: 1-line block ×3, first 2 shown]
	v_fmac_f32_e32 v15, v21, v19
	v_fmac_f32_e32 v3, v30, v19
	s_delay_alu instid0(VALU_DEP_2)
	v_fma_f32 v16, -v22, v20, v15
	s_waitcnt vmcnt(1)
	v_fmac_f32_e32 v12, v24, v32
	v_fmac_f32_e32 v13, v18, v28
	s_waitcnt vmcnt(0)
	v_fmac_f32_e32 v16, v34, v32
	v_fma_f32 v3, -v31, v20, v3
	v_fmac_f32_e32 v12, v23, v33
	v_fmac_f32_e32 v13, v17, v29
	s_delay_alu instid0(VALU_DEP_4) | instskip(NEXT) | instid1(VALU_DEP_4)
	v_fma_f32 v16, -v35, v33, v16
	v_fmac_f32_e32 v3, v23, v32
	s_delay_alu instid0(VALU_DEP_3) | instskip(NEXT) | instid1(VALU_DEP_2)
	v_fmac_f32_e32 v13, v22, v19
	v_fma_f32 v15, -v24, v33, v3
	s_delay_alu instid0(VALU_DEP_2) | instskip(NEXT) | instid1(VALU_DEP_1)
	v_fmac_f32_e32 v13, v21, v20
	v_fmac_f32_e32 v13, v35, v32
	s_delay_alu instid0(VALU_DEP_1)
	v_fmac_f32_e32 v13, v34, v33
	s_cbranch_scc0 .LBB221_24
; %bb.25:                               ;   in Loop: Header=BB221_23 Depth=1
	v_add_nc_u32_e32 v2, 64, v2
	v_add_nc_u32_e32 v5, 0x780, v5
	v_add_nc_u32_e32 v6, 0x780, v6
	s_delay_alu instid0(VALU_DEP_3) | instskip(SKIP_1) | instid1(SALU_CYCLE_1)
	v_cmp_ge_i32_e32 vcc_lo, v2, v14
	s_or_b32 s2, vcc_lo, s2
	s_and_not1_b32 exec_lo, exec_lo, s2
	s_cbranch_execnz .LBB221_23
; %bb.26:
	s_or_b32 exec_lo, exec_lo, s2
.LBB221_27:
	s_delay_alu instid0(SALU_CYCLE_1)
	s_or_b32 exec_lo, exec_lo, s3
.LBB221_28:
	v_mbcnt_lo_u32_b32 v2, -1, 0
	s_delay_alu instid0(VALU_DEP_1) | instskip(SKIP_1) | instid1(VALU_DEP_2)
	v_or_b32_e32 v3, 32, v2
	v_xor_b32_e32 v7, 16, v2
	v_cmp_gt_i32_e32 vcc_lo, 32, v3
	v_cndmask_b32_e32 v3, v2, v3, vcc_lo
	s_delay_alu instid0(VALU_DEP_3) | instskip(NEXT) | instid1(VALU_DEP_2)
	v_cmp_gt_i32_e32 vcc_lo, 32, v7
	v_lshlrev_b32_e32 v3, 2, v3
	ds_bpermute_b32 v6, v3, v16
	s_waitcnt lgkmcnt(0)
	v_add_f32_e32 v6, v16, v6
	ds_bpermute_b32 v4, v3, v15
	ds_bpermute_b32 v5, v3, v12
	;; [unrolled: 1-line block ×3, first 2 shown]
	s_waitcnt lgkmcnt(2)
	v_dual_add_f32 v4, v15, v4 :: v_dual_cndmask_b32 v7, v2, v7
	s_waitcnt lgkmcnt(1)
	v_add_f32_e32 v5, v12, v5
	v_xor_b32_e32 v15, 8, v2
	s_delay_alu instid0(VALU_DEP_3) | instskip(NEXT) | instid1(VALU_DEP_2)
	v_lshlrev_b32_e32 v7, 2, v7
	v_cmp_gt_i32_e32 vcc_lo, 32, v15
	ds_bpermute_b32 v14, v7, v6
	v_cndmask_b32_e32 v15, v2, v15, vcc_lo
	s_waitcnt lgkmcnt(0)
	s_delay_alu instid0(VALU_DEP_1)
	v_dual_add_f32 v6, v6, v14 :: v_dual_lshlrev_b32 v15, 2, v15
	v_add_f32_e32 v3, v13, v3
	ds_bpermute_b32 v12, v7, v4
	ds_bpermute_b32 v13, v7, v5
	s_waitcnt lgkmcnt(0)
	v_dual_add_f32 v4, v4, v12 :: v_dual_add_f32 v5, v5, v13
	ds_bpermute_b32 v13, v15, v6
	s_waitcnt lgkmcnt(0)
	v_add_f32_e32 v6, v6, v13
	ds_bpermute_b32 v7, v7, v3
	s_waitcnt lgkmcnt(0)
	v_add_f32_e32 v3, v3, v7
	ds_bpermute_b32 v7, v15, v4
	ds_bpermute_b32 v14, v15, v3
	s_waitcnt lgkmcnt(1)
	v_add_f32_e32 v4, v4, v7
	ds_bpermute_b32 v12, v15, v5
	v_xor_b32_e32 v15, 4, v2
	s_delay_alu instid0(VALU_DEP_1) | instskip(SKIP_1) | instid1(VALU_DEP_1)
	v_cmp_gt_i32_e32 vcc_lo, 32, v15
	v_cndmask_b32_e32 v15, v2, v15, vcc_lo
	v_lshlrev_b32_e32 v15, 2, v15
	ds_bpermute_b32 v7, v15, v4
	s_waitcnt lgkmcnt(1)
	v_add_f32_e32 v5, v5, v12
	ds_bpermute_b32 v13, v15, v6
	s_waitcnt lgkmcnt(1)
	v_dual_add_f32 v4, v4, v7 :: v_dual_add_f32 v3, v3, v14
	ds_bpermute_b32 v12, v15, v5
	s_waitcnt lgkmcnt(1)
	v_add_f32_e32 v6, v6, v13
	ds_bpermute_b32 v14, v15, v3
	v_xor_b32_e32 v15, 2, v2
	s_delay_alu instid0(VALU_DEP_1) | instskip(SKIP_1) | instid1(VALU_DEP_1)
	v_cmp_gt_i32_e32 vcc_lo, 32, v15
	v_cndmask_b32_e32 v15, v2, v15, vcc_lo
	v_lshlrev_b32_e32 v15, 2, v15
	s_waitcnt lgkmcnt(1)
	v_add_f32_e32 v5, v5, v12
	ds_bpermute_b32 v7, v15, v4
	ds_bpermute_b32 v12, v15, v5
	;; [unrolled: 1-line block ×3, first 2 shown]
	s_waitcnt lgkmcnt(2)
	v_dual_add_f32 v4, v4, v7 :: v_dual_add_f32 v3, v3, v14
	s_waitcnt lgkmcnt(1)
	v_add_f32_e32 v5, v5, v12
	ds_bpermute_b32 v14, v15, v3
	v_xor_b32_e32 v15, 1, v2
	s_delay_alu instid0(VALU_DEP_1) | instskip(SKIP_3) | instid1(VALU_DEP_2)
	v_cmp_gt_i32_e32 vcc_lo, 32, v15
	v_cndmask_b32_e32 v2, v2, v15, vcc_lo
	v_cmp_eq_u32_e32 vcc_lo, 63, v0
	s_waitcnt lgkmcnt(1)
	v_dual_add_f32 v2, v6, v13 :: v_dual_lshlrev_b32 v15, 2, v2
	s_waitcnt lgkmcnt(0)
	v_add_f32_e32 v3, v3, v14
	ds_bpermute_b32 v12, v15, v4
	ds_bpermute_b32 v13, v15, v5
	;; [unrolled: 1-line block ×4, first 2 shown]
	s_and_b32 exec_lo, exec_lo, vcc_lo
	s_cbranch_execz .LBB221_33
; %bb.29:
	s_load_b64 s[2:3], s[0:1], 0x38
	v_cmp_eq_f32_e32 vcc_lo, 0, v10
	v_cmp_eq_f32_e64 s0, 0, v11
	s_waitcnt lgkmcnt(0)
	v_dual_add_f32 v0, v4, v12 :: v_dual_add_f32 v3, v3, v7
	v_add_f32_e32 v4, v5, v13
	v_add_f32_e32 v2, v2, v6
	s_and_b32 s0, vcc_lo, s0
	s_delay_alu instid0(SALU_CYCLE_1) | instskip(NEXT) | instid1(SALU_CYCLE_1)
	s_and_saveexec_b32 s1, s0
	s_xor_b32 s0, exec_lo, s1
	s_cbranch_execz .LBB221_31
; %bb.30:
	v_mul_f32_e64 v10, v4, -v9
	v_lshlrev_b32_e32 v5, 1, v1
	v_mul_f32_e32 v11, v4, v8
	v_mul_f32_e64 v12, v3, -v9
	v_mul_f32_e32 v13, v3, v8
	v_fmac_f32_e32 v10, v8, v0
	v_ashrrev_i32_e32 v6, 31, v5
	s_delay_alu instid0(VALU_DEP_4) | instskip(NEXT) | instid1(VALU_DEP_4)
	v_dual_fmac_f32 v11, v9, v0 :: v_dual_fmac_f32 v12, v8, v2
	v_fmac_f32_e32 v13, v9, v2
                                        ; implicit-def: $vgpr8
                                        ; implicit-def: $vgpr9
                                        ; implicit-def: $vgpr2
                                        ; implicit-def: $vgpr3
	s_delay_alu instid0(VALU_DEP_3) | instskip(NEXT) | instid1(VALU_DEP_1)
	v_lshlrev_b64 v[4:5], 3, v[5:6]
	v_add_co_u32 v0, vcc_lo, s2, v4
	s_delay_alu instid0(VALU_DEP_2)
	v_add_co_ci_u32_e32 v1, vcc_lo, s3, v5, vcc_lo
                                        ; implicit-def: $vgpr4
	global_store_b128 v[0:1], v[10:13], off
                                        ; implicit-def: $vgpr10
                                        ; implicit-def: $vgpr11
                                        ; implicit-def: $vgpr1
                                        ; implicit-def: $vgpr0
.LBB221_31:
	s_and_not1_saveexec_b32 s0, s0
	s_cbranch_execz .LBB221_33
; %bb.32:
	v_lshlrev_b32_e32 v5, 1, v1
	v_mul_f32_e64 v7, v4, -v9
	v_mul_f32_e32 v1, v4, v8
	v_mul_f32_e64 v4, v3, -v9
	v_mul_f32_e32 v3, v3, v8
	s_delay_alu instid0(VALU_DEP_4) | instskip(NEXT) | instid1(VALU_DEP_3)
	v_fmac_f32_e32 v7, v8, v0
	v_fmac_f32_e32 v4, v8, v2
	v_ashrrev_i32_e32 v6, 31, v5
	s_delay_alu instid0(VALU_DEP_4) | instskip(NEXT) | instid1(VALU_DEP_2)
	v_fmac_f32_e32 v3, v9, v2
	v_lshlrev_b64 v[5:6], 3, v[5:6]
	s_delay_alu instid0(VALU_DEP_1) | instskip(NEXT) | instid1(VALU_DEP_2)
	v_add_co_u32 v5, vcc_lo, s2, v5
	v_add_co_ci_u32_e32 v6, vcc_lo, s3, v6, vcc_lo
	global_load_b128 v[12:15], v[5:6], off
	s_waitcnt vmcnt(0)
	v_dual_fmac_f32 v4, v10, v14 :: v_dual_fmac_f32 v1, v9, v0
	v_fmac_f32_e32 v7, v10, v12
	v_fmac_f32_e32 v3, v11, v14
	s_delay_alu instid0(VALU_DEP_3) | instskip(NEXT) | instid1(VALU_DEP_4)
	v_fma_f32 v2, -v11, v15, v4
	v_fmac_f32_e32 v1, v11, v12
	s_delay_alu instid0(VALU_DEP_4) | instskip(NEXT) | instid1(VALU_DEP_4)
	v_fma_f32 v0, -v11, v13, v7
	v_fmac_f32_e32 v3, v10, v15
	s_delay_alu instid0(VALU_DEP_3)
	v_fmac_f32_e32 v1, v10, v13
	global_store_b128 v[5:6], v[0:3], off
.LBB221_33:
	s_nop 0
	s_sendmsg sendmsg(MSG_DEALLOC_VGPRS)
	s_endpgm
	.section	.rodata,"a",@progbits
	.p2align	6, 0x0
	.amdhsa_kernel _ZN9rocsparseL19gebsrmvn_2xn_kernelILj128ELj15ELj64E21rocsparse_complex_numIfEEEvi20rocsparse_direction_NS_24const_host_device_scalarIT2_EEPKiS8_PKS5_SA_S6_PS5_21rocsparse_index_base_b
		.amdhsa_group_segment_fixed_size 0
		.amdhsa_private_segment_fixed_size 0
		.amdhsa_kernarg_size 72
		.amdhsa_user_sgpr_count 15
		.amdhsa_user_sgpr_dispatch_ptr 0
		.amdhsa_user_sgpr_queue_ptr 0
		.amdhsa_user_sgpr_kernarg_segment_ptr 1
		.amdhsa_user_sgpr_dispatch_id 0
		.amdhsa_user_sgpr_private_segment_size 0
		.amdhsa_wavefront_size32 1
		.amdhsa_uses_dynamic_stack 0
		.amdhsa_enable_private_segment 0
		.amdhsa_system_sgpr_workgroup_id_x 1
		.amdhsa_system_sgpr_workgroup_id_y 0
		.amdhsa_system_sgpr_workgroup_id_z 0
		.amdhsa_system_sgpr_workgroup_info 0
		.amdhsa_system_vgpr_workitem_id 0
		.amdhsa_next_free_vgpr 38
		.amdhsa_next_free_sgpr 16
		.amdhsa_reserve_vcc 1
		.amdhsa_float_round_mode_32 0
		.amdhsa_float_round_mode_16_64 0
		.amdhsa_float_denorm_mode_32 3
		.amdhsa_float_denorm_mode_16_64 3
		.amdhsa_dx10_clamp 1
		.amdhsa_ieee_mode 1
		.amdhsa_fp16_overflow 0
		.amdhsa_workgroup_processor_mode 1
		.amdhsa_memory_ordered 1
		.amdhsa_forward_progress 0
		.amdhsa_shared_vgpr_count 0
		.amdhsa_exception_fp_ieee_invalid_op 0
		.amdhsa_exception_fp_denorm_src 0
		.amdhsa_exception_fp_ieee_div_zero 0
		.amdhsa_exception_fp_ieee_overflow 0
		.amdhsa_exception_fp_ieee_underflow 0
		.amdhsa_exception_fp_ieee_inexact 0
		.amdhsa_exception_int_div_zero 0
	.end_amdhsa_kernel
	.section	.text._ZN9rocsparseL19gebsrmvn_2xn_kernelILj128ELj15ELj64E21rocsparse_complex_numIfEEEvi20rocsparse_direction_NS_24const_host_device_scalarIT2_EEPKiS8_PKS5_SA_S6_PS5_21rocsparse_index_base_b,"axG",@progbits,_ZN9rocsparseL19gebsrmvn_2xn_kernelILj128ELj15ELj64E21rocsparse_complex_numIfEEEvi20rocsparse_direction_NS_24const_host_device_scalarIT2_EEPKiS8_PKS5_SA_S6_PS5_21rocsparse_index_base_b,comdat
.Lfunc_end221:
	.size	_ZN9rocsparseL19gebsrmvn_2xn_kernelILj128ELj15ELj64E21rocsparse_complex_numIfEEEvi20rocsparse_direction_NS_24const_host_device_scalarIT2_EEPKiS8_PKS5_SA_S6_PS5_21rocsparse_index_base_b, .Lfunc_end221-_ZN9rocsparseL19gebsrmvn_2xn_kernelILj128ELj15ELj64E21rocsparse_complex_numIfEEEvi20rocsparse_direction_NS_24const_host_device_scalarIT2_EEPKiS8_PKS5_SA_S6_PS5_21rocsparse_index_base_b
                                        ; -- End function
	.section	.AMDGPU.csdata,"",@progbits
; Kernel info:
; codeLenInByte = 2524
; NumSgprs: 18
; NumVgprs: 38
; ScratchSize: 0
; MemoryBound: 0
; FloatMode: 240
; IeeeMode: 1
; LDSByteSize: 0 bytes/workgroup (compile time only)
; SGPRBlocks: 2
; VGPRBlocks: 4
; NumSGPRsForWavesPerEU: 18
; NumVGPRsForWavesPerEU: 38
; Occupancy: 16
; WaveLimiterHint : 1
; COMPUTE_PGM_RSRC2:SCRATCH_EN: 0
; COMPUTE_PGM_RSRC2:USER_SGPR: 15
; COMPUTE_PGM_RSRC2:TRAP_HANDLER: 0
; COMPUTE_PGM_RSRC2:TGID_X_EN: 1
; COMPUTE_PGM_RSRC2:TGID_Y_EN: 0
; COMPUTE_PGM_RSRC2:TGID_Z_EN: 0
; COMPUTE_PGM_RSRC2:TIDIG_COMP_CNT: 0
	.section	.text._ZN9rocsparseL19gebsrmvn_2xn_kernelILj128ELj16ELj4E21rocsparse_complex_numIfEEEvi20rocsparse_direction_NS_24const_host_device_scalarIT2_EEPKiS8_PKS5_SA_S6_PS5_21rocsparse_index_base_b,"axG",@progbits,_ZN9rocsparseL19gebsrmvn_2xn_kernelILj128ELj16ELj4E21rocsparse_complex_numIfEEEvi20rocsparse_direction_NS_24const_host_device_scalarIT2_EEPKiS8_PKS5_SA_S6_PS5_21rocsparse_index_base_b,comdat
	.globl	_ZN9rocsparseL19gebsrmvn_2xn_kernelILj128ELj16ELj4E21rocsparse_complex_numIfEEEvi20rocsparse_direction_NS_24const_host_device_scalarIT2_EEPKiS8_PKS5_SA_S6_PS5_21rocsparse_index_base_b ; -- Begin function _ZN9rocsparseL19gebsrmvn_2xn_kernelILj128ELj16ELj4E21rocsparse_complex_numIfEEEvi20rocsparse_direction_NS_24const_host_device_scalarIT2_EEPKiS8_PKS5_SA_S6_PS5_21rocsparse_index_base_b
	.p2align	8
	.type	_ZN9rocsparseL19gebsrmvn_2xn_kernelILj128ELj16ELj4E21rocsparse_complex_numIfEEEvi20rocsparse_direction_NS_24const_host_device_scalarIT2_EEPKiS8_PKS5_SA_S6_PS5_21rocsparse_index_base_b,@function
_ZN9rocsparseL19gebsrmvn_2xn_kernelILj128ELj16ELj4E21rocsparse_complex_numIfEEEvi20rocsparse_direction_NS_24const_host_device_scalarIT2_EEPKiS8_PKS5_SA_S6_PS5_21rocsparse_index_base_b: ; @_ZN9rocsparseL19gebsrmvn_2xn_kernelILj128ELj16ELj4E21rocsparse_complex_numIfEEEvi20rocsparse_direction_NS_24const_host_device_scalarIT2_EEPKiS8_PKS5_SA_S6_PS5_21rocsparse_index_base_b
; %bb.0:
	s_clause 0x2
	s_load_b64 s[12:13], s[0:1], 0x40
	s_load_b64 s[4:5], s[0:1], 0x8
	;; [unrolled: 1-line block ×3, first 2 shown]
	s_waitcnt lgkmcnt(0)
	s_bitcmp1_b32 s13, 0
	v_mov_b32_e32 v12, s4
	s_cselect_b32 s6, -1, 0
	s_delay_alu instid0(SALU_CYCLE_1)
	s_and_b32 vcc_lo, exec_lo, s6
	s_xor_b32 s6, s6, -1
	s_cbranch_vccz .LBB222_17
; %bb.1:
	v_cndmask_b32_e64 v1, 0, 1, s6
	v_mov_b32_e32 v13, s5
	s_and_not1_b32 vcc_lo, exec_lo, s6
	s_cbranch_vccz .LBB222_18
.LBB222_2:
	s_delay_alu instid0(VALU_DEP_2)
	v_cmp_ne_u32_e32 vcc_lo, 1, v1
	v_mov_b32_e32 v14, s2
	s_cbranch_vccz .LBB222_19
.LBB222_3:
	v_cmp_ne_u32_e32 vcc_lo, 1, v1
	v_mov_b32_e32 v15, s3
	s_cbranch_vccnz .LBB222_5
.LBB222_4:
	v_dual_mov_b32 v1, s2 :: v_dual_mov_b32 v2, s3
	flat_load_b32 v15, v[1:2] offset:4
.LBB222_5:
	s_waitcnt vmcnt(0) lgkmcnt(0)
	v_cmp_eq_f32_e32 vcc_lo, 0, v12
	v_cmp_eq_f32_e64 s2, 0, v13
	s_delay_alu instid0(VALU_DEP_1)
	s_and_b32 s4, vcc_lo, s2
	s_mov_b32 s2, -1
	s_and_saveexec_b32 s3, s4
; %bb.6:
	v_cmp_neq_f32_e32 vcc_lo, 1.0, v14
	v_cmp_neq_f32_e64 s2, 0, v15
	s_delay_alu instid0(VALU_DEP_1) | instskip(NEXT) | instid1(SALU_CYCLE_1)
	s_or_b32 s2, vcc_lo, s2
	s_or_not1_b32 s2, s2, exec_lo
; %bb.7:
	s_or_b32 exec_lo, exec_lo, s3
	s_and_saveexec_b32 s3, s2
	s_cbranch_execz .LBB222_33
; %bb.8:
	s_load_b64 s[2:3], s[0:1], 0x0
	v_lshrrev_b32_e32 v1, 2, v0
	s_delay_alu instid0(VALU_DEP_1) | instskip(SKIP_1) | instid1(VALU_DEP_1)
	v_lshl_or_b32 v1, s15, 5, v1
	s_waitcnt lgkmcnt(0)
	v_cmp_gt_i32_e32 vcc_lo, s2, v1
	s_and_b32 exec_lo, exec_lo, vcc_lo
	s_cbranch_execz .LBB222_33
; %bb.9:
	s_load_b256 s[4:11], s[0:1], 0x10
	v_ashrrev_i32_e32 v2, 31, v1
	v_and_b32_e32 v0, 3, v0
	s_cmp_lg_u32 s3, 0
	s_delay_alu instid0(VALU_DEP_2) | instskip(SKIP_1) | instid1(VALU_DEP_1)
	v_lshlrev_b64 v[2:3], 2, v[1:2]
	s_waitcnt lgkmcnt(0)
	v_add_co_u32 v2, vcc_lo, s4, v2
	s_delay_alu instid0(VALU_DEP_2) | instskip(SKIP_4) | instid1(VALU_DEP_2)
	v_add_co_ci_u32_e32 v3, vcc_lo, s5, v3, vcc_lo
	global_load_b64 v[2:3], v[2:3], off
	s_waitcnt vmcnt(0)
	v_subrev_nc_u32_e32 v2, s12, v2
	v_subrev_nc_u32_e32 v18, s12, v3
	v_add_nc_u32_e32 v2, v2, v0
	s_delay_alu instid0(VALU_DEP_1)
	v_cmp_lt_i32_e64 s2, v2, v18
	s_cbranch_scc0 .LBB222_20
; %bb.10:
	v_dual_mov_b32 v16, 0 :: v_dual_mov_b32 v19, 0
	v_dual_mov_b32 v20, 0 :: v_dual_mov_b32 v17, 0
	s_mov_b32 s13, 0
	s_and_saveexec_b32 s14, s2
	s_cbranch_execz .LBB222_16
; %bb.11:
	v_dual_mov_b32 v6, 0 :: v_dual_lshlrev_b32 v3, 5, v2
	v_dual_mov_b32 v7, v2 :: v_dual_mov_b32 v16, 0
	v_dual_mov_b32 v19, 0 :: v_dual_mov_b32 v20, 0
	s_delay_alu instid0(VALU_DEP_3)
	v_or_b32_e32 v21, 6, v3
	v_mov_b32_e32 v17, 0
	s_add_u32 s15, s8, 8
	s_addc_u32 s17, s9, 0
	s_mov_b32 s16, 0
.LBB222_12:                             ; =>This Loop Header: Depth=1
                                        ;     Child Loop BB222_13 Depth 2
	v_ashrrev_i32_e32 v8, 31, v7
	v_mov_b32_e32 v10, v21
	s_mov_b64 s[4:5], 0
	s_delay_alu instid0(VALU_DEP_2) | instskip(NEXT) | instid1(VALU_DEP_1)
	v_lshlrev_b64 v[4:5], 2, v[7:8]
	v_add_co_u32 v4, vcc_lo, s6, v4
	s_delay_alu instid0(VALU_DEP_2) | instskip(SKIP_3) | instid1(VALU_DEP_1)
	v_add_co_ci_u32_e32 v5, vcc_lo, s7, v5, vcc_lo
	global_load_b32 v4, v[4:5], off
	s_waitcnt vmcnt(0)
	v_subrev_nc_u32_e32 v5, s12, v4
	v_dual_mov_b32 v4, v6 :: v_dual_lshlrev_b32 v5, 4, v5
	s_delay_alu instid0(VALU_DEP_1) | instskip(NEXT) | instid1(VALU_DEP_2)
	v_lshlrev_b64 v[8:9], 3, v[3:4]
	v_lshlrev_b64 v[4:5], 3, v[5:6]
	s_delay_alu instid0(VALU_DEP_2) | instskip(NEXT) | instid1(VALU_DEP_3)
	v_add_co_u32 v8, vcc_lo, s15, v8
	v_add_co_ci_u32_e32 v9, vcc_lo, s17, v9, vcc_lo
	s_delay_alu instid0(VALU_DEP_3) | instskip(NEXT) | instid1(VALU_DEP_4)
	v_add_co_u32 v4, vcc_lo, s10, v4
	v_add_co_ci_u32_e32 v22, vcc_lo, s11, v5, vcc_lo
.LBB222_13:                             ;   Parent Loop BB222_12 Depth=1
                                        ; =>  This Inner Loop Header: Depth=2
	s_delay_alu instid0(VALU_DEP_2) | instskip(NEXT) | instid1(VALU_DEP_2)
	v_add_co_u32 v31, vcc_lo, v4, s4
	v_add_co_ci_u32_e32 v32, vcc_lo, s5, v22, vcc_lo
	global_load_b128 v[23:26], v[8:9], off offset:-8
	s_add_u32 s4, s4, 32
	s_addc_u32 s5, s5, 0
	s_clause 0x1
	global_load_b128 v[27:30], v[31:32], off offset:16
	global_load_b128 v[31:34], v[31:32], off
	v_add_nc_u32_e32 v5, -4, v10
	v_mov_b32_e32 v11, v6
	s_cmpk_eq_i32 s4, 0x80
	s_waitcnt vmcnt(0)
	v_fmac_f32_e32 v20, v25, v31
	v_fmac_f32_e32 v16, v24, v31
	v_lshlrev_b64 v[35:36], 3, v[5:6]
	v_add_nc_u32_e32 v5, -2, v10
	v_lshlrev_b64 v[42:43], 3, v[10:11]
	v_fma_f32 v11, -v26, v32, v20
	v_fmac_f32_e32 v16, v23, v32
	v_add_nc_u32_e32 v10, 8, v10
	v_add_co_u32 v35, vcc_lo, s8, v35
	v_add_co_ci_u32_e32 v36, vcc_lo, s9, v36, vcc_lo
	v_lshlrev_b64 v[39:40], 3, v[5:6]
	v_add_co_u32 v44, vcc_lo, s8, v42
	global_load_b128 v[35:38], v[35:36], off
	v_add_co_ci_u32_e32 v45, vcc_lo, s9, v43, vcc_lo
	v_add_co_u32 v39, s3, s8, v39
	s_delay_alu instid0(VALU_DEP_1)
	v_add_co_ci_u32_e64 v40, s3, s9, v40, s3
	global_load_b128 v[43:46], v[44:45], off
	v_add_co_u32 v8, vcc_lo, v8, 64
	global_load_b128 v[39:42], v[39:40], off
	v_fmac_f32_e32 v19, v23, v31
	v_add_co_ci_u32_e32 v9, vcc_lo, 0, v9, vcc_lo
	s_waitcnt vmcnt(2)
	v_dual_fmac_f32 v16, v36, v33 :: v_dual_fmac_f32 v17, v26, v31
	s_delay_alu instid0(VALU_DEP_3) | instskip(NEXT) | instid1(VALU_DEP_2)
	v_fma_f32 v5, -v24, v32, v19
	v_dual_fmac_f32 v16, v35, v34 :: v_dual_fmac_f32 v17, v25, v32
	s_waitcnt vmcnt(0)
	s_delay_alu instid0(VALU_DEP_1) | instskip(SKIP_1) | instid1(VALU_DEP_2)
	v_dual_fmac_f32 v5, v35, v33 :: v_dual_fmac_f32 v16, v40, v27
	v_fmac_f32_e32 v11, v37, v33
	v_fma_f32 v5, -v36, v34, v5
	s_delay_alu instid0(VALU_DEP_3) | instskip(NEXT) | instid1(VALU_DEP_3)
	v_fmac_f32_e32 v16, v39, v28
	v_fma_f32 v11, -v38, v34, v11
	s_delay_alu instid0(VALU_DEP_2) | instskip(SKIP_1) | instid1(VALU_DEP_3)
	v_dual_fmac_f32 v5, v39, v27 :: v_dual_fmac_f32 v16, v44, v29
	v_fmac_f32_e32 v17, v38, v33
	v_fmac_f32_e32 v11, v41, v27
	s_delay_alu instid0(VALU_DEP_3) | instskip(NEXT) | instid1(VALU_DEP_4)
	v_fma_f32 v5, -v40, v28, v5
	v_fmac_f32_e32 v16, v43, v30
	s_delay_alu instid0(VALU_DEP_4) | instskip(NEXT) | instid1(VALU_DEP_4)
	v_fmac_f32_e32 v17, v37, v34
	v_fma_f32 v11, -v42, v28, v11
	s_delay_alu instid0(VALU_DEP_4) | instskip(NEXT) | instid1(VALU_DEP_3)
	v_fmac_f32_e32 v5, v43, v29
	v_fmac_f32_e32 v17, v42, v27
	s_delay_alu instid0(VALU_DEP_3) | instskip(NEXT) | instid1(VALU_DEP_3)
	v_fmac_f32_e32 v11, v45, v29
	v_fma_f32 v19, -v44, v30, v5
	s_delay_alu instid0(VALU_DEP_3) | instskip(NEXT) | instid1(VALU_DEP_3)
	v_fmac_f32_e32 v17, v41, v28
	v_fma_f32 v20, -v46, v30, v11
	s_delay_alu instid0(VALU_DEP_2) | instskip(NEXT) | instid1(VALU_DEP_1)
	v_fmac_f32_e32 v17, v46, v29
	v_fmac_f32_e32 v17, v45, v30
	s_cbranch_scc0 .LBB222_13
; %bb.14:                               ;   in Loop: Header=BB222_12 Depth=1
	v_add_nc_u32_e32 v7, 4, v7
	v_add_nc_u32_e32 v21, 0x80, v21
	;; [unrolled: 1-line block ×3, first 2 shown]
	s_delay_alu instid0(VALU_DEP_3) | instskip(SKIP_1) | instid1(SALU_CYCLE_1)
	v_cmp_ge_i32_e32 vcc_lo, v7, v18
	s_or_b32 s16, vcc_lo, s16
	s_and_not1_b32 exec_lo, exec_lo, s16
	s_cbranch_execnz .LBB222_12
; %bb.15:
	s_or_b32 exec_lo, exec_lo, s16
.LBB222_16:
	s_delay_alu instid0(SALU_CYCLE_1) | instskip(NEXT) | instid1(SALU_CYCLE_1)
	s_or_b32 exec_lo, exec_lo, s14
	s_and_not1_b32 vcc_lo, exec_lo, s13
	s_cbranch_vccz .LBB222_21
	s_branch .LBB222_28
.LBB222_17:
	v_dual_mov_b32 v1, s4 :: v_dual_mov_b32 v2, s5
	flat_load_b32 v12, v[1:2]
	v_cndmask_b32_e64 v1, 0, 1, s6
	v_mov_b32_e32 v13, s5
	s_and_not1_b32 vcc_lo, exec_lo, s6
	s_cbranch_vccnz .LBB222_2
.LBB222_18:
	v_dual_mov_b32 v2, s4 :: v_dual_mov_b32 v3, s5
	flat_load_b32 v13, v[2:3] offset:4
	v_cmp_ne_u32_e32 vcc_lo, 1, v1
	v_mov_b32_e32 v14, s2
	s_cbranch_vccnz .LBB222_3
.LBB222_19:
	v_dual_mov_b32 v2, s2 :: v_dual_mov_b32 v3, s3
	flat_load_b32 v14, v[2:3]
	v_cmp_ne_u32_e32 vcc_lo, 1, v1
	v_mov_b32_e32 v15, s3
	s_cbranch_vccz .LBB222_4
	s_branch .LBB222_5
.LBB222_20:
                                        ; implicit-def: $vgpr16
                                        ; implicit-def: $vgpr19
                                        ; implicit-def: $vgpr20
                                        ; implicit-def: $vgpr17
.LBB222_21:
	v_dual_mov_b32 v16, 0 :: v_dual_mov_b32 v19, 0
	v_dual_mov_b32 v20, 0 :: v_dual_mov_b32 v17, 0
	s_delay_alu instid0(VALU_DEP_3)
	s_and_saveexec_b32 s4, s2
	s_cbranch_execz .LBB222_27
; %bb.22:
	v_dual_mov_b32 v5, 0 :: v_dual_lshlrev_b32 v4, 5, v2
	s_mov_b32 s5, 0
	s_delay_alu instid0(VALU_DEP_1)
	v_mov_b32_e32 v16, v5
	v_mov_b32_e32 v19, v5
	;; [unrolled: 1-line block ×4, first 2 shown]
.LBB222_23:                             ; =>This Loop Header: Depth=1
                                        ;     Child Loop BB222_24 Depth 2
	v_ashrrev_i32_e32 v3, 31, v2
	v_lshlrev_b64 v[8:9], 3, v[4:5]
	s_mov_b64 s[2:3], 0
	s_delay_alu instid0(VALU_DEP_2) | instskip(NEXT) | instid1(VALU_DEP_1)
	v_lshlrev_b64 v[6:7], 2, v[2:3]
	v_add_co_u32 v6, vcc_lo, s6, v6
	s_delay_alu instid0(VALU_DEP_2) | instskip(SKIP_3) | instid1(VALU_DEP_1)
	v_add_co_ci_u32_e32 v7, vcc_lo, s7, v7, vcc_lo
	global_load_b32 v3, v[6:7], off
	s_waitcnt vmcnt(0)
	v_subrev_nc_u32_e32 v3, s12, v3
	v_dual_mov_b32 v7, v5 :: v_dual_lshlrev_b32 v6, 4, v3
	v_add_co_u32 v3, vcc_lo, s8, v8
	s_delay_alu instid0(VALU_DEP_2) | instskip(SKIP_1) | instid1(VALU_DEP_2)
	v_lshlrev_b64 v[10:11], 3, v[6:7]
	v_add_co_ci_u32_e32 v6, vcc_lo, s9, v9, vcc_lo
	v_add_co_u32 v7, vcc_lo, s10, v10
	s_delay_alu instid0(VALU_DEP_3)
	v_add_co_ci_u32_e32 v8, vcc_lo, s11, v11, vcc_lo
.LBB222_24:                             ;   Parent Loop BB222_23 Depth=1
                                        ; =>  This Inner Loop Header: Depth=2
	v_add_co_u32 v9, vcc_lo, v3, s2
	s_delay_alu instid0(VALU_DEP_4) | instskip(NEXT) | instid1(VALU_DEP_4)
	v_add_co_ci_u32_e32 v10, vcc_lo, s3, v6, vcc_lo
	v_add_co_u32 v37, vcc_lo, v7, s2
	s_delay_alu instid0(VALU_DEP_4)
	v_add_co_ci_u32_e32 v38, vcc_lo, s3, v8, vcc_lo
	s_add_u32 s2, s2, 32
	global_load_b128 v[21:24], v[9:10], off
	global_load_b128 v[25:28], v[37:38], off
	s_clause 0x1
	global_load_b128 v[29:32], v[9:10], off offset:128
	global_load_b128 v[33:36], v[9:10], off offset:16
	;; [unrolled: 1-line block ×4, first 2 shown]
	s_addc_u32 s3, s3, 0
	s_cmpk_eq_i32 s2, 0x80
	s_waitcnt vmcnt(3)
	v_fmac_f32_e32 v17, v30, v25
	s_delay_alu instid0(VALU_DEP_1) | instskip(NEXT) | instid1(VALU_DEP_1)
	v_dual_fmac_f32 v16, v22, v25 :: v_dual_fmac_f32 v17, v29, v26
	v_fmac_f32_e32 v16, v21, v26
	s_delay_alu instid0(VALU_DEP_1) | instskip(NEXT) | instid1(VALU_DEP_1)
	v_dual_fmac_f32 v19, v21, v25 :: v_dual_fmac_f32 v16, v24, v27
	v_fma_f32 v9, -v22, v26, v19
	s_delay_alu instid0(VALU_DEP_4) | instskip(NEXT) | instid1(VALU_DEP_3)
	v_dual_fmac_f32 v20, v29, v25 :: v_dual_fmac_f32 v17, v32, v27
	v_fmac_f32_e32 v16, v23, v28
	s_delay_alu instid0(VALU_DEP_3) | instskip(NEXT) | instid1(VALU_DEP_3)
	v_fmac_f32_e32 v9, v23, v27
	v_fma_f32 v10, -v30, v26, v20
	s_waitcnt vmcnt(1)
	s_delay_alu instid0(VALU_DEP_3) | instskip(NEXT) | instid1(VALU_DEP_3)
	v_dual_fmac_f32 v17, v31, v28 :: v_dual_fmac_f32 v16, v34, v37
	v_fma_f32 v9, -v24, v28, v9
	s_waitcnt vmcnt(0)
	s_delay_alu instid0(VALU_DEP_2) | instskip(NEXT) | instid1(VALU_DEP_3)
	v_dual_fmac_f32 v10, v31, v27 :: v_dual_fmac_f32 v17, v42, v37
	v_fmac_f32_e32 v16, v33, v38
	s_delay_alu instid0(VALU_DEP_3) | instskip(NEXT) | instid1(VALU_DEP_3)
	v_fmac_f32_e32 v9, v33, v37
	v_fma_f32 v10, -v32, v28, v10
	s_delay_alu instid0(VALU_DEP_3) | instskip(NEXT) | instid1(VALU_DEP_3)
	v_dual_fmac_f32 v17, v41, v38 :: v_dual_fmac_f32 v16, v36, v39
	v_fma_f32 v9, -v34, v38, v9
	s_delay_alu instid0(VALU_DEP_2) | instskip(NEXT) | instid1(VALU_DEP_3)
	v_dual_fmac_f32 v10, v41, v37 :: v_dual_fmac_f32 v17, v44, v39
	v_fmac_f32_e32 v16, v35, v40
	s_delay_alu instid0(VALU_DEP_3) | instskip(NEXT) | instid1(VALU_DEP_3)
	v_fmac_f32_e32 v9, v35, v39
	v_fma_f32 v10, -v42, v38, v10
	s_delay_alu instid0(VALU_DEP_4) | instskip(NEXT) | instid1(VALU_DEP_3)
	v_fmac_f32_e32 v17, v43, v40
	v_fma_f32 v19, -v36, v40, v9
	s_delay_alu instid0(VALU_DEP_3) | instskip(NEXT) | instid1(VALU_DEP_1)
	v_fmac_f32_e32 v10, v43, v39
	v_fma_f32 v20, -v44, v40, v10
	s_cbranch_scc0 .LBB222_24
; %bb.25:                               ;   in Loop: Header=BB222_23 Depth=1
	v_add_nc_u32_e32 v2, 4, v2
	v_add_nc_u32_e32 v4, 0x80, v4
	s_delay_alu instid0(VALU_DEP_2) | instskip(SKIP_1) | instid1(SALU_CYCLE_1)
	v_cmp_ge_i32_e32 vcc_lo, v2, v18
	s_or_b32 s5, vcc_lo, s5
	s_and_not1_b32 exec_lo, exec_lo, s5
	s_cbranch_execnz .LBB222_23
; %bb.26:
	s_or_b32 exec_lo, exec_lo, s5
.LBB222_27:
	s_delay_alu instid0(SALU_CYCLE_1)
	s_or_b32 exec_lo, exec_lo, s4
.LBB222_28:
	v_mbcnt_lo_u32_b32 v2, -1, 0
	s_delay_alu instid0(VALU_DEP_1) | instskip(SKIP_1) | instid1(VALU_DEP_2)
	v_xor_b32_e32 v3, 2, v2
	v_xor_b32_e32 v7, 1, v2
	v_cmp_gt_i32_e32 vcc_lo, 32, v3
	v_cndmask_b32_e32 v3, v2, v3, vcc_lo
	s_delay_alu instid0(VALU_DEP_3) | instskip(NEXT) | instid1(VALU_DEP_2)
	v_cmp_gt_i32_e32 vcc_lo, 32, v7
	v_lshlrev_b32_e32 v3, 2, v3
	v_cndmask_b32_e32 v2, v2, v7, vcc_lo
	v_cmp_eq_u32_e32 vcc_lo, 3, v0
	ds_bpermute_b32 v6, v3, v20
	v_lshlrev_b32_e32 v7, 2, v2
	s_waitcnt lgkmcnt(0)
	v_add_f32_e32 v2, v20, v6
	ds_bpermute_b32 v4, v3, v19
	ds_bpermute_b32 v5, v3, v16
	;; [unrolled: 1-line block ×4, first 2 shown]
	s_waitcnt lgkmcnt(2)
	v_dual_add_f32 v4, v19, v4 :: v_dual_add_f32 v5, v16, v5
	s_waitcnt lgkmcnt(1)
	v_add_f32_e32 v3, v17, v3
	ds_bpermute_b32 v8, v7, v4
	ds_bpermute_b32 v9, v7, v5
	;; [unrolled: 1-line block ×3, first 2 shown]
	s_and_b32 exec_lo, exec_lo, vcc_lo
	s_cbranch_execz .LBB222_33
; %bb.29:
	s_load_b64 s[2:3], s[0:1], 0x38
	v_cmp_eq_f32_e32 vcc_lo, 0, v14
	v_cmp_eq_f32_e64 s0, 0, v15
	s_waitcnt lgkmcnt(0)
	v_dual_add_f32 v0, v4, v8 :: v_dual_add_f32 v3, v3, v7
	v_add_f32_e32 v4, v5, v9
	v_add_f32_e32 v2, v2, v6
	s_and_b32 s0, vcc_lo, s0
	s_delay_alu instid0(SALU_CYCLE_1) | instskip(NEXT) | instid1(SALU_CYCLE_1)
	s_and_saveexec_b32 s1, s0
	s_xor_b32 s0, exec_lo, s1
	s_cbranch_execz .LBB222_31
; %bb.30:
	v_mul_f32_e64 v5, v4, -v13
	v_lshlrev_b32_e32 v8, 1, v1
	v_mul_f32_e32 v6, v4, v12
	v_mul_f32_e64 v7, v3, -v13
                                        ; implicit-def: $vgpr14
                                        ; implicit-def: $vgpr15
                                        ; implicit-def: $vgpr4
	s_delay_alu instid0(VALU_DEP_4) | instskip(NEXT) | instid1(VALU_DEP_4)
	v_fmac_f32_e32 v5, v12, v0
	v_ashrrev_i32_e32 v9, 31, v8
	s_delay_alu instid0(VALU_DEP_3) | instskip(NEXT) | instid1(VALU_DEP_2)
	v_dual_fmac_f32 v6, v13, v0 :: v_dual_fmac_f32 v7, v12, v2
	v_lshlrev_b64 v[9:10], 3, v[8:9]
	v_mul_f32_e32 v8, v3, v12
                                        ; implicit-def: $vgpr12
                                        ; implicit-def: $vgpr3
	s_delay_alu instid0(VALU_DEP_1) | instskip(NEXT) | instid1(VALU_DEP_3)
	v_fmac_f32_e32 v8, v13, v2
	v_add_co_u32 v0, vcc_lo, s2, v9
	s_delay_alu instid0(VALU_DEP_4)
	v_add_co_ci_u32_e32 v1, vcc_lo, s3, v10, vcc_lo
                                        ; implicit-def: $vgpr13
                                        ; implicit-def: $vgpr2
	global_store_b128 v[0:1], v[5:8], off
                                        ; implicit-def: $vgpr1
                                        ; implicit-def: $vgpr0
.LBB222_31:
	s_and_not1_saveexec_b32 s0, s0
	s_cbranch_execz .LBB222_33
; %bb.32:
	v_lshlrev_b32_e32 v5, 1, v1
	v_mul_f32_e64 v11, v4, -v13
	v_mul_f32_e32 v1, v4, v12
	v_mul_f32_e64 v4, v3, -v13
	v_mul_f32_e32 v3, v3, v12
	s_delay_alu instid0(VALU_DEP_4) | instskip(NEXT) | instid1(VALU_DEP_3)
	v_fmac_f32_e32 v11, v12, v0
	v_fmac_f32_e32 v4, v12, v2
	v_ashrrev_i32_e32 v6, 31, v5
	s_delay_alu instid0(VALU_DEP_4) | instskip(NEXT) | instid1(VALU_DEP_2)
	v_fmac_f32_e32 v3, v13, v2
	v_lshlrev_b64 v[5:6], 3, v[5:6]
	s_delay_alu instid0(VALU_DEP_1) | instskip(NEXT) | instid1(VALU_DEP_2)
	v_add_co_u32 v9, vcc_lo, s2, v5
	v_add_co_ci_u32_e32 v10, vcc_lo, s3, v6, vcc_lo
	global_load_b128 v[5:8], v[9:10], off
	s_waitcnt vmcnt(0)
	v_dual_fmac_f32 v4, v14, v7 :: v_dual_fmac_f32 v1, v13, v0
	v_fmac_f32_e32 v11, v14, v5
	v_fmac_f32_e32 v3, v15, v7
	s_delay_alu instid0(VALU_DEP_3) | instskip(NEXT) | instid1(VALU_DEP_4)
	v_fma_f32 v2, -v15, v8, v4
	v_fmac_f32_e32 v1, v15, v5
	s_delay_alu instid0(VALU_DEP_4) | instskip(NEXT) | instid1(VALU_DEP_4)
	v_fma_f32 v0, -v15, v6, v11
	v_fmac_f32_e32 v3, v14, v8
	s_delay_alu instid0(VALU_DEP_3)
	v_fmac_f32_e32 v1, v14, v6
	global_store_b128 v[9:10], v[0:3], off
.LBB222_33:
	s_nop 0
	s_sendmsg sendmsg(MSG_DEALLOC_VGPRS)
	s_endpgm
	.section	.rodata,"a",@progbits
	.p2align	6, 0x0
	.amdhsa_kernel _ZN9rocsparseL19gebsrmvn_2xn_kernelILj128ELj16ELj4E21rocsparse_complex_numIfEEEvi20rocsparse_direction_NS_24const_host_device_scalarIT2_EEPKiS8_PKS5_SA_S6_PS5_21rocsparse_index_base_b
		.amdhsa_group_segment_fixed_size 0
		.amdhsa_private_segment_fixed_size 0
		.amdhsa_kernarg_size 72
		.amdhsa_user_sgpr_count 15
		.amdhsa_user_sgpr_dispatch_ptr 0
		.amdhsa_user_sgpr_queue_ptr 0
		.amdhsa_user_sgpr_kernarg_segment_ptr 1
		.amdhsa_user_sgpr_dispatch_id 0
		.amdhsa_user_sgpr_private_segment_size 0
		.amdhsa_wavefront_size32 1
		.amdhsa_uses_dynamic_stack 0
		.amdhsa_enable_private_segment 0
		.amdhsa_system_sgpr_workgroup_id_x 1
		.amdhsa_system_sgpr_workgroup_id_y 0
		.amdhsa_system_sgpr_workgroup_id_z 0
		.amdhsa_system_sgpr_workgroup_info 0
		.amdhsa_system_vgpr_workitem_id 0
		.amdhsa_next_free_vgpr 47
		.amdhsa_next_free_sgpr 18
		.amdhsa_reserve_vcc 1
		.amdhsa_float_round_mode_32 0
		.amdhsa_float_round_mode_16_64 0
		.amdhsa_float_denorm_mode_32 3
		.amdhsa_float_denorm_mode_16_64 3
		.amdhsa_dx10_clamp 1
		.amdhsa_ieee_mode 1
		.amdhsa_fp16_overflow 0
		.amdhsa_workgroup_processor_mode 1
		.amdhsa_memory_ordered 1
		.amdhsa_forward_progress 0
		.amdhsa_shared_vgpr_count 0
		.amdhsa_exception_fp_ieee_invalid_op 0
		.amdhsa_exception_fp_denorm_src 0
		.amdhsa_exception_fp_ieee_div_zero 0
		.amdhsa_exception_fp_ieee_overflow 0
		.amdhsa_exception_fp_ieee_underflow 0
		.amdhsa_exception_fp_ieee_inexact 0
		.amdhsa_exception_int_div_zero 0
	.end_amdhsa_kernel
	.section	.text._ZN9rocsparseL19gebsrmvn_2xn_kernelILj128ELj16ELj4E21rocsparse_complex_numIfEEEvi20rocsparse_direction_NS_24const_host_device_scalarIT2_EEPKiS8_PKS5_SA_S6_PS5_21rocsparse_index_base_b,"axG",@progbits,_ZN9rocsparseL19gebsrmvn_2xn_kernelILj128ELj16ELj4E21rocsparse_complex_numIfEEEvi20rocsparse_direction_NS_24const_host_device_scalarIT2_EEPKiS8_PKS5_SA_S6_PS5_21rocsparse_index_base_b,comdat
.Lfunc_end222:
	.size	_ZN9rocsparseL19gebsrmvn_2xn_kernelILj128ELj16ELj4E21rocsparse_complex_numIfEEEvi20rocsparse_direction_NS_24const_host_device_scalarIT2_EEPKiS8_PKS5_SA_S6_PS5_21rocsparse_index_base_b, .Lfunc_end222-_ZN9rocsparseL19gebsrmvn_2xn_kernelILj128ELj16ELj4E21rocsparse_complex_numIfEEEvi20rocsparse_direction_NS_24const_host_device_scalarIT2_EEPKiS8_PKS5_SA_S6_PS5_21rocsparse_index_base_b
                                        ; -- End function
	.section	.AMDGPU.csdata,"",@progbits
; Kernel info:
; codeLenInByte = 2076
; NumSgprs: 20
; NumVgprs: 47
; ScratchSize: 0
; MemoryBound: 0
; FloatMode: 240
; IeeeMode: 1
; LDSByteSize: 0 bytes/workgroup (compile time only)
; SGPRBlocks: 2
; VGPRBlocks: 5
; NumSGPRsForWavesPerEU: 20
; NumVGPRsForWavesPerEU: 47
; Occupancy: 16
; WaveLimiterHint : 1
; COMPUTE_PGM_RSRC2:SCRATCH_EN: 0
; COMPUTE_PGM_RSRC2:USER_SGPR: 15
; COMPUTE_PGM_RSRC2:TRAP_HANDLER: 0
; COMPUTE_PGM_RSRC2:TGID_X_EN: 1
; COMPUTE_PGM_RSRC2:TGID_Y_EN: 0
; COMPUTE_PGM_RSRC2:TGID_Z_EN: 0
; COMPUTE_PGM_RSRC2:TIDIG_COMP_CNT: 0
	.section	.text._ZN9rocsparseL19gebsrmvn_2xn_kernelILj128ELj16ELj8E21rocsparse_complex_numIfEEEvi20rocsparse_direction_NS_24const_host_device_scalarIT2_EEPKiS8_PKS5_SA_S6_PS5_21rocsparse_index_base_b,"axG",@progbits,_ZN9rocsparseL19gebsrmvn_2xn_kernelILj128ELj16ELj8E21rocsparse_complex_numIfEEEvi20rocsparse_direction_NS_24const_host_device_scalarIT2_EEPKiS8_PKS5_SA_S6_PS5_21rocsparse_index_base_b,comdat
	.globl	_ZN9rocsparseL19gebsrmvn_2xn_kernelILj128ELj16ELj8E21rocsparse_complex_numIfEEEvi20rocsparse_direction_NS_24const_host_device_scalarIT2_EEPKiS8_PKS5_SA_S6_PS5_21rocsparse_index_base_b ; -- Begin function _ZN9rocsparseL19gebsrmvn_2xn_kernelILj128ELj16ELj8E21rocsparse_complex_numIfEEEvi20rocsparse_direction_NS_24const_host_device_scalarIT2_EEPKiS8_PKS5_SA_S6_PS5_21rocsparse_index_base_b
	.p2align	8
	.type	_ZN9rocsparseL19gebsrmvn_2xn_kernelILj128ELj16ELj8E21rocsparse_complex_numIfEEEvi20rocsparse_direction_NS_24const_host_device_scalarIT2_EEPKiS8_PKS5_SA_S6_PS5_21rocsparse_index_base_b,@function
_ZN9rocsparseL19gebsrmvn_2xn_kernelILj128ELj16ELj8E21rocsparse_complex_numIfEEEvi20rocsparse_direction_NS_24const_host_device_scalarIT2_EEPKiS8_PKS5_SA_S6_PS5_21rocsparse_index_base_b: ; @_ZN9rocsparseL19gebsrmvn_2xn_kernelILj128ELj16ELj8E21rocsparse_complex_numIfEEEvi20rocsparse_direction_NS_24const_host_device_scalarIT2_EEPKiS8_PKS5_SA_S6_PS5_21rocsparse_index_base_b
; %bb.0:
	s_clause 0x2
	s_load_b64 s[12:13], s[0:1], 0x40
	s_load_b64 s[4:5], s[0:1], 0x8
	;; [unrolled: 1-line block ×3, first 2 shown]
	s_waitcnt lgkmcnt(0)
	s_bitcmp1_b32 s13, 0
	v_mov_b32_e32 v12, s4
	s_cselect_b32 s6, -1, 0
	s_delay_alu instid0(SALU_CYCLE_1)
	s_and_b32 vcc_lo, exec_lo, s6
	s_xor_b32 s6, s6, -1
	s_cbranch_vccz .LBB223_17
; %bb.1:
	v_cndmask_b32_e64 v1, 0, 1, s6
	v_mov_b32_e32 v13, s5
	s_and_not1_b32 vcc_lo, exec_lo, s6
	s_cbranch_vccz .LBB223_18
.LBB223_2:
	s_delay_alu instid0(VALU_DEP_2)
	v_cmp_ne_u32_e32 vcc_lo, 1, v1
	v_mov_b32_e32 v14, s2
	s_cbranch_vccz .LBB223_19
.LBB223_3:
	v_cmp_ne_u32_e32 vcc_lo, 1, v1
	v_mov_b32_e32 v15, s3
	s_cbranch_vccnz .LBB223_5
.LBB223_4:
	v_dual_mov_b32 v1, s2 :: v_dual_mov_b32 v2, s3
	flat_load_b32 v15, v[1:2] offset:4
.LBB223_5:
	s_waitcnt vmcnt(0) lgkmcnt(0)
	v_cmp_eq_f32_e32 vcc_lo, 0, v12
	v_cmp_eq_f32_e64 s2, 0, v13
	s_delay_alu instid0(VALU_DEP_1)
	s_and_b32 s4, vcc_lo, s2
	s_mov_b32 s2, -1
	s_and_saveexec_b32 s3, s4
; %bb.6:
	v_cmp_neq_f32_e32 vcc_lo, 1.0, v14
	v_cmp_neq_f32_e64 s2, 0, v15
	s_delay_alu instid0(VALU_DEP_1) | instskip(NEXT) | instid1(SALU_CYCLE_1)
	s_or_b32 s2, vcc_lo, s2
	s_or_not1_b32 s2, s2, exec_lo
; %bb.7:
	s_or_b32 exec_lo, exec_lo, s3
	s_and_saveexec_b32 s3, s2
	s_cbranch_execz .LBB223_33
; %bb.8:
	s_load_b64 s[2:3], s[0:1], 0x0
	v_lshrrev_b32_e32 v1, 3, v0
	s_delay_alu instid0(VALU_DEP_1) | instskip(SKIP_1) | instid1(VALU_DEP_1)
	v_lshl_or_b32 v1, s15, 4, v1
	s_waitcnt lgkmcnt(0)
	v_cmp_gt_i32_e32 vcc_lo, s2, v1
	s_and_b32 exec_lo, exec_lo, vcc_lo
	s_cbranch_execz .LBB223_33
; %bb.9:
	s_load_b256 s[4:11], s[0:1], 0x10
	v_ashrrev_i32_e32 v2, 31, v1
	v_and_b32_e32 v0, 7, v0
	s_cmp_lg_u32 s3, 0
	s_delay_alu instid0(VALU_DEP_2) | instskip(SKIP_1) | instid1(VALU_DEP_1)
	v_lshlrev_b64 v[2:3], 2, v[1:2]
	s_waitcnt lgkmcnt(0)
	v_add_co_u32 v2, vcc_lo, s4, v2
	s_delay_alu instid0(VALU_DEP_2) | instskip(SKIP_4) | instid1(VALU_DEP_2)
	v_add_co_ci_u32_e32 v3, vcc_lo, s5, v3, vcc_lo
	global_load_b64 v[2:3], v[2:3], off
	s_waitcnt vmcnt(0)
	v_subrev_nc_u32_e32 v2, s12, v2
	v_subrev_nc_u32_e32 v18, s12, v3
	v_add_nc_u32_e32 v2, v2, v0
	s_delay_alu instid0(VALU_DEP_1)
	v_cmp_lt_i32_e64 s2, v2, v18
	s_cbranch_scc0 .LBB223_20
; %bb.10:
	v_dual_mov_b32 v16, 0 :: v_dual_mov_b32 v19, 0
	v_dual_mov_b32 v20, 0 :: v_dual_mov_b32 v17, 0
	s_mov_b32 s13, 0
	s_and_saveexec_b32 s14, s2
	s_cbranch_execz .LBB223_16
; %bb.11:
	v_dual_mov_b32 v6, 0 :: v_dual_lshlrev_b32 v3, 5, v2
	v_dual_mov_b32 v7, v2 :: v_dual_mov_b32 v16, 0
	v_dual_mov_b32 v19, 0 :: v_dual_mov_b32 v20, 0
	s_delay_alu instid0(VALU_DEP_3)
	v_or_b32_e32 v21, 6, v3
	v_mov_b32_e32 v17, 0
	s_add_u32 s15, s8, 8
	s_addc_u32 s17, s9, 0
	s_mov_b32 s16, 0
.LBB223_12:                             ; =>This Loop Header: Depth=1
                                        ;     Child Loop BB223_13 Depth 2
	v_ashrrev_i32_e32 v8, 31, v7
	v_mov_b32_e32 v10, v21
	s_mov_b64 s[4:5], 0
	s_delay_alu instid0(VALU_DEP_2) | instskip(NEXT) | instid1(VALU_DEP_1)
	v_lshlrev_b64 v[4:5], 2, v[7:8]
	v_add_co_u32 v4, vcc_lo, s6, v4
	s_delay_alu instid0(VALU_DEP_2) | instskip(SKIP_3) | instid1(VALU_DEP_1)
	v_add_co_ci_u32_e32 v5, vcc_lo, s7, v5, vcc_lo
	global_load_b32 v4, v[4:5], off
	s_waitcnt vmcnt(0)
	v_subrev_nc_u32_e32 v5, s12, v4
	v_dual_mov_b32 v4, v6 :: v_dual_lshlrev_b32 v5, 4, v5
	s_delay_alu instid0(VALU_DEP_1) | instskip(NEXT) | instid1(VALU_DEP_2)
	v_lshlrev_b64 v[8:9], 3, v[3:4]
	v_lshlrev_b64 v[4:5], 3, v[5:6]
	s_delay_alu instid0(VALU_DEP_2) | instskip(NEXT) | instid1(VALU_DEP_3)
	v_add_co_u32 v8, vcc_lo, s15, v8
	v_add_co_ci_u32_e32 v9, vcc_lo, s17, v9, vcc_lo
	s_delay_alu instid0(VALU_DEP_3) | instskip(NEXT) | instid1(VALU_DEP_4)
	v_add_co_u32 v4, vcc_lo, s10, v4
	v_add_co_ci_u32_e32 v22, vcc_lo, s11, v5, vcc_lo
.LBB223_13:                             ;   Parent Loop BB223_12 Depth=1
                                        ; =>  This Inner Loop Header: Depth=2
	s_delay_alu instid0(VALU_DEP_2) | instskip(NEXT) | instid1(VALU_DEP_2)
	v_add_co_u32 v31, vcc_lo, v4, s4
	v_add_co_ci_u32_e32 v32, vcc_lo, s5, v22, vcc_lo
	global_load_b128 v[23:26], v[8:9], off offset:-8
	s_add_u32 s4, s4, 32
	s_addc_u32 s5, s5, 0
	s_clause 0x1
	global_load_b128 v[27:30], v[31:32], off offset:16
	global_load_b128 v[31:34], v[31:32], off
	v_add_nc_u32_e32 v5, -4, v10
	v_mov_b32_e32 v11, v6
	s_cmpk_eq_i32 s4, 0x80
	s_waitcnt vmcnt(0)
	v_fmac_f32_e32 v20, v25, v31
	v_fmac_f32_e32 v16, v24, v31
	v_lshlrev_b64 v[35:36], 3, v[5:6]
	v_add_nc_u32_e32 v5, -2, v10
	v_lshlrev_b64 v[42:43], 3, v[10:11]
	v_fma_f32 v11, -v26, v32, v20
	v_fmac_f32_e32 v16, v23, v32
	v_add_nc_u32_e32 v10, 8, v10
	v_add_co_u32 v35, vcc_lo, s8, v35
	v_add_co_ci_u32_e32 v36, vcc_lo, s9, v36, vcc_lo
	v_lshlrev_b64 v[39:40], 3, v[5:6]
	v_add_co_u32 v44, vcc_lo, s8, v42
	global_load_b128 v[35:38], v[35:36], off
	v_add_co_ci_u32_e32 v45, vcc_lo, s9, v43, vcc_lo
	v_add_co_u32 v39, s3, s8, v39
	s_delay_alu instid0(VALU_DEP_1)
	v_add_co_ci_u32_e64 v40, s3, s9, v40, s3
	global_load_b128 v[43:46], v[44:45], off
	v_add_co_u32 v8, vcc_lo, v8, 64
	global_load_b128 v[39:42], v[39:40], off
	v_fmac_f32_e32 v19, v23, v31
	v_add_co_ci_u32_e32 v9, vcc_lo, 0, v9, vcc_lo
	s_waitcnt vmcnt(2)
	v_dual_fmac_f32 v16, v36, v33 :: v_dual_fmac_f32 v17, v26, v31
	s_delay_alu instid0(VALU_DEP_3) | instskip(NEXT) | instid1(VALU_DEP_2)
	v_fma_f32 v5, -v24, v32, v19
	v_dual_fmac_f32 v16, v35, v34 :: v_dual_fmac_f32 v17, v25, v32
	s_waitcnt vmcnt(0)
	s_delay_alu instid0(VALU_DEP_1) | instskip(SKIP_1) | instid1(VALU_DEP_2)
	v_dual_fmac_f32 v5, v35, v33 :: v_dual_fmac_f32 v16, v40, v27
	v_fmac_f32_e32 v11, v37, v33
	v_fma_f32 v5, -v36, v34, v5
	s_delay_alu instid0(VALU_DEP_3) | instskip(NEXT) | instid1(VALU_DEP_3)
	v_fmac_f32_e32 v16, v39, v28
	v_fma_f32 v11, -v38, v34, v11
	s_delay_alu instid0(VALU_DEP_2) | instskip(SKIP_1) | instid1(VALU_DEP_3)
	v_dual_fmac_f32 v5, v39, v27 :: v_dual_fmac_f32 v16, v44, v29
	v_fmac_f32_e32 v17, v38, v33
	v_fmac_f32_e32 v11, v41, v27
	s_delay_alu instid0(VALU_DEP_3) | instskip(NEXT) | instid1(VALU_DEP_4)
	v_fma_f32 v5, -v40, v28, v5
	v_fmac_f32_e32 v16, v43, v30
	s_delay_alu instid0(VALU_DEP_4) | instskip(NEXT) | instid1(VALU_DEP_4)
	v_fmac_f32_e32 v17, v37, v34
	v_fma_f32 v11, -v42, v28, v11
	s_delay_alu instid0(VALU_DEP_4) | instskip(NEXT) | instid1(VALU_DEP_3)
	v_fmac_f32_e32 v5, v43, v29
	v_fmac_f32_e32 v17, v42, v27
	s_delay_alu instid0(VALU_DEP_3) | instskip(NEXT) | instid1(VALU_DEP_3)
	v_fmac_f32_e32 v11, v45, v29
	v_fma_f32 v19, -v44, v30, v5
	s_delay_alu instid0(VALU_DEP_3) | instskip(NEXT) | instid1(VALU_DEP_3)
	v_fmac_f32_e32 v17, v41, v28
	v_fma_f32 v20, -v46, v30, v11
	s_delay_alu instid0(VALU_DEP_2) | instskip(NEXT) | instid1(VALU_DEP_1)
	v_fmac_f32_e32 v17, v46, v29
	v_fmac_f32_e32 v17, v45, v30
	s_cbranch_scc0 .LBB223_13
; %bb.14:                               ;   in Loop: Header=BB223_12 Depth=1
	v_add_nc_u32_e32 v7, 8, v7
	v_add_nc_u32_e32 v21, 0x100, v21
	;; [unrolled: 1-line block ×3, first 2 shown]
	s_delay_alu instid0(VALU_DEP_3) | instskip(SKIP_1) | instid1(SALU_CYCLE_1)
	v_cmp_ge_i32_e32 vcc_lo, v7, v18
	s_or_b32 s16, vcc_lo, s16
	s_and_not1_b32 exec_lo, exec_lo, s16
	s_cbranch_execnz .LBB223_12
; %bb.15:
	s_or_b32 exec_lo, exec_lo, s16
.LBB223_16:
	s_delay_alu instid0(SALU_CYCLE_1) | instskip(NEXT) | instid1(SALU_CYCLE_1)
	s_or_b32 exec_lo, exec_lo, s14
	s_and_not1_b32 vcc_lo, exec_lo, s13
	s_cbranch_vccz .LBB223_21
	s_branch .LBB223_28
.LBB223_17:
	v_dual_mov_b32 v1, s4 :: v_dual_mov_b32 v2, s5
	flat_load_b32 v12, v[1:2]
	v_cndmask_b32_e64 v1, 0, 1, s6
	v_mov_b32_e32 v13, s5
	s_and_not1_b32 vcc_lo, exec_lo, s6
	s_cbranch_vccnz .LBB223_2
.LBB223_18:
	v_dual_mov_b32 v2, s4 :: v_dual_mov_b32 v3, s5
	flat_load_b32 v13, v[2:3] offset:4
	v_cmp_ne_u32_e32 vcc_lo, 1, v1
	v_mov_b32_e32 v14, s2
	s_cbranch_vccnz .LBB223_3
.LBB223_19:
	v_dual_mov_b32 v2, s2 :: v_dual_mov_b32 v3, s3
	flat_load_b32 v14, v[2:3]
	v_cmp_ne_u32_e32 vcc_lo, 1, v1
	v_mov_b32_e32 v15, s3
	s_cbranch_vccz .LBB223_4
	s_branch .LBB223_5
.LBB223_20:
                                        ; implicit-def: $vgpr16
                                        ; implicit-def: $vgpr19
                                        ; implicit-def: $vgpr20
                                        ; implicit-def: $vgpr17
.LBB223_21:
	v_dual_mov_b32 v16, 0 :: v_dual_mov_b32 v19, 0
	v_dual_mov_b32 v20, 0 :: v_dual_mov_b32 v17, 0
	s_delay_alu instid0(VALU_DEP_3)
	s_and_saveexec_b32 s4, s2
	s_cbranch_execz .LBB223_27
; %bb.22:
	v_dual_mov_b32 v5, 0 :: v_dual_lshlrev_b32 v4, 5, v2
	s_mov_b32 s5, 0
	s_delay_alu instid0(VALU_DEP_1)
	v_mov_b32_e32 v16, v5
	v_mov_b32_e32 v19, v5
	;; [unrolled: 1-line block ×4, first 2 shown]
.LBB223_23:                             ; =>This Loop Header: Depth=1
                                        ;     Child Loop BB223_24 Depth 2
	v_ashrrev_i32_e32 v3, 31, v2
	v_lshlrev_b64 v[8:9], 3, v[4:5]
	s_mov_b64 s[2:3], 0
	s_delay_alu instid0(VALU_DEP_2) | instskip(NEXT) | instid1(VALU_DEP_1)
	v_lshlrev_b64 v[6:7], 2, v[2:3]
	v_add_co_u32 v6, vcc_lo, s6, v6
	s_delay_alu instid0(VALU_DEP_2) | instskip(SKIP_3) | instid1(VALU_DEP_1)
	v_add_co_ci_u32_e32 v7, vcc_lo, s7, v7, vcc_lo
	global_load_b32 v3, v[6:7], off
	s_waitcnt vmcnt(0)
	v_subrev_nc_u32_e32 v3, s12, v3
	v_dual_mov_b32 v7, v5 :: v_dual_lshlrev_b32 v6, 4, v3
	v_add_co_u32 v3, vcc_lo, s8, v8
	s_delay_alu instid0(VALU_DEP_2) | instskip(SKIP_1) | instid1(VALU_DEP_2)
	v_lshlrev_b64 v[10:11], 3, v[6:7]
	v_add_co_ci_u32_e32 v6, vcc_lo, s9, v9, vcc_lo
	v_add_co_u32 v7, vcc_lo, s10, v10
	s_delay_alu instid0(VALU_DEP_3)
	v_add_co_ci_u32_e32 v8, vcc_lo, s11, v11, vcc_lo
.LBB223_24:                             ;   Parent Loop BB223_23 Depth=1
                                        ; =>  This Inner Loop Header: Depth=2
	v_add_co_u32 v9, vcc_lo, v3, s2
	s_delay_alu instid0(VALU_DEP_4) | instskip(NEXT) | instid1(VALU_DEP_4)
	v_add_co_ci_u32_e32 v10, vcc_lo, s3, v6, vcc_lo
	v_add_co_u32 v37, vcc_lo, v7, s2
	s_delay_alu instid0(VALU_DEP_4)
	v_add_co_ci_u32_e32 v38, vcc_lo, s3, v8, vcc_lo
	s_add_u32 s2, s2, 32
	global_load_b128 v[21:24], v[9:10], off
	global_load_b128 v[25:28], v[37:38], off
	s_clause 0x1
	global_load_b128 v[29:32], v[9:10], off offset:128
	global_load_b128 v[33:36], v[9:10], off offset:16
	;; [unrolled: 1-line block ×4, first 2 shown]
	s_addc_u32 s3, s3, 0
	s_cmpk_eq_i32 s2, 0x80
	s_waitcnt vmcnt(3)
	v_fmac_f32_e32 v17, v30, v25
	s_delay_alu instid0(VALU_DEP_1) | instskip(NEXT) | instid1(VALU_DEP_1)
	v_dual_fmac_f32 v16, v22, v25 :: v_dual_fmac_f32 v17, v29, v26
	v_fmac_f32_e32 v16, v21, v26
	s_delay_alu instid0(VALU_DEP_1) | instskip(NEXT) | instid1(VALU_DEP_1)
	v_dual_fmac_f32 v19, v21, v25 :: v_dual_fmac_f32 v16, v24, v27
	v_fma_f32 v9, -v22, v26, v19
	s_delay_alu instid0(VALU_DEP_4) | instskip(NEXT) | instid1(VALU_DEP_3)
	v_dual_fmac_f32 v20, v29, v25 :: v_dual_fmac_f32 v17, v32, v27
	v_fmac_f32_e32 v16, v23, v28
	s_delay_alu instid0(VALU_DEP_3) | instskip(NEXT) | instid1(VALU_DEP_3)
	v_fmac_f32_e32 v9, v23, v27
	v_fma_f32 v10, -v30, v26, v20
	s_waitcnt vmcnt(1)
	s_delay_alu instid0(VALU_DEP_3) | instskip(NEXT) | instid1(VALU_DEP_3)
	v_dual_fmac_f32 v17, v31, v28 :: v_dual_fmac_f32 v16, v34, v37
	v_fma_f32 v9, -v24, v28, v9
	s_waitcnt vmcnt(0)
	s_delay_alu instid0(VALU_DEP_2) | instskip(NEXT) | instid1(VALU_DEP_3)
	v_dual_fmac_f32 v10, v31, v27 :: v_dual_fmac_f32 v17, v42, v37
	v_fmac_f32_e32 v16, v33, v38
	s_delay_alu instid0(VALU_DEP_3) | instskip(NEXT) | instid1(VALU_DEP_3)
	v_fmac_f32_e32 v9, v33, v37
	v_fma_f32 v10, -v32, v28, v10
	s_delay_alu instid0(VALU_DEP_3) | instskip(NEXT) | instid1(VALU_DEP_3)
	v_dual_fmac_f32 v17, v41, v38 :: v_dual_fmac_f32 v16, v36, v39
	v_fma_f32 v9, -v34, v38, v9
	s_delay_alu instid0(VALU_DEP_2) | instskip(NEXT) | instid1(VALU_DEP_3)
	v_dual_fmac_f32 v10, v41, v37 :: v_dual_fmac_f32 v17, v44, v39
	v_fmac_f32_e32 v16, v35, v40
	s_delay_alu instid0(VALU_DEP_3) | instskip(NEXT) | instid1(VALU_DEP_3)
	v_fmac_f32_e32 v9, v35, v39
	v_fma_f32 v10, -v42, v38, v10
	s_delay_alu instid0(VALU_DEP_4) | instskip(NEXT) | instid1(VALU_DEP_3)
	v_fmac_f32_e32 v17, v43, v40
	v_fma_f32 v19, -v36, v40, v9
	s_delay_alu instid0(VALU_DEP_3) | instskip(NEXT) | instid1(VALU_DEP_1)
	v_fmac_f32_e32 v10, v43, v39
	v_fma_f32 v20, -v44, v40, v10
	s_cbranch_scc0 .LBB223_24
; %bb.25:                               ;   in Loop: Header=BB223_23 Depth=1
	v_add_nc_u32_e32 v2, 8, v2
	v_add_nc_u32_e32 v4, 0x100, v4
	s_delay_alu instid0(VALU_DEP_2) | instskip(SKIP_1) | instid1(SALU_CYCLE_1)
	v_cmp_ge_i32_e32 vcc_lo, v2, v18
	s_or_b32 s5, vcc_lo, s5
	s_and_not1_b32 exec_lo, exec_lo, s5
	s_cbranch_execnz .LBB223_23
; %bb.26:
	s_or_b32 exec_lo, exec_lo, s5
.LBB223_27:
	s_delay_alu instid0(SALU_CYCLE_1)
	s_or_b32 exec_lo, exec_lo, s4
.LBB223_28:
	v_mbcnt_lo_u32_b32 v2, -1, 0
	s_delay_alu instid0(VALU_DEP_1) | instskip(SKIP_2) | instid1(VALU_DEP_3)
	v_xor_b32_e32 v3, 4, v2
	v_xor_b32_e32 v7, 2, v2
	;; [unrolled: 1-line block ×3, first 2 shown]
	v_cmp_gt_i32_e32 vcc_lo, 32, v3
	v_cndmask_b32_e32 v3, v2, v3, vcc_lo
	s_delay_alu instid0(VALU_DEP_4) | instskip(NEXT) | instid1(VALU_DEP_2)
	v_cmp_gt_i32_e32 vcc_lo, 32, v7
	v_lshlrev_b32_e32 v3, 2, v3
	ds_bpermute_b32 v6, v3, v20
	s_waitcnt lgkmcnt(0)
	v_add_f32_e32 v6, v20, v6
	ds_bpermute_b32 v4, v3, v19
	ds_bpermute_b32 v5, v3, v16
	;; [unrolled: 1-line block ×3, first 2 shown]
	s_waitcnt lgkmcnt(2)
	v_dual_add_f32 v4, v19, v4 :: v_dual_cndmask_b32 v7, v2, v7
	v_cmp_gt_i32_e32 vcc_lo, 32, v11
	s_waitcnt lgkmcnt(1)
	v_add_f32_e32 v5, v16, v5
	s_waitcnt lgkmcnt(0)
	v_add_f32_e32 v3, v17, v3
	v_lshlrev_b32_e32 v7, 2, v7
	v_cndmask_b32_e32 v2, v2, v11, vcc_lo
	v_cmp_eq_u32_e32 vcc_lo, 7, v0
	ds_bpermute_b32 v10, v7, v6
	v_lshlrev_b32_e32 v11, 2, v2
	s_waitcnt lgkmcnt(0)
	v_add_f32_e32 v2, v6, v10
	ds_bpermute_b32 v8, v7, v4
	ds_bpermute_b32 v9, v7, v5
	;; [unrolled: 1-line block ×4, first 2 shown]
	s_waitcnt lgkmcnt(2)
	v_dual_add_f32 v4, v4, v8 :: v_dual_add_f32 v5, v5, v9
	s_waitcnt lgkmcnt(1)
	v_add_f32_e32 v3, v3, v7
	ds_bpermute_b32 v8, v11, v4
	ds_bpermute_b32 v9, v11, v5
	;; [unrolled: 1-line block ×3, first 2 shown]
	s_and_b32 exec_lo, exec_lo, vcc_lo
	s_cbranch_execz .LBB223_33
; %bb.29:
	s_load_b64 s[2:3], s[0:1], 0x38
	v_cmp_eq_f32_e32 vcc_lo, 0, v14
	v_cmp_eq_f32_e64 s0, 0, v15
	s_waitcnt lgkmcnt(0)
	v_dual_add_f32 v0, v4, v8 :: v_dual_add_f32 v3, v3, v7
	v_add_f32_e32 v4, v5, v9
	v_add_f32_e32 v2, v2, v6
	s_and_b32 s0, vcc_lo, s0
	s_delay_alu instid0(SALU_CYCLE_1) | instskip(NEXT) | instid1(SALU_CYCLE_1)
	s_and_saveexec_b32 s1, s0
	s_xor_b32 s0, exec_lo, s1
	s_cbranch_execz .LBB223_31
; %bb.30:
	v_mul_f32_e64 v5, v4, -v13
	v_lshlrev_b32_e32 v8, 1, v1
	v_mul_f32_e32 v6, v4, v12
	v_mul_f32_e64 v7, v3, -v13
                                        ; implicit-def: $vgpr14
                                        ; implicit-def: $vgpr15
                                        ; implicit-def: $vgpr4
	s_delay_alu instid0(VALU_DEP_4) | instskip(NEXT) | instid1(VALU_DEP_4)
	v_fmac_f32_e32 v5, v12, v0
	v_ashrrev_i32_e32 v9, 31, v8
	s_delay_alu instid0(VALU_DEP_3) | instskip(NEXT) | instid1(VALU_DEP_2)
	v_dual_fmac_f32 v6, v13, v0 :: v_dual_fmac_f32 v7, v12, v2
	v_lshlrev_b64 v[9:10], 3, v[8:9]
	v_mul_f32_e32 v8, v3, v12
                                        ; implicit-def: $vgpr12
                                        ; implicit-def: $vgpr3
	s_delay_alu instid0(VALU_DEP_1) | instskip(NEXT) | instid1(VALU_DEP_3)
	v_fmac_f32_e32 v8, v13, v2
	v_add_co_u32 v0, vcc_lo, s2, v9
	s_delay_alu instid0(VALU_DEP_4)
	v_add_co_ci_u32_e32 v1, vcc_lo, s3, v10, vcc_lo
                                        ; implicit-def: $vgpr13
                                        ; implicit-def: $vgpr2
	global_store_b128 v[0:1], v[5:8], off
                                        ; implicit-def: $vgpr1
                                        ; implicit-def: $vgpr0
.LBB223_31:
	s_and_not1_saveexec_b32 s0, s0
	s_cbranch_execz .LBB223_33
; %bb.32:
	v_lshlrev_b32_e32 v5, 1, v1
	v_mul_f32_e64 v11, v4, -v13
	v_mul_f32_e32 v1, v4, v12
	v_mul_f32_e64 v4, v3, -v13
	v_mul_f32_e32 v3, v3, v12
	s_delay_alu instid0(VALU_DEP_4) | instskip(NEXT) | instid1(VALU_DEP_3)
	v_fmac_f32_e32 v11, v12, v0
	v_fmac_f32_e32 v4, v12, v2
	v_ashrrev_i32_e32 v6, 31, v5
	s_delay_alu instid0(VALU_DEP_4) | instskip(NEXT) | instid1(VALU_DEP_2)
	v_fmac_f32_e32 v3, v13, v2
	v_lshlrev_b64 v[5:6], 3, v[5:6]
	s_delay_alu instid0(VALU_DEP_1) | instskip(NEXT) | instid1(VALU_DEP_2)
	v_add_co_u32 v9, vcc_lo, s2, v5
	v_add_co_ci_u32_e32 v10, vcc_lo, s3, v6, vcc_lo
	global_load_b128 v[5:8], v[9:10], off
	s_waitcnt vmcnt(0)
	v_dual_fmac_f32 v4, v14, v7 :: v_dual_fmac_f32 v1, v13, v0
	v_fmac_f32_e32 v11, v14, v5
	v_fmac_f32_e32 v3, v15, v7
	s_delay_alu instid0(VALU_DEP_3) | instskip(NEXT) | instid1(VALU_DEP_4)
	v_fma_f32 v2, -v15, v8, v4
	v_fmac_f32_e32 v1, v15, v5
	s_delay_alu instid0(VALU_DEP_4) | instskip(NEXT) | instid1(VALU_DEP_4)
	v_fma_f32 v0, -v15, v6, v11
	v_fmac_f32_e32 v3, v14, v8
	s_delay_alu instid0(VALU_DEP_3)
	v_fmac_f32_e32 v1, v14, v6
	global_store_b128 v[9:10], v[0:3], off
.LBB223_33:
	s_nop 0
	s_sendmsg sendmsg(MSG_DEALLOC_VGPRS)
	s_endpgm
	.section	.rodata,"a",@progbits
	.p2align	6, 0x0
	.amdhsa_kernel _ZN9rocsparseL19gebsrmvn_2xn_kernelILj128ELj16ELj8E21rocsparse_complex_numIfEEEvi20rocsparse_direction_NS_24const_host_device_scalarIT2_EEPKiS8_PKS5_SA_S6_PS5_21rocsparse_index_base_b
		.amdhsa_group_segment_fixed_size 0
		.amdhsa_private_segment_fixed_size 0
		.amdhsa_kernarg_size 72
		.amdhsa_user_sgpr_count 15
		.amdhsa_user_sgpr_dispatch_ptr 0
		.amdhsa_user_sgpr_queue_ptr 0
		.amdhsa_user_sgpr_kernarg_segment_ptr 1
		.amdhsa_user_sgpr_dispatch_id 0
		.amdhsa_user_sgpr_private_segment_size 0
		.amdhsa_wavefront_size32 1
		.amdhsa_uses_dynamic_stack 0
		.amdhsa_enable_private_segment 0
		.amdhsa_system_sgpr_workgroup_id_x 1
		.amdhsa_system_sgpr_workgroup_id_y 0
		.amdhsa_system_sgpr_workgroup_id_z 0
		.amdhsa_system_sgpr_workgroup_info 0
		.amdhsa_system_vgpr_workitem_id 0
		.amdhsa_next_free_vgpr 47
		.amdhsa_next_free_sgpr 18
		.amdhsa_reserve_vcc 1
		.amdhsa_float_round_mode_32 0
		.amdhsa_float_round_mode_16_64 0
		.amdhsa_float_denorm_mode_32 3
		.amdhsa_float_denorm_mode_16_64 3
		.amdhsa_dx10_clamp 1
		.amdhsa_ieee_mode 1
		.amdhsa_fp16_overflow 0
		.amdhsa_workgroup_processor_mode 1
		.amdhsa_memory_ordered 1
		.amdhsa_forward_progress 0
		.amdhsa_shared_vgpr_count 0
		.amdhsa_exception_fp_ieee_invalid_op 0
		.amdhsa_exception_fp_denorm_src 0
		.amdhsa_exception_fp_ieee_div_zero 0
		.amdhsa_exception_fp_ieee_overflow 0
		.amdhsa_exception_fp_ieee_underflow 0
		.amdhsa_exception_fp_ieee_inexact 0
		.amdhsa_exception_int_div_zero 0
	.end_amdhsa_kernel
	.section	.text._ZN9rocsparseL19gebsrmvn_2xn_kernelILj128ELj16ELj8E21rocsparse_complex_numIfEEEvi20rocsparse_direction_NS_24const_host_device_scalarIT2_EEPKiS8_PKS5_SA_S6_PS5_21rocsparse_index_base_b,"axG",@progbits,_ZN9rocsparseL19gebsrmvn_2xn_kernelILj128ELj16ELj8E21rocsparse_complex_numIfEEEvi20rocsparse_direction_NS_24const_host_device_scalarIT2_EEPKiS8_PKS5_SA_S6_PS5_21rocsparse_index_base_b,comdat
.Lfunc_end223:
	.size	_ZN9rocsparseL19gebsrmvn_2xn_kernelILj128ELj16ELj8E21rocsparse_complex_numIfEEEvi20rocsparse_direction_NS_24const_host_device_scalarIT2_EEPKiS8_PKS5_SA_S6_PS5_21rocsparse_index_base_b, .Lfunc_end223-_ZN9rocsparseL19gebsrmvn_2xn_kernelILj128ELj16ELj8E21rocsparse_complex_numIfEEEvi20rocsparse_direction_NS_24const_host_device_scalarIT2_EEPKiS8_PKS5_SA_S6_PS5_21rocsparse_index_base_b
                                        ; -- End function
	.section	.AMDGPU.csdata,"",@progbits
; Kernel info:
; codeLenInByte = 2156
; NumSgprs: 20
; NumVgprs: 47
; ScratchSize: 0
; MemoryBound: 0
; FloatMode: 240
; IeeeMode: 1
; LDSByteSize: 0 bytes/workgroup (compile time only)
; SGPRBlocks: 2
; VGPRBlocks: 5
; NumSGPRsForWavesPerEU: 20
; NumVGPRsForWavesPerEU: 47
; Occupancy: 16
; WaveLimiterHint : 1
; COMPUTE_PGM_RSRC2:SCRATCH_EN: 0
; COMPUTE_PGM_RSRC2:USER_SGPR: 15
; COMPUTE_PGM_RSRC2:TRAP_HANDLER: 0
; COMPUTE_PGM_RSRC2:TGID_X_EN: 1
; COMPUTE_PGM_RSRC2:TGID_Y_EN: 0
; COMPUTE_PGM_RSRC2:TGID_Z_EN: 0
; COMPUTE_PGM_RSRC2:TIDIG_COMP_CNT: 0
	.section	.text._ZN9rocsparseL19gebsrmvn_2xn_kernelILj128ELj16ELj16E21rocsparse_complex_numIfEEEvi20rocsparse_direction_NS_24const_host_device_scalarIT2_EEPKiS8_PKS5_SA_S6_PS5_21rocsparse_index_base_b,"axG",@progbits,_ZN9rocsparseL19gebsrmvn_2xn_kernelILj128ELj16ELj16E21rocsparse_complex_numIfEEEvi20rocsparse_direction_NS_24const_host_device_scalarIT2_EEPKiS8_PKS5_SA_S6_PS5_21rocsparse_index_base_b,comdat
	.globl	_ZN9rocsparseL19gebsrmvn_2xn_kernelILj128ELj16ELj16E21rocsparse_complex_numIfEEEvi20rocsparse_direction_NS_24const_host_device_scalarIT2_EEPKiS8_PKS5_SA_S6_PS5_21rocsparse_index_base_b ; -- Begin function _ZN9rocsparseL19gebsrmvn_2xn_kernelILj128ELj16ELj16E21rocsparse_complex_numIfEEEvi20rocsparse_direction_NS_24const_host_device_scalarIT2_EEPKiS8_PKS5_SA_S6_PS5_21rocsparse_index_base_b
	.p2align	8
	.type	_ZN9rocsparseL19gebsrmvn_2xn_kernelILj128ELj16ELj16E21rocsparse_complex_numIfEEEvi20rocsparse_direction_NS_24const_host_device_scalarIT2_EEPKiS8_PKS5_SA_S6_PS5_21rocsparse_index_base_b,@function
_ZN9rocsparseL19gebsrmvn_2xn_kernelILj128ELj16ELj16E21rocsparse_complex_numIfEEEvi20rocsparse_direction_NS_24const_host_device_scalarIT2_EEPKiS8_PKS5_SA_S6_PS5_21rocsparse_index_base_b: ; @_ZN9rocsparseL19gebsrmvn_2xn_kernelILj128ELj16ELj16E21rocsparse_complex_numIfEEEvi20rocsparse_direction_NS_24const_host_device_scalarIT2_EEPKiS8_PKS5_SA_S6_PS5_21rocsparse_index_base_b
; %bb.0:
	s_clause 0x2
	s_load_b64 s[12:13], s[0:1], 0x40
	s_load_b64 s[4:5], s[0:1], 0x8
	s_load_b64 s[2:3], s[0:1], 0x30
	s_waitcnt lgkmcnt(0)
	s_bitcmp1_b32 s13, 0
	v_mov_b32_e32 v12, s4
	s_cselect_b32 s6, -1, 0
	s_delay_alu instid0(SALU_CYCLE_1)
	s_and_b32 vcc_lo, exec_lo, s6
	s_xor_b32 s6, s6, -1
	s_cbranch_vccz .LBB224_17
; %bb.1:
	v_cndmask_b32_e64 v1, 0, 1, s6
	v_mov_b32_e32 v13, s5
	s_and_not1_b32 vcc_lo, exec_lo, s6
	s_cbranch_vccz .LBB224_18
.LBB224_2:
	s_delay_alu instid0(VALU_DEP_2)
	v_cmp_ne_u32_e32 vcc_lo, 1, v1
	v_mov_b32_e32 v14, s2
	s_cbranch_vccz .LBB224_19
.LBB224_3:
	v_cmp_ne_u32_e32 vcc_lo, 1, v1
	v_mov_b32_e32 v15, s3
	s_cbranch_vccnz .LBB224_5
.LBB224_4:
	v_dual_mov_b32 v1, s2 :: v_dual_mov_b32 v2, s3
	flat_load_b32 v15, v[1:2] offset:4
.LBB224_5:
	s_waitcnt vmcnt(0) lgkmcnt(0)
	v_cmp_eq_f32_e32 vcc_lo, 0, v12
	v_cmp_eq_f32_e64 s2, 0, v13
	s_delay_alu instid0(VALU_DEP_1)
	s_and_b32 s4, vcc_lo, s2
	s_mov_b32 s2, -1
	s_and_saveexec_b32 s3, s4
; %bb.6:
	v_cmp_neq_f32_e32 vcc_lo, 1.0, v14
	v_cmp_neq_f32_e64 s2, 0, v15
	s_delay_alu instid0(VALU_DEP_1) | instskip(NEXT) | instid1(SALU_CYCLE_1)
	s_or_b32 s2, vcc_lo, s2
	s_or_not1_b32 s2, s2, exec_lo
; %bb.7:
	s_or_b32 exec_lo, exec_lo, s3
	s_and_saveexec_b32 s3, s2
	s_cbranch_execz .LBB224_33
; %bb.8:
	s_load_b64 s[2:3], s[0:1], 0x0
	v_lshrrev_b32_e32 v1, 4, v0
	s_delay_alu instid0(VALU_DEP_1) | instskip(SKIP_1) | instid1(VALU_DEP_1)
	v_lshl_or_b32 v1, s15, 3, v1
	s_waitcnt lgkmcnt(0)
	v_cmp_gt_i32_e32 vcc_lo, s2, v1
	s_and_b32 exec_lo, exec_lo, vcc_lo
	s_cbranch_execz .LBB224_33
; %bb.9:
	s_load_b256 s[4:11], s[0:1], 0x10
	v_ashrrev_i32_e32 v2, 31, v1
	v_and_b32_e32 v0, 15, v0
	s_cmp_lg_u32 s3, 0
	s_delay_alu instid0(VALU_DEP_2) | instskip(SKIP_1) | instid1(VALU_DEP_1)
	v_lshlrev_b64 v[2:3], 2, v[1:2]
	s_waitcnt lgkmcnt(0)
	v_add_co_u32 v2, vcc_lo, s4, v2
	s_delay_alu instid0(VALU_DEP_2) | instskip(SKIP_4) | instid1(VALU_DEP_2)
	v_add_co_ci_u32_e32 v3, vcc_lo, s5, v3, vcc_lo
	global_load_b64 v[2:3], v[2:3], off
	s_waitcnt vmcnt(0)
	v_subrev_nc_u32_e32 v2, s12, v2
	v_subrev_nc_u32_e32 v18, s12, v3
	v_add_nc_u32_e32 v2, v2, v0
	s_delay_alu instid0(VALU_DEP_1)
	v_cmp_lt_i32_e64 s2, v2, v18
	s_cbranch_scc0 .LBB224_20
; %bb.10:
	v_dual_mov_b32 v16, 0 :: v_dual_mov_b32 v19, 0
	v_dual_mov_b32 v20, 0 :: v_dual_mov_b32 v17, 0
	s_mov_b32 s13, 0
	s_and_saveexec_b32 s14, s2
	s_cbranch_execz .LBB224_16
; %bb.11:
	v_dual_mov_b32 v6, 0 :: v_dual_lshlrev_b32 v3, 5, v2
	v_dual_mov_b32 v7, v2 :: v_dual_mov_b32 v16, 0
	v_dual_mov_b32 v19, 0 :: v_dual_mov_b32 v20, 0
	s_delay_alu instid0(VALU_DEP_3)
	v_or_b32_e32 v21, 6, v3
	v_mov_b32_e32 v17, 0
	s_add_u32 s15, s8, 8
	s_addc_u32 s17, s9, 0
	s_mov_b32 s16, 0
.LBB224_12:                             ; =>This Loop Header: Depth=1
                                        ;     Child Loop BB224_13 Depth 2
	v_ashrrev_i32_e32 v8, 31, v7
	v_mov_b32_e32 v10, v21
	s_mov_b64 s[4:5], 0
	s_delay_alu instid0(VALU_DEP_2) | instskip(NEXT) | instid1(VALU_DEP_1)
	v_lshlrev_b64 v[4:5], 2, v[7:8]
	v_add_co_u32 v4, vcc_lo, s6, v4
	s_delay_alu instid0(VALU_DEP_2) | instskip(SKIP_3) | instid1(VALU_DEP_1)
	v_add_co_ci_u32_e32 v5, vcc_lo, s7, v5, vcc_lo
	global_load_b32 v4, v[4:5], off
	s_waitcnt vmcnt(0)
	v_subrev_nc_u32_e32 v5, s12, v4
	v_dual_mov_b32 v4, v6 :: v_dual_lshlrev_b32 v5, 4, v5
	s_delay_alu instid0(VALU_DEP_1) | instskip(NEXT) | instid1(VALU_DEP_2)
	v_lshlrev_b64 v[8:9], 3, v[3:4]
	v_lshlrev_b64 v[4:5], 3, v[5:6]
	s_delay_alu instid0(VALU_DEP_2) | instskip(NEXT) | instid1(VALU_DEP_3)
	v_add_co_u32 v8, vcc_lo, s15, v8
	v_add_co_ci_u32_e32 v9, vcc_lo, s17, v9, vcc_lo
	s_delay_alu instid0(VALU_DEP_3) | instskip(NEXT) | instid1(VALU_DEP_4)
	v_add_co_u32 v4, vcc_lo, s10, v4
	v_add_co_ci_u32_e32 v22, vcc_lo, s11, v5, vcc_lo
.LBB224_13:                             ;   Parent Loop BB224_12 Depth=1
                                        ; =>  This Inner Loop Header: Depth=2
	s_delay_alu instid0(VALU_DEP_2) | instskip(NEXT) | instid1(VALU_DEP_2)
	v_add_co_u32 v31, vcc_lo, v4, s4
	v_add_co_ci_u32_e32 v32, vcc_lo, s5, v22, vcc_lo
	global_load_b128 v[23:26], v[8:9], off offset:-8
	s_add_u32 s4, s4, 32
	s_addc_u32 s5, s5, 0
	s_clause 0x1
	global_load_b128 v[27:30], v[31:32], off offset:16
	global_load_b128 v[31:34], v[31:32], off
	v_add_nc_u32_e32 v5, -4, v10
	v_mov_b32_e32 v11, v6
	s_cmpk_eq_i32 s4, 0x80
	s_waitcnt vmcnt(0)
	v_fmac_f32_e32 v20, v25, v31
	v_fmac_f32_e32 v16, v24, v31
	v_lshlrev_b64 v[35:36], 3, v[5:6]
	v_add_nc_u32_e32 v5, -2, v10
	v_lshlrev_b64 v[42:43], 3, v[10:11]
	v_fma_f32 v11, -v26, v32, v20
	v_fmac_f32_e32 v16, v23, v32
	v_add_nc_u32_e32 v10, 8, v10
	v_add_co_u32 v35, vcc_lo, s8, v35
	v_add_co_ci_u32_e32 v36, vcc_lo, s9, v36, vcc_lo
	v_lshlrev_b64 v[39:40], 3, v[5:6]
	v_add_co_u32 v44, vcc_lo, s8, v42
	global_load_b128 v[35:38], v[35:36], off
	v_add_co_ci_u32_e32 v45, vcc_lo, s9, v43, vcc_lo
	v_add_co_u32 v39, s3, s8, v39
	s_delay_alu instid0(VALU_DEP_1)
	v_add_co_ci_u32_e64 v40, s3, s9, v40, s3
	global_load_b128 v[43:46], v[44:45], off
	v_add_co_u32 v8, vcc_lo, v8, 64
	global_load_b128 v[39:42], v[39:40], off
	v_fmac_f32_e32 v19, v23, v31
	v_add_co_ci_u32_e32 v9, vcc_lo, 0, v9, vcc_lo
	s_waitcnt vmcnt(2)
	v_dual_fmac_f32 v16, v36, v33 :: v_dual_fmac_f32 v17, v26, v31
	s_delay_alu instid0(VALU_DEP_3) | instskip(NEXT) | instid1(VALU_DEP_2)
	v_fma_f32 v5, -v24, v32, v19
	v_dual_fmac_f32 v16, v35, v34 :: v_dual_fmac_f32 v17, v25, v32
	s_waitcnt vmcnt(0)
	s_delay_alu instid0(VALU_DEP_1) | instskip(SKIP_1) | instid1(VALU_DEP_2)
	v_dual_fmac_f32 v5, v35, v33 :: v_dual_fmac_f32 v16, v40, v27
	v_fmac_f32_e32 v11, v37, v33
	v_fma_f32 v5, -v36, v34, v5
	s_delay_alu instid0(VALU_DEP_3) | instskip(NEXT) | instid1(VALU_DEP_3)
	v_fmac_f32_e32 v16, v39, v28
	v_fma_f32 v11, -v38, v34, v11
	s_delay_alu instid0(VALU_DEP_2) | instskip(SKIP_1) | instid1(VALU_DEP_3)
	v_dual_fmac_f32 v5, v39, v27 :: v_dual_fmac_f32 v16, v44, v29
	v_fmac_f32_e32 v17, v38, v33
	v_fmac_f32_e32 v11, v41, v27
	s_delay_alu instid0(VALU_DEP_3) | instskip(NEXT) | instid1(VALU_DEP_4)
	v_fma_f32 v5, -v40, v28, v5
	v_fmac_f32_e32 v16, v43, v30
	s_delay_alu instid0(VALU_DEP_4) | instskip(NEXT) | instid1(VALU_DEP_4)
	v_fmac_f32_e32 v17, v37, v34
	v_fma_f32 v11, -v42, v28, v11
	s_delay_alu instid0(VALU_DEP_4) | instskip(NEXT) | instid1(VALU_DEP_3)
	v_fmac_f32_e32 v5, v43, v29
	v_fmac_f32_e32 v17, v42, v27
	s_delay_alu instid0(VALU_DEP_3) | instskip(NEXT) | instid1(VALU_DEP_3)
	v_fmac_f32_e32 v11, v45, v29
	v_fma_f32 v19, -v44, v30, v5
	s_delay_alu instid0(VALU_DEP_3) | instskip(NEXT) | instid1(VALU_DEP_3)
	v_fmac_f32_e32 v17, v41, v28
	v_fma_f32 v20, -v46, v30, v11
	s_delay_alu instid0(VALU_DEP_2) | instskip(NEXT) | instid1(VALU_DEP_1)
	v_fmac_f32_e32 v17, v46, v29
	v_fmac_f32_e32 v17, v45, v30
	s_cbranch_scc0 .LBB224_13
; %bb.14:                               ;   in Loop: Header=BB224_12 Depth=1
	v_add_nc_u32_e32 v7, 16, v7
	v_add_nc_u32_e32 v21, 0x200, v21
	v_add_nc_u32_e32 v3, 0x200, v3
	s_delay_alu instid0(VALU_DEP_3) | instskip(SKIP_1) | instid1(SALU_CYCLE_1)
	v_cmp_ge_i32_e32 vcc_lo, v7, v18
	s_or_b32 s16, vcc_lo, s16
	s_and_not1_b32 exec_lo, exec_lo, s16
	s_cbranch_execnz .LBB224_12
; %bb.15:
	s_or_b32 exec_lo, exec_lo, s16
.LBB224_16:
	s_delay_alu instid0(SALU_CYCLE_1) | instskip(NEXT) | instid1(SALU_CYCLE_1)
	s_or_b32 exec_lo, exec_lo, s14
	s_and_not1_b32 vcc_lo, exec_lo, s13
	s_cbranch_vccz .LBB224_21
	s_branch .LBB224_28
.LBB224_17:
	v_dual_mov_b32 v1, s4 :: v_dual_mov_b32 v2, s5
	flat_load_b32 v12, v[1:2]
	v_cndmask_b32_e64 v1, 0, 1, s6
	v_mov_b32_e32 v13, s5
	s_and_not1_b32 vcc_lo, exec_lo, s6
	s_cbranch_vccnz .LBB224_2
.LBB224_18:
	v_dual_mov_b32 v2, s4 :: v_dual_mov_b32 v3, s5
	flat_load_b32 v13, v[2:3] offset:4
	v_cmp_ne_u32_e32 vcc_lo, 1, v1
	v_mov_b32_e32 v14, s2
	s_cbranch_vccnz .LBB224_3
.LBB224_19:
	v_dual_mov_b32 v2, s2 :: v_dual_mov_b32 v3, s3
	flat_load_b32 v14, v[2:3]
	v_cmp_ne_u32_e32 vcc_lo, 1, v1
	v_mov_b32_e32 v15, s3
	s_cbranch_vccz .LBB224_4
	s_branch .LBB224_5
.LBB224_20:
                                        ; implicit-def: $vgpr16
                                        ; implicit-def: $vgpr19
                                        ; implicit-def: $vgpr20
                                        ; implicit-def: $vgpr17
.LBB224_21:
	v_dual_mov_b32 v16, 0 :: v_dual_mov_b32 v19, 0
	v_dual_mov_b32 v20, 0 :: v_dual_mov_b32 v17, 0
	s_delay_alu instid0(VALU_DEP_3)
	s_and_saveexec_b32 s4, s2
	s_cbranch_execz .LBB224_27
; %bb.22:
	v_dual_mov_b32 v5, 0 :: v_dual_lshlrev_b32 v4, 5, v2
	s_mov_b32 s5, 0
	s_delay_alu instid0(VALU_DEP_1)
	v_mov_b32_e32 v16, v5
	v_mov_b32_e32 v19, v5
	;; [unrolled: 1-line block ×4, first 2 shown]
.LBB224_23:                             ; =>This Loop Header: Depth=1
                                        ;     Child Loop BB224_24 Depth 2
	v_ashrrev_i32_e32 v3, 31, v2
	v_lshlrev_b64 v[8:9], 3, v[4:5]
	s_mov_b64 s[2:3], 0
	s_delay_alu instid0(VALU_DEP_2) | instskip(NEXT) | instid1(VALU_DEP_1)
	v_lshlrev_b64 v[6:7], 2, v[2:3]
	v_add_co_u32 v6, vcc_lo, s6, v6
	s_delay_alu instid0(VALU_DEP_2) | instskip(SKIP_3) | instid1(VALU_DEP_1)
	v_add_co_ci_u32_e32 v7, vcc_lo, s7, v7, vcc_lo
	global_load_b32 v3, v[6:7], off
	s_waitcnt vmcnt(0)
	v_subrev_nc_u32_e32 v3, s12, v3
	v_dual_mov_b32 v7, v5 :: v_dual_lshlrev_b32 v6, 4, v3
	v_add_co_u32 v3, vcc_lo, s8, v8
	s_delay_alu instid0(VALU_DEP_2) | instskip(SKIP_1) | instid1(VALU_DEP_2)
	v_lshlrev_b64 v[10:11], 3, v[6:7]
	v_add_co_ci_u32_e32 v6, vcc_lo, s9, v9, vcc_lo
	v_add_co_u32 v7, vcc_lo, s10, v10
	s_delay_alu instid0(VALU_DEP_3)
	v_add_co_ci_u32_e32 v8, vcc_lo, s11, v11, vcc_lo
.LBB224_24:                             ;   Parent Loop BB224_23 Depth=1
                                        ; =>  This Inner Loop Header: Depth=2
	v_add_co_u32 v9, vcc_lo, v3, s2
	s_delay_alu instid0(VALU_DEP_4) | instskip(NEXT) | instid1(VALU_DEP_4)
	v_add_co_ci_u32_e32 v10, vcc_lo, s3, v6, vcc_lo
	v_add_co_u32 v37, vcc_lo, v7, s2
	s_delay_alu instid0(VALU_DEP_4)
	v_add_co_ci_u32_e32 v38, vcc_lo, s3, v8, vcc_lo
	s_add_u32 s2, s2, 32
	global_load_b128 v[21:24], v[9:10], off
	global_load_b128 v[25:28], v[37:38], off
	s_clause 0x1
	global_load_b128 v[29:32], v[9:10], off offset:128
	global_load_b128 v[33:36], v[9:10], off offset:16
	;; [unrolled: 1-line block ×4, first 2 shown]
	s_addc_u32 s3, s3, 0
	s_cmpk_eq_i32 s2, 0x80
	s_waitcnt vmcnt(3)
	v_fmac_f32_e32 v17, v30, v25
	s_delay_alu instid0(VALU_DEP_1) | instskip(NEXT) | instid1(VALU_DEP_1)
	v_dual_fmac_f32 v16, v22, v25 :: v_dual_fmac_f32 v17, v29, v26
	v_fmac_f32_e32 v16, v21, v26
	s_delay_alu instid0(VALU_DEP_1) | instskip(NEXT) | instid1(VALU_DEP_1)
	v_dual_fmac_f32 v19, v21, v25 :: v_dual_fmac_f32 v16, v24, v27
	v_fma_f32 v9, -v22, v26, v19
	s_delay_alu instid0(VALU_DEP_4) | instskip(NEXT) | instid1(VALU_DEP_3)
	v_dual_fmac_f32 v20, v29, v25 :: v_dual_fmac_f32 v17, v32, v27
	v_fmac_f32_e32 v16, v23, v28
	s_delay_alu instid0(VALU_DEP_3) | instskip(NEXT) | instid1(VALU_DEP_3)
	v_fmac_f32_e32 v9, v23, v27
	v_fma_f32 v10, -v30, v26, v20
	s_waitcnt vmcnt(1)
	s_delay_alu instid0(VALU_DEP_3) | instskip(NEXT) | instid1(VALU_DEP_3)
	v_dual_fmac_f32 v17, v31, v28 :: v_dual_fmac_f32 v16, v34, v37
	v_fma_f32 v9, -v24, v28, v9
	s_waitcnt vmcnt(0)
	s_delay_alu instid0(VALU_DEP_2) | instskip(NEXT) | instid1(VALU_DEP_3)
	v_dual_fmac_f32 v10, v31, v27 :: v_dual_fmac_f32 v17, v42, v37
	v_fmac_f32_e32 v16, v33, v38
	s_delay_alu instid0(VALU_DEP_3) | instskip(NEXT) | instid1(VALU_DEP_3)
	v_fmac_f32_e32 v9, v33, v37
	v_fma_f32 v10, -v32, v28, v10
	s_delay_alu instid0(VALU_DEP_3) | instskip(NEXT) | instid1(VALU_DEP_3)
	v_dual_fmac_f32 v17, v41, v38 :: v_dual_fmac_f32 v16, v36, v39
	v_fma_f32 v9, -v34, v38, v9
	s_delay_alu instid0(VALU_DEP_2) | instskip(NEXT) | instid1(VALU_DEP_3)
	v_dual_fmac_f32 v10, v41, v37 :: v_dual_fmac_f32 v17, v44, v39
	v_fmac_f32_e32 v16, v35, v40
	s_delay_alu instid0(VALU_DEP_3) | instskip(NEXT) | instid1(VALU_DEP_3)
	v_fmac_f32_e32 v9, v35, v39
	v_fma_f32 v10, -v42, v38, v10
	s_delay_alu instid0(VALU_DEP_4) | instskip(NEXT) | instid1(VALU_DEP_3)
	v_fmac_f32_e32 v17, v43, v40
	v_fma_f32 v19, -v36, v40, v9
	s_delay_alu instid0(VALU_DEP_3) | instskip(NEXT) | instid1(VALU_DEP_1)
	v_fmac_f32_e32 v10, v43, v39
	v_fma_f32 v20, -v44, v40, v10
	s_cbranch_scc0 .LBB224_24
; %bb.25:                               ;   in Loop: Header=BB224_23 Depth=1
	v_add_nc_u32_e32 v2, 16, v2
	v_add_nc_u32_e32 v4, 0x200, v4
	s_delay_alu instid0(VALU_DEP_2) | instskip(SKIP_1) | instid1(SALU_CYCLE_1)
	v_cmp_ge_i32_e32 vcc_lo, v2, v18
	s_or_b32 s5, vcc_lo, s5
	s_and_not1_b32 exec_lo, exec_lo, s5
	s_cbranch_execnz .LBB224_23
; %bb.26:
	s_or_b32 exec_lo, exec_lo, s5
.LBB224_27:
	s_delay_alu instid0(SALU_CYCLE_1)
	s_or_b32 exec_lo, exec_lo, s4
.LBB224_28:
	v_mbcnt_lo_u32_b32 v2, -1, 0
	s_delay_alu instid0(VALU_DEP_1) | instskip(SKIP_2) | instid1(VALU_DEP_3)
	v_xor_b32_e32 v3, 8, v2
	v_xor_b32_e32 v7, 4, v2
	;; [unrolled: 1-line block ×3, first 2 shown]
	v_cmp_gt_i32_e32 vcc_lo, 32, v3
	v_cndmask_b32_e32 v3, v2, v3, vcc_lo
	s_delay_alu instid0(VALU_DEP_4) | instskip(NEXT) | instid1(VALU_DEP_2)
	v_cmp_gt_i32_e32 vcc_lo, 32, v7
	v_lshlrev_b32_e32 v3, 2, v3
	ds_bpermute_b32 v6, v3, v20
	s_waitcnt lgkmcnt(0)
	v_add_f32_e32 v6, v20, v6
	ds_bpermute_b32 v4, v3, v19
	ds_bpermute_b32 v5, v3, v16
	;; [unrolled: 1-line block ×3, first 2 shown]
	s_waitcnt lgkmcnt(2)
	v_dual_add_f32 v4, v19, v4 :: v_dual_cndmask_b32 v7, v2, v7
	s_waitcnt lgkmcnt(1)
	v_add_f32_e32 v5, v16, v5
	v_cmp_gt_i32_e32 vcc_lo, 32, v11
	s_delay_alu instid0(VALU_DEP_3)
	v_lshlrev_b32_e32 v7, 2, v7
	v_cndmask_b32_e32 v11, v2, v11, vcc_lo
	ds_bpermute_b32 v10, v7, v6
	s_waitcnt lgkmcnt(0)
	v_dual_add_f32 v6, v6, v10 :: v_dual_lshlrev_b32 v11, 2, v11
	ds_bpermute_b32 v8, v7, v4
	ds_bpermute_b32 v9, v7, v5
	s_waitcnt lgkmcnt(0)
	v_dual_add_f32 v4, v4, v8 :: v_dual_add_f32 v5, v5, v9
	ds_bpermute_b32 v9, v11, v6
	v_add_f32_e32 v3, v17, v3
	ds_bpermute_b32 v7, v7, v3
	s_waitcnt lgkmcnt(0)
	v_add_f32_e32 v3, v3, v7
	ds_bpermute_b32 v7, v11, v4
	ds_bpermute_b32 v10, v11, v3
	s_waitcnt lgkmcnt(1)
	v_add_f32_e32 v4, v4, v7
	ds_bpermute_b32 v8, v11, v5
	v_xor_b32_e32 v11, 1, v2
	s_waitcnt lgkmcnt(1)
	v_add_f32_e32 v3, v3, v10
	s_delay_alu instid0(VALU_DEP_2) | instskip(SKIP_2) | instid1(VALU_DEP_2)
	v_cmp_gt_i32_e32 vcc_lo, 32, v11
	v_cndmask_b32_e32 v2, v2, v11, vcc_lo
	v_cmp_eq_u32_e32 vcc_lo, 15, v0
	v_dual_add_f32 v2, v6, v9 :: v_dual_lshlrev_b32 v11, 2, v2
	s_waitcnt lgkmcnt(0)
	v_add_f32_e32 v5, v5, v8
	ds_bpermute_b32 v8, v11, v4
	ds_bpermute_b32 v6, v11, v2
	;; [unrolled: 1-line block ×4, first 2 shown]
	s_and_b32 exec_lo, exec_lo, vcc_lo
	s_cbranch_execz .LBB224_33
; %bb.29:
	s_load_b64 s[2:3], s[0:1], 0x38
	v_cmp_eq_f32_e32 vcc_lo, 0, v14
	v_cmp_eq_f32_e64 s0, 0, v15
	s_waitcnt lgkmcnt(0)
	v_dual_add_f32 v0, v4, v8 :: v_dual_add_f32 v3, v3, v7
	v_add_f32_e32 v4, v5, v9
	v_add_f32_e32 v2, v2, v6
	s_and_b32 s0, vcc_lo, s0
	s_delay_alu instid0(SALU_CYCLE_1) | instskip(NEXT) | instid1(SALU_CYCLE_1)
	s_and_saveexec_b32 s1, s0
	s_xor_b32 s0, exec_lo, s1
	s_cbranch_execz .LBB224_31
; %bb.30:
	v_mul_f32_e64 v5, v4, -v13
	v_lshlrev_b32_e32 v8, 1, v1
	v_mul_f32_e32 v6, v4, v12
	v_mul_f32_e64 v7, v3, -v13
                                        ; implicit-def: $vgpr14
                                        ; implicit-def: $vgpr15
                                        ; implicit-def: $vgpr4
	s_delay_alu instid0(VALU_DEP_4) | instskip(NEXT) | instid1(VALU_DEP_4)
	v_fmac_f32_e32 v5, v12, v0
	v_ashrrev_i32_e32 v9, 31, v8
	s_delay_alu instid0(VALU_DEP_3) | instskip(NEXT) | instid1(VALU_DEP_2)
	v_dual_fmac_f32 v6, v13, v0 :: v_dual_fmac_f32 v7, v12, v2
	v_lshlrev_b64 v[9:10], 3, v[8:9]
	v_mul_f32_e32 v8, v3, v12
                                        ; implicit-def: $vgpr12
                                        ; implicit-def: $vgpr3
	s_delay_alu instid0(VALU_DEP_1) | instskip(NEXT) | instid1(VALU_DEP_3)
	v_fmac_f32_e32 v8, v13, v2
	v_add_co_u32 v0, vcc_lo, s2, v9
	s_delay_alu instid0(VALU_DEP_4)
	v_add_co_ci_u32_e32 v1, vcc_lo, s3, v10, vcc_lo
                                        ; implicit-def: $vgpr13
                                        ; implicit-def: $vgpr2
	global_store_b128 v[0:1], v[5:8], off
                                        ; implicit-def: $vgpr1
                                        ; implicit-def: $vgpr0
.LBB224_31:
	s_and_not1_saveexec_b32 s0, s0
	s_cbranch_execz .LBB224_33
; %bb.32:
	v_lshlrev_b32_e32 v5, 1, v1
	v_mul_f32_e64 v11, v4, -v13
	v_mul_f32_e32 v1, v4, v12
	v_mul_f32_e64 v4, v3, -v13
	v_mul_f32_e32 v3, v3, v12
	s_delay_alu instid0(VALU_DEP_4) | instskip(NEXT) | instid1(VALU_DEP_3)
	v_fmac_f32_e32 v11, v12, v0
	v_fmac_f32_e32 v4, v12, v2
	v_ashrrev_i32_e32 v6, 31, v5
	s_delay_alu instid0(VALU_DEP_4) | instskip(NEXT) | instid1(VALU_DEP_2)
	v_fmac_f32_e32 v3, v13, v2
	v_lshlrev_b64 v[5:6], 3, v[5:6]
	s_delay_alu instid0(VALU_DEP_1) | instskip(NEXT) | instid1(VALU_DEP_2)
	v_add_co_u32 v9, vcc_lo, s2, v5
	v_add_co_ci_u32_e32 v10, vcc_lo, s3, v6, vcc_lo
	global_load_b128 v[5:8], v[9:10], off
	s_waitcnt vmcnt(0)
	v_dual_fmac_f32 v4, v14, v7 :: v_dual_fmac_f32 v1, v13, v0
	v_fmac_f32_e32 v11, v14, v5
	v_fmac_f32_e32 v3, v15, v7
	s_delay_alu instid0(VALU_DEP_3) | instskip(NEXT) | instid1(VALU_DEP_4)
	v_fma_f32 v2, -v15, v8, v4
	v_fmac_f32_e32 v1, v15, v5
	s_delay_alu instid0(VALU_DEP_4) | instskip(NEXT) | instid1(VALU_DEP_4)
	v_fma_f32 v0, -v15, v6, v11
	v_fmac_f32_e32 v3, v14, v8
	s_delay_alu instid0(VALU_DEP_3)
	v_fmac_f32_e32 v1, v14, v6
	global_store_b128 v[9:10], v[0:3], off
.LBB224_33:
	s_nop 0
	s_sendmsg sendmsg(MSG_DEALLOC_VGPRS)
	s_endpgm
	.section	.rodata,"a",@progbits
	.p2align	6, 0x0
	.amdhsa_kernel _ZN9rocsparseL19gebsrmvn_2xn_kernelILj128ELj16ELj16E21rocsparse_complex_numIfEEEvi20rocsparse_direction_NS_24const_host_device_scalarIT2_EEPKiS8_PKS5_SA_S6_PS5_21rocsparse_index_base_b
		.amdhsa_group_segment_fixed_size 0
		.amdhsa_private_segment_fixed_size 0
		.amdhsa_kernarg_size 72
		.amdhsa_user_sgpr_count 15
		.amdhsa_user_sgpr_dispatch_ptr 0
		.amdhsa_user_sgpr_queue_ptr 0
		.amdhsa_user_sgpr_kernarg_segment_ptr 1
		.amdhsa_user_sgpr_dispatch_id 0
		.amdhsa_user_sgpr_private_segment_size 0
		.amdhsa_wavefront_size32 1
		.amdhsa_uses_dynamic_stack 0
		.amdhsa_enable_private_segment 0
		.amdhsa_system_sgpr_workgroup_id_x 1
		.amdhsa_system_sgpr_workgroup_id_y 0
		.amdhsa_system_sgpr_workgroup_id_z 0
		.amdhsa_system_sgpr_workgroup_info 0
		.amdhsa_system_vgpr_workitem_id 0
		.amdhsa_next_free_vgpr 47
		.amdhsa_next_free_sgpr 18
		.amdhsa_reserve_vcc 1
		.amdhsa_float_round_mode_32 0
		.amdhsa_float_round_mode_16_64 0
		.amdhsa_float_denorm_mode_32 3
		.amdhsa_float_denorm_mode_16_64 3
		.amdhsa_dx10_clamp 1
		.amdhsa_ieee_mode 1
		.amdhsa_fp16_overflow 0
		.amdhsa_workgroup_processor_mode 1
		.amdhsa_memory_ordered 1
		.amdhsa_forward_progress 0
		.amdhsa_shared_vgpr_count 0
		.amdhsa_exception_fp_ieee_invalid_op 0
		.amdhsa_exception_fp_denorm_src 0
		.amdhsa_exception_fp_ieee_div_zero 0
		.amdhsa_exception_fp_ieee_overflow 0
		.amdhsa_exception_fp_ieee_underflow 0
		.amdhsa_exception_fp_ieee_inexact 0
		.amdhsa_exception_int_div_zero 0
	.end_amdhsa_kernel
	.section	.text._ZN9rocsparseL19gebsrmvn_2xn_kernelILj128ELj16ELj16E21rocsparse_complex_numIfEEEvi20rocsparse_direction_NS_24const_host_device_scalarIT2_EEPKiS8_PKS5_SA_S6_PS5_21rocsparse_index_base_b,"axG",@progbits,_ZN9rocsparseL19gebsrmvn_2xn_kernelILj128ELj16ELj16E21rocsparse_complex_numIfEEEvi20rocsparse_direction_NS_24const_host_device_scalarIT2_EEPKiS8_PKS5_SA_S6_PS5_21rocsparse_index_base_b,comdat
.Lfunc_end224:
	.size	_ZN9rocsparseL19gebsrmvn_2xn_kernelILj128ELj16ELj16E21rocsparse_complex_numIfEEEvi20rocsparse_direction_NS_24const_host_device_scalarIT2_EEPKiS8_PKS5_SA_S6_PS5_21rocsparse_index_base_b, .Lfunc_end224-_ZN9rocsparseL19gebsrmvn_2xn_kernelILj128ELj16ELj16E21rocsparse_complex_numIfEEEvi20rocsparse_direction_NS_24const_host_device_scalarIT2_EEPKiS8_PKS5_SA_S6_PS5_21rocsparse_index_base_b
                                        ; -- End function
	.section	.AMDGPU.csdata,"",@progbits
; Kernel info:
; codeLenInByte = 2236
; NumSgprs: 20
; NumVgprs: 47
; ScratchSize: 0
; MemoryBound: 0
; FloatMode: 240
; IeeeMode: 1
; LDSByteSize: 0 bytes/workgroup (compile time only)
; SGPRBlocks: 2
; VGPRBlocks: 5
; NumSGPRsForWavesPerEU: 20
; NumVGPRsForWavesPerEU: 47
; Occupancy: 16
; WaveLimiterHint : 1
; COMPUTE_PGM_RSRC2:SCRATCH_EN: 0
; COMPUTE_PGM_RSRC2:USER_SGPR: 15
; COMPUTE_PGM_RSRC2:TRAP_HANDLER: 0
; COMPUTE_PGM_RSRC2:TGID_X_EN: 1
; COMPUTE_PGM_RSRC2:TGID_Y_EN: 0
; COMPUTE_PGM_RSRC2:TGID_Z_EN: 0
; COMPUTE_PGM_RSRC2:TIDIG_COMP_CNT: 0
	.section	.text._ZN9rocsparseL19gebsrmvn_2xn_kernelILj128ELj16ELj32E21rocsparse_complex_numIfEEEvi20rocsparse_direction_NS_24const_host_device_scalarIT2_EEPKiS8_PKS5_SA_S6_PS5_21rocsparse_index_base_b,"axG",@progbits,_ZN9rocsparseL19gebsrmvn_2xn_kernelILj128ELj16ELj32E21rocsparse_complex_numIfEEEvi20rocsparse_direction_NS_24const_host_device_scalarIT2_EEPKiS8_PKS5_SA_S6_PS5_21rocsparse_index_base_b,comdat
	.globl	_ZN9rocsparseL19gebsrmvn_2xn_kernelILj128ELj16ELj32E21rocsparse_complex_numIfEEEvi20rocsparse_direction_NS_24const_host_device_scalarIT2_EEPKiS8_PKS5_SA_S6_PS5_21rocsparse_index_base_b ; -- Begin function _ZN9rocsparseL19gebsrmvn_2xn_kernelILj128ELj16ELj32E21rocsparse_complex_numIfEEEvi20rocsparse_direction_NS_24const_host_device_scalarIT2_EEPKiS8_PKS5_SA_S6_PS5_21rocsparse_index_base_b
	.p2align	8
	.type	_ZN9rocsparseL19gebsrmvn_2xn_kernelILj128ELj16ELj32E21rocsparse_complex_numIfEEEvi20rocsparse_direction_NS_24const_host_device_scalarIT2_EEPKiS8_PKS5_SA_S6_PS5_21rocsparse_index_base_b,@function
_ZN9rocsparseL19gebsrmvn_2xn_kernelILj128ELj16ELj32E21rocsparse_complex_numIfEEEvi20rocsparse_direction_NS_24const_host_device_scalarIT2_EEPKiS8_PKS5_SA_S6_PS5_21rocsparse_index_base_b: ; @_ZN9rocsparseL19gebsrmvn_2xn_kernelILj128ELj16ELj32E21rocsparse_complex_numIfEEEvi20rocsparse_direction_NS_24const_host_device_scalarIT2_EEPKiS8_PKS5_SA_S6_PS5_21rocsparse_index_base_b
; %bb.0:
	s_clause 0x2
	s_load_b64 s[12:13], s[0:1], 0x40
	s_load_b64 s[4:5], s[0:1], 0x8
	;; [unrolled: 1-line block ×3, first 2 shown]
	s_waitcnt lgkmcnt(0)
	s_bitcmp1_b32 s13, 0
	v_mov_b32_e32 v12, s4
	s_cselect_b32 s6, -1, 0
	s_delay_alu instid0(SALU_CYCLE_1)
	s_and_b32 vcc_lo, exec_lo, s6
	s_xor_b32 s6, s6, -1
	s_cbranch_vccz .LBB225_17
; %bb.1:
	v_cndmask_b32_e64 v1, 0, 1, s6
	v_mov_b32_e32 v13, s5
	s_and_not1_b32 vcc_lo, exec_lo, s6
	s_cbranch_vccz .LBB225_18
.LBB225_2:
	s_delay_alu instid0(VALU_DEP_2)
	v_cmp_ne_u32_e32 vcc_lo, 1, v1
	v_mov_b32_e32 v14, s2
	s_cbranch_vccz .LBB225_19
.LBB225_3:
	v_cmp_ne_u32_e32 vcc_lo, 1, v1
	v_mov_b32_e32 v15, s3
	s_cbranch_vccnz .LBB225_5
.LBB225_4:
	v_dual_mov_b32 v1, s2 :: v_dual_mov_b32 v2, s3
	flat_load_b32 v15, v[1:2] offset:4
.LBB225_5:
	s_waitcnt vmcnt(0) lgkmcnt(0)
	v_cmp_eq_f32_e32 vcc_lo, 0, v12
	v_cmp_eq_f32_e64 s2, 0, v13
	s_delay_alu instid0(VALU_DEP_1)
	s_and_b32 s4, vcc_lo, s2
	s_mov_b32 s2, -1
	s_and_saveexec_b32 s3, s4
; %bb.6:
	v_cmp_neq_f32_e32 vcc_lo, 1.0, v14
	v_cmp_neq_f32_e64 s2, 0, v15
	s_delay_alu instid0(VALU_DEP_1) | instskip(NEXT) | instid1(SALU_CYCLE_1)
	s_or_b32 s2, vcc_lo, s2
	s_or_not1_b32 s2, s2, exec_lo
; %bb.7:
	s_or_b32 exec_lo, exec_lo, s3
	s_and_saveexec_b32 s3, s2
	s_cbranch_execz .LBB225_33
; %bb.8:
	s_load_b64 s[2:3], s[0:1], 0x0
	v_lshrrev_b32_e32 v1, 5, v0
	s_delay_alu instid0(VALU_DEP_1) | instskip(SKIP_1) | instid1(VALU_DEP_1)
	v_lshl_or_b32 v1, s15, 2, v1
	s_waitcnt lgkmcnt(0)
	v_cmp_gt_i32_e32 vcc_lo, s2, v1
	s_and_b32 exec_lo, exec_lo, vcc_lo
	s_cbranch_execz .LBB225_33
; %bb.9:
	s_load_b256 s[4:11], s[0:1], 0x10
	v_ashrrev_i32_e32 v2, 31, v1
	v_and_b32_e32 v0, 31, v0
	s_cmp_lg_u32 s3, 0
	s_delay_alu instid0(VALU_DEP_2) | instskip(SKIP_1) | instid1(VALU_DEP_1)
	v_lshlrev_b64 v[2:3], 2, v[1:2]
	s_waitcnt lgkmcnt(0)
	v_add_co_u32 v2, vcc_lo, s4, v2
	s_delay_alu instid0(VALU_DEP_2) | instskip(SKIP_4) | instid1(VALU_DEP_2)
	v_add_co_ci_u32_e32 v3, vcc_lo, s5, v3, vcc_lo
	global_load_b64 v[2:3], v[2:3], off
	s_waitcnt vmcnt(0)
	v_subrev_nc_u32_e32 v2, s12, v2
	v_subrev_nc_u32_e32 v18, s12, v3
	v_add_nc_u32_e32 v2, v2, v0
	s_delay_alu instid0(VALU_DEP_1)
	v_cmp_lt_i32_e64 s2, v2, v18
	s_cbranch_scc0 .LBB225_20
; %bb.10:
	v_dual_mov_b32 v16, 0 :: v_dual_mov_b32 v19, 0
	v_dual_mov_b32 v20, 0 :: v_dual_mov_b32 v17, 0
	s_mov_b32 s13, 0
	s_and_saveexec_b32 s14, s2
	s_cbranch_execz .LBB225_16
; %bb.11:
	v_dual_mov_b32 v6, 0 :: v_dual_lshlrev_b32 v3, 5, v2
	v_dual_mov_b32 v7, v2 :: v_dual_mov_b32 v16, 0
	v_dual_mov_b32 v19, 0 :: v_dual_mov_b32 v20, 0
	s_delay_alu instid0(VALU_DEP_3)
	v_or_b32_e32 v21, 6, v3
	v_mov_b32_e32 v17, 0
	s_add_u32 s15, s8, 8
	s_addc_u32 s17, s9, 0
	s_mov_b32 s16, 0
.LBB225_12:                             ; =>This Loop Header: Depth=1
                                        ;     Child Loop BB225_13 Depth 2
	v_ashrrev_i32_e32 v8, 31, v7
	v_mov_b32_e32 v10, v21
	s_mov_b64 s[4:5], 0
	s_delay_alu instid0(VALU_DEP_2) | instskip(NEXT) | instid1(VALU_DEP_1)
	v_lshlrev_b64 v[4:5], 2, v[7:8]
	v_add_co_u32 v4, vcc_lo, s6, v4
	s_delay_alu instid0(VALU_DEP_2) | instskip(SKIP_3) | instid1(VALU_DEP_1)
	v_add_co_ci_u32_e32 v5, vcc_lo, s7, v5, vcc_lo
	global_load_b32 v4, v[4:5], off
	s_waitcnt vmcnt(0)
	v_subrev_nc_u32_e32 v5, s12, v4
	v_dual_mov_b32 v4, v6 :: v_dual_lshlrev_b32 v5, 4, v5
	s_delay_alu instid0(VALU_DEP_1) | instskip(NEXT) | instid1(VALU_DEP_2)
	v_lshlrev_b64 v[8:9], 3, v[3:4]
	v_lshlrev_b64 v[4:5], 3, v[5:6]
	s_delay_alu instid0(VALU_DEP_2) | instskip(NEXT) | instid1(VALU_DEP_3)
	v_add_co_u32 v8, vcc_lo, s15, v8
	v_add_co_ci_u32_e32 v9, vcc_lo, s17, v9, vcc_lo
	s_delay_alu instid0(VALU_DEP_3) | instskip(NEXT) | instid1(VALU_DEP_4)
	v_add_co_u32 v4, vcc_lo, s10, v4
	v_add_co_ci_u32_e32 v22, vcc_lo, s11, v5, vcc_lo
.LBB225_13:                             ;   Parent Loop BB225_12 Depth=1
                                        ; =>  This Inner Loop Header: Depth=2
	s_delay_alu instid0(VALU_DEP_2) | instskip(NEXT) | instid1(VALU_DEP_2)
	v_add_co_u32 v31, vcc_lo, v4, s4
	v_add_co_ci_u32_e32 v32, vcc_lo, s5, v22, vcc_lo
	global_load_b128 v[23:26], v[8:9], off offset:-8
	s_add_u32 s4, s4, 32
	s_addc_u32 s5, s5, 0
	s_clause 0x1
	global_load_b128 v[27:30], v[31:32], off offset:16
	global_load_b128 v[31:34], v[31:32], off
	v_add_nc_u32_e32 v5, -4, v10
	v_mov_b32_e32 v11, v6
	s_cmpk_eq_i32 s4, 0x80
	s_waitcnt vmcnt(0)
	v_fmac_f32_e32 v20, v25, v31
	v_fmac_f32_e32 v16, v24, v31
	v_lshlrev_b64 v[35:36], 3, v[5:6]
	v_add_nc_u32_e32 v5, -2, v10
	v_lshlrev_b64 v[42:43], 3, v[10:11]
	v_fma_f32 v11, -v26, v32, v20
	v_fmac_f32_e32 v16, v23, v32
	v_add_nc_u32_e32 v10, 8, v10
	v_add_co_u32 v35, vcc_lo, s8, v35
	v_add_co_ci_u32_e32 v36, vcc_lo, s9, v36, vcc_lo
	v_lshlrev_b64 v[39:40], 3, v[5:6]
	v_add_co_u32 v44, vcc_lo, s8, v42
	global_load_b128 v[35:38], v[35:36], off
	v_add_co_ci_u32_e32 v45, vcc_lo, s9, v43, vcc_lo
	v_add_co_u32 v39, s3, s8, v39
	s_delay_alu instid0(VALU_DEP_1)
	v_add_co_ci_u32_e64 v40, s3, s9, v40, s3
	global_load_b128 v[43:46], v[44:45], off
	v_add_co_u32 v8, vcc_lo, v8, 64
	global_load_b128 v[39:42], v[39:40], off
	v_fmac_f32_e32 v19, v23, v31
	v_add_co_ci_u32_e32 v9, vcc_lo, 0, v9, vcc_lo
	s_waitcnt vmcnt(2)
	v_dual_fmac_f32 v16, v36, v33 :: v_dual_fmac_f32 v17, v26, v31
	s_delay_alu instid0(VALU_DEP_3) | instskip(NEXT) | instid1(VALU_DEP_2)
	v_fma_f32 v5, -v24, v32, v19
	v_dual_fmac_f32 v16, v35, v34 :: v_dual_fmac_f32 v17, v25, v32
	s_waitcnt vmcnt(0)
	s_delay_alu instid0(VALU_DEP_1) | instskip(SKIP_1) | instid1(VALU_DEP_2)
	v_dual_fmac_f32 v5, v35, v33 :: v_dual_fmac_f32 v16, v40, v27
	v_fmac_f32_e32 v11, v37, v33
	v_fma_f32 v5, -v36, v34, v5
	s_delay_alu instid0(VALU_DEP_3) | instskip(NEXT) | instid1(VALU_DEP_3)
	v_fmac_f32_e32 v16, v39, v28
	v_fma_f32 v11, -v38, v34, v11
	s_delay_alu instid0(VALU_DEP_2) | instskip(SKIP_1) | instid1(VALU_DEP_3)
	v_dual_fmac_f32 v5, v39, v27 :: v_dual_fmac_f32 v16, v44, v29
	v_fmac_f32_e32 v17, v38, v33
	v_fmac_f32_e32 v11, v41, v27
	s_delay_alu instid0(VALU_DEP_3) | instskip(NEXT) | instid1(VALU_DEP_4)
	v_fma_f32 v5, -v40, v28, v5
	v_fmac_f32_e32 v16, v43, v30
	s_delay_alu instid0(VALU_DEP_4) | instskip(NEXT) | instid1(VALU_DEP_4)
	v_fmac_f32_e32 v17, v37, v34
	v_fma_f32 v11, -v42, v28, v11
	s_delay_alu instid0(VALU_DEP_4) | instskip(NEXT) | instid1(VALU_DEP_3)
	v_fmac_f32_e32 v5, v43, v29
	v_fmac_f32_e32 v17, v42, v27
	s_delay_alu instid0(VALU_DEP_3) | instskip(NEXT) | instid1(VALU_DEP_3)
	v_fmac_f32_e32 v11, v45, v29
	v_fma_f32 v19, -v44, v30, v5
	s_delay_alu instid0(VALU_DEP_3) | instskip(NEXT) | instid1(VALU_DEP_3)
	v_fmac_f32_e32 v17, v41, v28
	v_fma_f32 v20, -v46, v30, v11
	s_delay_alu instid0(VALU_DEP_2) | instskip(NEXT) | instid1(VALU_DEP_1)
	v_fmac_f32_e32 v17, v46, v29
	v_fmac_f32_e32 v17, v45, v30
	s_cbranch_scc0 .LBB225_13
; %bb.14:                               ;   in Loop: Header=BB225_12 Depth=1
	v_add_nc_u32_e32 v7, 32, v7
	v_add_nc_u32_e32 v21, 0x400, v21
	;; [unrolled: 1-line block ×3, first 2 shown]
	s_delay_alu instid0(VALU_DEP_3) | instskip(SKIP_1) | instid1(SALU_CYCLE_1)
	v_cmp_ge_i32_e32 vcc_lo, v7, v18
	s_or_b32 s16, vcc_lo, s16
	s_and_not1_b32 exec_lo, exec_lo, s16
	s_cbranch_execnz .LBB225_12
; %bb.15:
	s_or_b32 exec_lo, exec_lo, s16
.LBB225_16:
	s_delay_alu instid0(SALU_CYCLE_1) | instskip(NEXT) | instid1(SALU_CYCLE_1)
	s_or_b32 exec_lo, exec_lo, s14
	s_and_not1_b32 vcc_lo, exec_lo, s13
	s_cbranch_vccz .LBB225_21
	s_branch .LBB225_28
.LBB225_17:
	v_dual_mov_b32 v1, s4 :: v_dual_mov_b32 v2, s5
	flat_load_b32 v12, v[1:2]
	v_cndmask_b32_e64 v1, 0, 1, s6
	v_mov_b32_e32 v13, s5
	s_and_not1_b32 vcc_lo, exec_lo, s6
	s_cbranch_vccnz .LBB225_2
.LBB225_18:
	v_dual_mov_b32 v2, s4 :: v_dual_mov_b32 v3, s5
	flat_load_b32 v13, v[2:3] offset:4
	v_cmp_ne_u32_e32 vcc_lo, 1, v1
	v_mov_b32_e32 v14, s2
	s_cbranch_vccnz .LBB225_3
.LBB225_19:
	v_dual_mov_b32 v2, s2 :: v_dual_mov_b32 v3, s3
	flat_load_b32 v14, v[2:3]
	v_cmp_ne_u32_e32 vcc_lo, 1, v1
	v_mov_b32_e32 v15, s3
	s_cbranch_vccz .LBB225_4
	s_branch .LBB225_5
.LBB225_20:
                                        ; implicit-def: $vgpr16
                                        ; implicit-def: $vgpr19
                                        ; implicit-def: $vgpr20
                                        ; implicit-def: $vgpr17
.LBB225_21:
	v_dual_mov_b32 v16, 0 :: v_dual_mov_b32 v19, 0
	v_dual_mov_b32 v20, 0 :: v_dual_mov_b32 v17, 0
	s_delay_alu instid0(VALU_DEP_3)
	s_and_saveexec_b32 s4, s2
	s_cbranch_execz .LBB225_27
; %bb.22:
	v_dual_mov_b32 v5, 0 :: v_dual_lshlrev_b32 v4, 5, v2
	s_mov_b32 s5, 0
	s_delay_alu instid0(VALU_DEP_1)
	v_mov_b32_e32 v16, v5
	v_mov_b32_e32 v19, v5
	;; [unrolled: 1-line block ×4, first 2 shown]
.LBB225_23:                             ; =>This Loop Header: Depth=1
                                        ;     Child Loop BB225_24 Depth 2
	v_ashrrev_i32_e32 v3, 31, v2
	v_lshlrev_b64 v[8:9], 3, v[4:5]
	s_mov_b64 s[2:3], 0
	s_delay_alu instid0(VALU_DEP_2) | instskip(NEXT) | instid1(VALU_DEP_1)
	v_lshlrev_b64 v[6:7], 2, v[2:3]
	v_add_co_u32 v6, vcc_lo, s6, v6
	s_delay_alu instid0(VALU_DEP_2) | instskip(SKIP_3) | instid1(VALU_DEP_1)
	v_add_co_ci_u32_e32 v7, vcc_lo, s7, v7, vcc_lo
	global_load_b32 v3, v[6:7], off
	s_waitcnt vmcnt(0)
	v_subrev_nc_u32_e32 v3, s12, v3
	v_dual_mov_b32 v7, v5 :: v_dual_lshlrev_b32 v6, 4, v3
	v_add_co_u32 v3, vcc_lo, s8, v8
	s_delay_alu instid0(VALU_DEP_2) | instskip(SKIP_1) | instid1(VALU_DEP_2)
	v_lshlrev_b64 v[10:11], 3, v[6:7]
	v_add_co_ci_u32_e32 v6, vcc_lo, s9, v9, vcc_lo
	v_add_co_u32 v7, vcc_lo, s10, v10
	s_delay_alu instid0(VALU_DEP_3)
	v_add_co_ci_u32_e32 v8, vcc_lo, s11, v11, vcc_lo
.LBB225_24:                             ;   Parent Loop BB225_23 Depth=1
                                        ; =>  This Inner Loop Header: Depth=2
	v_add_co_u32 v9, vcc_lo, v3, s2
	s_delay_alu instid0(VALU_DEP_4) | instskip(NEXT) | instid1(VALU_DEP_4)
	v_add_co_ci_u32_e32 v10, vcc_lo, s3, v6, vcc_lo
	v_add_co_u32 v37, vcc_lo, v7, s2
	s_delay_alu instid0(VALU_DEP_4)
	v_add_co_ci_u32_e32 v38, vcc_lo, s3, v8, vcc_lo
	s_add_u32 s2, s2, 32
	global_load_b128 v[21:24], v[9:10], off
	global_load_b128 v[25:28], v[37:38], off
	s_clause 0x1
	global_load_b128 v[29:32], v[9:10], off offset:128
	global_load_b128 v[33:36], v[9:10], off offset:16
	global_load_b128 v[37:40], v[37:38], off offset:16
	global_load_b128 v[41:44], v[9:10], off offset:144
	s_addc_u32 s3, s3, 0
	s_cmpk_eq_i32 s2, 0x80
	s_waitcnt vmcnt(3)
	v_fmac_f32_e32 v17, v30, v25
	s_delay_alu instid0(VALU_DEP_1) | instskip(NEXT) | instid1(VALU_DEP_1)
	v_dual_fmac_f32 v16, v22, v25 :: v_dual_fmac_f32 v17, v29, v26
	v_fmac_f32_e32 v16, v21, v26
	s_delay_alu instid0(VALU_DEP_1) | instskip(NEXT) | instid1(VALU_DEP_1)
	v_dual_fmac_f32 v19, v21, v25 :: v_dual_fmac_f32 v16, v24, v27
	v_fma_f32 v9, -v22, v26, v19
	s_delay_alu instid0(VALU_DEP_4) | instskip(NEXT) | instid1(VALU_DEP_3)
	v_dual_fmac_f32 v20, v29, v25 :: v_dual_fmac_f32 v17, v32, v27
	v_fmac_f32_e32 v16, v23, v28
	s_delay_alu instid0(VALU_DEP_3) | instskip(NEXT) | instid1(VALU_DEP_3)
	v_fmac_f32_e32 v9, v23, v27
	v_fma_f32 v10, -v30, v26, v20
	s_waitcnt vmcnt(1)
	s_delay_alu instid0(VALU_DEP_3) | instskip(NEXT) | instid1(VALU_DEP_3)
	v_dual_fmac_f32 v17, v31, v28 :: v_dual_fmac_f32 v16, v34, v37
	v_fma_f32 v9, -v24, v28, v9
	s_waitcnt vmcnt(0)
	s_delay_alu instid0(VALU_DEP_2) | instskip(NEXT) | instid1(VALU_DEP_3)
	v_dual_fmac_f32 v10, v31, v27 :: v_dual_fmac_f32 v17, v42, v37
	v_fmac_f32_e32 v16, v33, v38
	s_delay_alu instid0(VALU_DEP_3) | instskip(NEXT) | instid1(VALU_DEP_3)
	v_fmac_f32_e32 v9, v33, v37
	v_fma_f32 v10, -v32, v28, v10
	s_delay_alu instid0(VALU_DEP_3) | instskip(NEXT) | instid1(VALU_DEP_3)
	v_dual_fmac_f32 v17, v41, v38 :: v_dual_fmac_f32 v16, v36, v39
	v_fma_f32 v9, -v34, v38, v9
	s_delay_alu instid0(VALU_DEP_2) | instskip(NEXT) | instid1(VALU_DEP_3)
	v_dual_fmac_f32 v10, v41, v37 :: v_dual_fmac_f32 v17, v44, v39
	v_fmac_f32_e32 v16, v35, v40
	s_delay_alu instid0(VALU_DEP_3) | instskip(NEXT) | instid1(VALU_DEP_3)
	v_fmac_f32_e32 v9, v35, v39
	v_fma_f32 v10, -v42, v38, v10
	s_delay_alu instid0(VALU_DEP_4) | instskip(NEXT) | instid1(VALU_DEP_3)
	v_fmac_f32_e32 v17, v43, v40
	v_fma_f32 v19, -v36, v40, v9
	s_delay_alu instid0(VALU_DEP_3) | instskip(NEXT) | instid1(VALU_DEP_1)
	v_fmac_f32_e32 v10, v43, v39
	v_fma_f32 v20, -v44, v40, v10
	s_cbranch_scc0 .LBB225_24
; %bb.25:                               ;   in Loop: Header=BB225_23 Depth=1
	v_add_nc_u32_e32 v2, 32, v2
	v_add_nc_u32_e32 v4, 0x400, v4
	s_delay_alu instid0(VALU_DEP_2) | instskip(SKIP_1) | instid1(SALU_CYCLE_1)
	v_cmp_ge_i32_e32 vcc_lo, v2, v18
	s_or_b32 s5, vcc_lo, s5
	s_and_not1_b32 exec_lo, exec_lo, s5
	s_cbranch_execnz .LBB225_23
; %bb.26:
	s_or_b32 exec_lo, exec_lo, s5
.LBB225_27:
	s_delay_alu instid0(SALU_CYCLE_1)
	s_or_b32 exec_lo, exec_lo, s4
.LBB225_28:
	v_mbcnt_lo_u32_b32 v2, -1, 0
	s_delay_alu instid0(VALU_DEP_1) | instskip(SKIP_2) | instid1(VALU_DEP_3)
	v_xor_b32_e32 v3, 16, v2
	v_xor_b32_e32 v7, 8, v2
	;; [unrolled: 1-line block ×3, first 2 shown]
	v_cmp_gt_i32_e32 vcc_lo, 32, v3
	v_cndmask_b32_e32 v3, v2, v3, vcc_lo
	s_delay_alu instid0(VALU_DEP_4) | instskip(NEXT) | instid1(VALU_DEP_2)
	v_cmp_gt_i32_e32 vcc_lo, 32, v7
	v_lshlrev_b32_e32 v3, 2, v3
	ds_bpermute_b32 v6, v3, v20
	s_waitcnt lgkmcnt(0)
	v_add_f32_e32 v6, v20, v6
	ds_bpermute_b32 v4, v3, v19
	ds_bpermute_b32 v5, v3, v16
	;; [unrolled: 1-line block ×3, first 2 shown]
	s_waitcnt lgkmcnt(2)
	v_dual_add_f32 v4, v19, v4 :: v_dual_cndmask_b32 v7, v2, v7
	s_waitcnt lgkmcnt(1)
	v_add_f32_e32 v5, v16, v5
	v_cmp_gt_i32_e32 vcc_lo, 32, v11
	s_delay_alu instid0(VALU_DEP_3)
	v_lshlrev_b32_e32 v7, 2, v7
	v_cndmask_b32_e32 v11, v2, v11, vcc_lo
	ds_bpermute_b32 v10, v7, v6
	s_waitcnt lgkmcnt(0)
	v_dual_add_f32 v6, v6, v10 :: v_dual_lshlrev_b32 v11, 2, v11
	ds_bpermute_b32 v8, v7, v4
	ds_bpermute_b32 v9, v7, v5
	s_waitcnt lgkmcnt(0)
	v_dual_add_f32 v4, v4, v8 :: v_dual_add_f32 v5, v5, v9
	ds_bpermute_b32 v9, v11, v6
	s_waitcnt lgkmcnt(0)
	v_dual_add_f32 v3, v17, v3 :: v_dual_add_f32 v6, v6, v9
	ds_bpermute_b32 v7, v7, v3
	s_waitcnt lgkmcnt(0)
	v_add_f32_e32 v3, v3, v7
	ds_bpermute_b32 v7, v11, v4
	ds_bpermute_b32 v10, v11, v3
	s_waitcnt lgkmcnt(1)
	v_add_f32_e32 v4, v4, v7
	ds_bpermute_b32 v8, v11, v5
	v_xor_b32_e32 v11, 2, v2
	s_waitcnt lgkmcnt(1)
	v_add_f32_e32 v3, v3, v10
	s_delay_alu instid0(VALU_DEP_2) | instskip(SKIP_1) | instid1(VALU_DEP_1)
	v_cmp_gt_i32_e32 vcc_lo, 32, v11
	v_cndmask_b32_e32 v11, v2, v11, vcc_lo
	v_lshlrev_b32_e32 v11, 2, v11
	ds_bpermute_b32 v7, v11, v4
	s_waitcnt lgkmcnt(1)
	v_add_f32_e32 v5, v5, v8
	ds_bpermute_b32 v9, v11, v6
	ds_bpermute_b32 v10, v11, v3
	s_waitcnt lgkmcnt(2)
	v_add_f32_e32 v4, v4, v7
	ds_bpermute_b32 v8, v11, v5
	v_xor_b32_e32 v11, 1, v2
	s_waitcnt lgkmcnt(1)
	v_add_f32_e32 v3, v3, v10
	s_delay_alu instid0(VALU_DEP_2) | instskip(SKIP_2) | instid1(VALU_DEP_2)
	v_cmp_gt_i32_e32 vcc_lo, 32, v11
	v_cndmask_b32_e32 v2, v2, v11, vcc_lo
	v_cmp_eq_u32_e32 vcc_lo, 31, v0
	v_dual_add_f32 v2, v6, v9 :: v_dual_lshlrev_b32 v11, 2, v2
	s_waitcnt lgkmcnt(0)
	v_add_f32_e32 v5, v5, v8
	ds_bpermute_b32 v8, v11, v4
	ds_bpermute_b32 v6, v11, v2
	;; [unrolled: 1-line block ×4, first 2 shown]
	s_and_b32 exec_lo, exec_lo, vcc_lo
	s_cbranch_execz .LBB225_33
; %bb.29:
	s_load_b64 s[2:3], s[0:1], 0x38
	v_cmp_eq_f32_e32 vcc_lo, 0, v14
	v_cmp_eq_f32_e64 s0, 0, v15
	s_waitcnt lgkmcnt(0)
	v_dual_add_f32 v0, v4, v8 :: v_dual_add_f32 v3, v3, v7
	v_add_f32_e32 v4, v5, v9
	v_add_f32_e32 v2, v2, v6
	s_and_b32 s0, vcc_lo, s0
	s_delay_alu instid0(SALU_CYCLE_1) | instskip(NEXT) | instid1(SALU_CYCLE_1)
	s_and_saveexec_b32 s1, s0
	s_xor_b32 s0, exec_lo, s1
	s_cbranch_execz .LBB225_31
; %bb.30:
	v_mul_f32_e64 v5, v4, -v13
	v_lshlrev_b32_e32 v8, 1, v1
	v_mul_f32_e32 v6, v4, v12
	v_mul_f32_e64 v7, v3, -v13
                                        ; implicit-def: $vgpr14
                                        ; implicit-def: $vgpr15
                                        ; implicit-def: $vgpr4
	s_delay_alu instid0(VALU_DEP_4) | instskip(NEXT) | instid1(VALU_DEP_4)
	v_fmac_f32_e32 v5, v12, v0
	v_ashrrev_i32_e32 v9, 31, v8
	s_delay_alu instid0(VALU_DEP_3) | instskip(NEXT) | instid1(VALU_DEP_2)
	v_dual_fmac_f32 v6, v13, v0 :: v_dual_fmac_f32 v7, v12, v2
	v_lshlrev_b64 v[9:10], 3, v[8:9]
	v_mul_f32_e32 v8, v3, v12
                                        ; implicit-def: $vgpr12
                                        ; implicit-def: $vgpr3
	s_delay_alu instid0(VALU_DEP_1) | instskip(NEXT) | instid1(VALU_DEP_3)
	v_fmac_f32_e32 v8, v13, v2
	v_add_co_u32 v0, vcc_lo, s2, v9
	s_delay_alu instid0(VALU_DEP_4)
	v_add_co_ci_u32_e32 v1, vcc_lo, s3, v10, vcc_lo
                                        ; implicit-def: $vgpr13
                                        ; implicit-def: $vgpr2
	global_store_b128 v[0:1], v[5:8], off
                                        ; implicit-def: $vgpr1
                                        ; implicit-def: $vgpr0
.LBB225_31:
	s_and_not1_saveexec_b32 s0, s0
	s_cbranch_execz .LBB225_33
; %bb.32:
	v_lshlrev_b32_e32 v5, 1, v1
	v_mul_f32_e64 v11, v4, -v13
	v_mul_f32_e32 v1, v4, v12
	v_mul_f32_e64 v4, v3, -v13
	v_mul_f32_e32 v3, v3, v12
	s_delay_alu instid0(VALU_DEP_4) | instskip(NEXT) | instid1(VALU_DEP_3)
	v_fmac_f32_e32 v11, v12, v0
	v_fmac_f32_e32 v4, v12, v2
	v_ashrrev_i32_e32 v6, 31, v5
	s_delay_alu instid0(VALU_DEP_4) | instskip(NEXT) | instid1(VALU_DEP_2)
	v_fmac_f32_e32 v3, v13, v2
	v_lshlrev_b64 v[5:6], 3, v[5:6]
	s_delay_alu instid0(VALU_DEP_1) | instskip(NEXT) | instid1(VALU_DEP_2)
	v_add_co_u32 v9, vcc_lo, s2, v5
	v_add_co_ci_u32_e32 v10, vcc_lo, s3, v6, vcc_lo
	global_load_b128 v[5:8], v[9:10], off
	s_waitcnt vmcnt(0)
	v_dual_fmac_f32 v4, v14, v7 :: v_dual_fmac_f32 v1, v13, v0
	v_fmac_f32_e32 v11, v14, v5
	v_fmac_f32_e32 v3, v15, v7
	s_delay_alu instid0(VALU_DEP_3) | instskip(NEXT) | instid1(VALU_DEP_4)
	v_fma_f32 v2, -v15, v8, v4
	v_fmac_f32_e32 v1, v15, v5
	s_delay_alu instid0(VALU_DEP_4) | instskip(NEXT) | instid1(VALU_DEP_4)
	v_fma_f32 v0, -v15, v6, v11
	v_fmac_f32_e32 v3, v14, v8
	s_delay_alu instid0(VALU_DEP_3)
	v_fmac_f32_e32 v1, v14, v6
	global_store_b128 v[9:10], v[0:3], off
.LBB225_33:
	s_nop 0
	s_sendmsg sendmsg(MSG_DEALLOC_VGPRS)
	s_endpgm
	.section	.rodata,"a",@progbits
	.p2align	6, 0x0
	.amdhsa_kernel _ZN9rocsparseL19gebsrmvn_2xn_kernelILj128ELj16ELj32E21rocsparse_complex_numIfEEEvi20rocsparse_direction_NS_24const_host_device_scalarIT2_EEPKiS8_PKS5_SA_S6_PS5_21rocsparse_index_base_b
		.amdhsa_group_segment_fixed_size 0
		.amdhsa_private_segment_fixed_size 0
		.amdhsa_kernarg_size 72
		.amdhsa_user_sgpr_count 15
		.amdhsa_user_sgpr_dispatch_ptr 0
		.amdhsa_user_sgpr_queue_ptr 0
		.amdhsa_user_sgpr_kernarg_segment_ptr 1
		.amdhsa_user_sgpr_dispatch_id 0
		.amdhsa_user_sgpr_private_segment_size 0
		.amdhsa_wavefront_size32 1
		.amdhsa_uses_dynamic_stack 0
		.amdhsa_enable_private_segment 0
		.amdhsa_system_sgpr_workgroup_id_x 1
		.amdhsa_system_sgpr_workgroup_id_y 0
		.amdhsa_system_sgpr_workgroup_id_z 0
		.amdhsa_system_sgpr_workgroup_info 0
		.amdhsa_system_vgpr_workitem_id 0
		.amdhsa_next_free_vgpr 47
		.amdhsa_next_free_sgpr 18
		.amdhsa_reserve_vcc 1
		.amdhsa_float_round_mode_32 0
		.amdhsa_float_round_mode_16_64 0
		.amdhsa_float_denorm_mode_32 3
		.amdhsa_float_denorm_mode_16_64 3
		.amdhsa_dx10_clamp 1
		.amdhsa_ieee_mode 1
		.amdhsa_fp16_overflow 0
		.amdhsa_workgroup_processor_mode 1
		.amdhsa_memory_ordered 1
		.amdhsa_forward_progress 0
		.amdhsa_shared_vgpr_count 0
		.amdhsa_exception_fp_ieee_invalid_op 0
		.amdhsa_exception_fp_denorm_src 0
		.amdhsa_exception_fp_ieee_div_zero 0
		.amdhsa_exception_fp_ieee_overflow 0
		.amdhsa_exception_fp_ieee_underflow 0
		.amdhsa_exception_fp_ieee_inexact 0
		.amdhsa_exception_int_div_zero 0
	.end_amdhsa_kernel
	.section	.text._ZN9rocsparseL19gebsrmvn_2xn_kernelILj128ELj16ELj32E21rocsparse_complex_numIfEEEvi20rocsparse_direction_NS_24const_host_device_scalarIT2_EEPKiS8_PKS5_SA_S6_PS5_21rocsparse_index_base_b,"axG",@progbits,_ZN9rocsparseL19gebsrmvn_2xn_kernelILj128ELj16ELj32E21rocsparse_complex_numIfEEEvi20rocsparse_direction_NS_24const_host_device_scalarIT2_EEPKiS8_PKS5_SA_S6_PS5_21rocsparse_index_base_b,comdat
.Lfunc_end225:
	.size	_ZN9rocsparseL19gebsrmvn_2xn_kernelILj128ELj16ELj32E21rocsparse_complex_numIfEEEvi20rocsparse_direction_NS_24const_host_device_scalarIT2_EEPKiS8_PKS5_SA_S6_PS5_21rocsparse_index_base_b, .Lfunc_end225-_ZN9rocsparseL19gebsrmvn_2xn_kernelILj128ELj16ELj32E21rocsparse_complex_numIfEEEvi20rocsparse_direction_NS_24const_host_device_scalarIT2_EEPKiS8_PKS5_SA_S6_PS5_21rocsparse_index_base_b
                                        ; -- End function
	.section	.AMDGPU.csdata,"",@progbits
; Kernel info:
; codeLenInByte = 2320
; NumSgprs: 20
; NumVgprs: 47
; ScratchSize: 0
; MemoryBound: 0
; FloatMode: 240
; IeeeMode: 1
; LDSByteSize: 0 bytes/workgroup (compile time only)
; SGPRBlocks: 2
; VGPRBlocks: 5
; NumSGPRsForWavesPerEU: 20
; NumVGPRsForWavesPerEU: 47
; Occupancy: 16
; WaveLimiterHint : 1
; COMPUTE_PGM_RSRC2:SCRATCH_EN: 0
; COMPUTE_PGM_RSRC2:USER_SGPR: 15
; COMPUTE_PGM_RSRC2:TRAP_HANDLER: 0
; COMPUTE_PGM_RSRC2:TGID_X_EN: 1
; COMPUTE_PGM_RSRC2:TGID_Y_EN: 0
; COMPUTE_PGM_RSRC2:TGID_Z_EN: 0
; COMPUTE_PGM_RSRC2:TIDIG_COMP_CNT: 0
	.section	.text._ZN9rocsparseL19gebsrmvn_2xn_kernelILj128ELj16ELj64E21rocsparse_complex_numIfEEEvi20rocsparse_direction_NS_24const_host_device_scalarIT2_EEPKiS8_PKS5_SA_S6_PS5_21rocsparse_index_base_b,"axG",@progbits,_ZN9rocsparseL19gebsrmvn_2xn_kernelILj128ELj16ELj64E21rocsparse_complex_numIfEEEvi20rocsparse_direction_NS_24const_host_device_scalarIT2_EEPKiS8_PKS5_SA_S6_PS5_21rocsparse_index_base_b,comdat
	.globl	_ZN9rocsparseL19gebsrmvn_2xn_kernelILj128ELj16ELj64E21rocsparse_complex_numIfEEEvi20rocsparse_direction_NS_24const_host_device_scalarIT2_EEPKiS8_PKS5_SA_S6_PS5_21rocsparse_index_base_b ; -- Begin function _ZN9rocsparseL19gebsrmvn_2xn_kernelILj128ELj16ELj64E21rocsparse_complex_numIfEEEvi20rocsparse_direction_NS_24const_host_device_scalarIT2_EEPKiS8_PKS5_SA_S6_PS5_21rocsparse_index_base_b
	.p2align	8
	.type	_ZN9rocsparseL19gebsrmvn_2xn_kernelILj128ELj16ELj64E21rocsparse_complex_numIfEEEvi20rocsparse_direction_NS_24const_host_device_scalarIT2_EEPKiS8_PKS5_SA_S6_PS5_21rocsparse_index_base_b,@function
_ZN9rocsparseL19gebsrmvn_2xn_kernelILj128ELj16ELj64E21rocsparse_complex_numIfEEEvi20rocsparse_direction_NS_24const_host_device_scalarIT2_EEPKiS8_PKS5_SA_S6_PS5_21rocsparse_index_base_b: ; @_ZN9rocsparseL19gebsrmvn_2xn_kernelILj128ELj16ELj64E21rocsparse_complex_numIfEEEvi20rocsparse_direction_NS_24const_host_device_scalarIT2_EEPKiS8_PKS5_SA_S6_PS5_21rocsparse_index_base_b
; %bb.0:
	s_clause 0x2
	s_load_b64 s[12:13], s[0:1], 0x40
	s_load_b64 s[4:5], s[0:1], 0x8
	;; [unrolled: 1-line block ×3, first 2 shown]
	s_waitcnt lgkmcnt(0)
	s_bitcmp1_b32 s13, 0
	v_mov_b32_e32 v12, s4
	s_cselect_b32 s6, -1, 0
	s_delay_alu instid0(SALU_CYCLE_1)
	s_and_b32 vcc_lo, exec_lo, s6
	s_xor_b32 s6, s6, -1
	s_cbranch_vccz .LBB226_17
; %bb.1:
	v_cndmask_b32_e64 v1, 0, 1, s6
	v_mov_b32_e32 v13, s5
	s_and_not1_b32 vcc_lo, exec_lo, s6
	s_cbranch_vccz .LBB226_18
.LBB226_2:
	s_delay_alu instid0(VALU_DEP_2)
	v_cmp_ne_u32_e32 vcc_lo, 1, v1
	v_mov_b32_e32 v14, s2
	s_cbranch_vccz .LBB226_19
.LBB226_3:
	v_cmp_ne_u32_e32 vcc_lo, 1, v1
	v_mov_b32_e32 v15, s3
	s_cbranch_vccnz .LBB226_5
.LBB226_4:
	v_dual_mov_b32 v1, s2 :: v_dual_mov_b32 v2, s3
	flat_load_b32 v15, v[1:2] offset:4
.LBB226_5:
	s_waitcnt vmcnt(0) lgkmcnt(0)
	v_cmp_eq_f32_e32 vcc_lo, 0, v12
	v_cmp_eq_f32_e64 s2, 0, v13
	s_delay_alu instid0(VALU_DEP_1)
	s_and_b32 s4, vcc_lo, s2
	s_mov_b32 s2, -1
	s_and_saveexec_b32 s3, s4
; %bb.6:
	v_cmp_neq_f32_e32 vcc_lo, 1.0, v14
	v_cmp_neq_f32_e64 s2, 0, v15
	s_delay_alu instid0(VALU_DEP_1) | instskip(NEXT) | instid1(SALU_CYCLE_1)
	s_or_b32 s2, vcc_lo, s2
	s_or_not1_b32 s2, s2, exec_lo
; %bb.7:
	s_or_b32 exec_lo, exec_lo, s3
	s_and_saveexec_b32 s3, s2
	s_cbranch_execz .LBB226_33
; %bb.8:
	s_load_b64 s[2:3], s[0:1], 0x0
	v_lshrrev_b32_e32 v1, 6, v0
	s_delay_alu instid0(VALU_DEP_1) | instskip(SKIP_1) | instid1(VALU_DEP_1)
	v_lshl_or_b32 v1, s15, 1, v1
	s_waitcnt lgkmcnt(0)
	v_cmp_gt_i32_e32 vcc_lo, s2, v1
	s_and_b32 exec_lo, exec_lo, vcc_lo
	s_cbranch_execz .LBB226_33
; %bb.9:
	s_load_b256 s[4:11], s[0:1], 0x10
	v_ashrrev_i32_e32 v2, 31, v1
	v_and_b32_e32 v0, 63, v0
	s_cmp_lg_u32 s3, 0
	s_delay_alu instid0(VALU_DEP_2) | instskip(SKIP_1) | instid1(VALU_DEP_1)
	v_lshlrev_b64 v[2:3], 2, v[1:2]
	s_waitcnt lgkmcnt(0)
	v_add_co_u32 v2, vcc_lo, s4, v2
	s_delay_alu instid0(VALU_DEP_2) | instskip(SKIP_4) | instid1(VALU_DEP_2)
	v_add_co_ci_u32_e32 v3, vcc_lo, s5, v3, vcc_lo
	global_load_b64 v[2:3], v[2:3], off
	s_waitcnt vmcnt(0)
	v_subrev_nc_u32_e32 v2, s12, v2
	v_subrev_nc_u32_e32 v18, s12, v3
	v_add_nc_u32_e32 v2, v2, v0
	s_delay_alu instid0(VALU_DEP_1)
	v_cmp_lt_i32_e64 s2, v2, v18
	s_cbranch_scc0 .LBB226_20
; %bb.10:
	v_dual_mov_b32 v16, 0 :: v_dual_mov_b32 v19, 0
	v_dual_mov_b32 v20, 0 :: v_dual_mov_b32 v17, 0
	s_mov_b32 s13, 0
	s_and_saveexec_b32 s14, s2
	s_cbranch_execz .LBB226_16
; %bb.11:
	v_dual_mov_b32 v6, 0 :: v_dual_lshlrev_b32 v3, 5, v2
	v_dual_mov_b32 v7, v2 :: v_dual_mov_b32 v16, 0
	v_dual_mov_b32 v19, 0 :: v_dual_mov_b32 v20, 0
	s_delay_alu instid0(VALU_DEP_3)
	v_or_b32_e32 v21, 6, v3
	v_mov_b32_e32 v17, 0
	s_add_u32 s15, s8, 8
	s_addc_u32 s17, s9, 0
	s_mov_b32 s16, 0
.LBB226_12:                             ; =>This Loop Header: Depth=1
                                        ;     Child Loop BB226_13 Depth 2
	v_ashrrev_i32_e32 v8, 31, v7
	v_mov_b32_e32 v10, v21
	s_mov_b64 s[4:5], 0
	s_delay_alu instid0(VALU_DEP_2) | instskip(NEXT) | instid1(VALU_DEP_1)
	v_lshlrev_b64 v[4:5], 2, v[7:8]
	v_add_co_u32 v4, vcc_lo, s6, v4
	s_delay_alu instid0(VALU_DEP_2) | instskip(SKIP_3) | instid1(VALU_DEP_1)
	v_add_co_ci_u32_e32 v5, vcc_lo, s7, v5, vcc_lo
	global_load_b32 v4, v[4:5], off
	s_waitcnt vmcnt(0)
	v_subrev_nc_u32_e32 v5, s12, v4
	v_dual_mov_b32 v4, v6 :: v_dual_lshlrev_b32 v5, 4, v5
	s_delay_alu instid0(VALU_DEP_1) | instskip(NEXT) | instid1(VALU_DEP_2)
	v_lshlrev_b64 v[8:9], 3, v[3:4]
	v_lshlrev_b64 v[4:5], 3, v[5:6]
	s_delay_alu instid0(VALU_DEP_2) | instskip(NEXT) | instid1(VALU_DEP_3)
	v_add_co_u32 v8, vcc_lo, s15, v8
	v_add_co_ci_u32_e32 v9, vcc_lo, s17, v9, vcc_lo
	s_delay_alu instid0(VALU_DEP_3) | instskip(NEXT) | instid1(VALU_DEP_4)
	v_add_co_u32 v4, vcc_lo, s10, v4
	v_add_co_ci_u32_e32 v22, vcc_lo, s11, v5, vcc_lo
.LBB226_13:                             ;   Parent Loop BB226_12 Depth=1
                                        ; =>  This Inner Loop Header: Depth=2
	s_delay_alu instid0(VALU_DEP_2) | instskip(NEXT) | instid1(VALU_DEP_2)
	v_add_co_u32 v31, vcc_lo, v4, s4
	v_add_co_ci_u32_e32 v32, vcc_lo, s5, v22, vcc_lo
	global_load_b128 v[23:26], v[8:9], off offset:-8
	s_add_u32 s4, s4, 32
	s_addc_u32 s5, s5, 0
	s_clause 0x1
	global_load_b128 v[27:30], v[31:32], off offset:16
	global_load_b128 v[31:34], v[31:32], off
	v_add_nc_u32_e32 v5, -4, v10
	v_mov_b32_e32 v11, v6
	s_cmpk_eq_i32 s4, 0x80
	s_waitcnt vmcnt(0)
	v_fmac_f32_e32 v20, v25, v31
	v_fmac_f32_e32 v16, v24, v31
	v_lshlrev_b64 v[35:36], 3, v[5:6]
	v_add_nc_u32_e32 v5, -2, v10
	v_lshlrev_b64 v[42:43], 3, v[10:11]
	v_fma_f32 v11, -v26, v32, v20
	v_fmac_f32_e32 v16, v23, v32
	v_add_nc_u32_e32 v10, 8, v10
	v_add_co_u32 v35, vcc_lo, s8, v35
	v_add_co_ci_u32_e32 v36, vcc_lo, s9, v36, vcc_lo
	v_lshlrev_b64 v[39:40], 3, v[5:6]
	v_add_co_u32 v44, vcc_lo, s8, v42
	global_load_b128 v[35:38], v[35:36], off
	v_add_co_ci_u32_e32 v45, vcc_lo, s9, v43, vcc_lo
	v_add_co_u32 v39, s3, s8, v39
	s_delay_alu instid0(VALU_DEP_1)
	v_add_co_ci_u32_e64 v40, s3, s9, v40, s3
	global_load_b128 v[43:46], v[44:45], off
	v_add_co_u32 v8, vcc_lo, v8, 64
	global_load_b128 v[39:42], v[39:40], off
	v_fmac_f32_e32 v19, v23, v31
	v_add_co_ci_u32_e32 v9, vcc_lo, 0, v9, vcc_lo
	s_waitcnt vmcnt(2)
	v_dual_fmac_f32 v16, v36, v33 :: v_dual_fmac_f32 v17, v26, v31
	s_delay_alu instid0(VALU_DEP_3) | instskip(NEXT) | instid1(VALU_DEP_2)
	v_fma_f32 v5, -v24, v32, v19
	v_dual_fmac_f32 v16, v35, v34 :: v_dual_fmac_f32 v17, v25, v32
	s_waitcnt vmcnt(0)
	s_delay_alu instid0(VALU_DEP_1) | instskip(SKIP_1) | instid1(VALU_DEP_2)
	v_dual_fmac_f32 v5, v35, v33 :: v_dual_fmac_f32 v16, v40, v27
	v_fmac_f32_e32 v11, v37, v33
	v_fma_f32 v5, -v36, v34, v5
	s_delay_alu instid0(VALU_DEP_3) | instskip(NEXT) | instid1(VALU_DEP_3)
	v_fmac_f32_e32 v16, v39, v28
	v_fma_f32 v11, -v38, v34, v11
	s_delay_alu instid0(VALU_DEP_2) | instskip(SKIP_1) | instid1(VALU_DEP_3)
	v_dual_fmac_f32 v5, v39, v27 :: v_dual_fmac_f32 v16, v44, v29
	v_fmac_f32_e32 v17, v38, v33
	v_fmac_f32_e32 v11, v41, v27
	s_delay_alu instid0(VALU_DEP_3) | instskip(NEXT) | instid1(VALU_DEP_4)
	v_fma_f32 v5, -v40, v28, v5
	v_fmac_f32_e32 v16, v43, v30
	s_delay_alu instid0(VALU_DEP_4) | instskip(NEXT) | instid1(VALU_DEP_4)
	v_fmac_f32_e32 v17, v37, v34
	v_fma_f32 v11, -v42, v28, v11
	s_delay_alu instid0(VALU_DEP_4) | instskip(NEXT) | instid1(VALU_DEP_3)
	v_fmac_f32_e32 v5, v43, v29
	v_fmac_f32_e32 v17, v42, v27
	s_delay_alu instid0(VALU_DEP_3) | instskip(NEXT) | instid1(VALU_DEP_3)
	v_fmac_f32_e32 v11, v45, v29
	v_fma_f32 v19, -v44, v30, v5
	s_delay_alu instid0(VALU_DEP_3) | instskip(NEXT) | instid1(VALU_DEP_3)
	v_fmac_f32_e32 v17, v41, v28
	v_fma_f32 v20, -v46, v30, v11
	s_delay_alu instid0(VALU_DEP_2) | instskip(NEXT) | instid1(VALU_DEP_1)
	v_fmac_f32_e32 v17, v46, v29
	v_fmac_f32_e32 v17, v45, v30
	s_cbranch_scc0 .LBB226_13
; %bb.14:                               ;   in Loop: Header=BB226_12 Depth=1
	v_add_nc_u32_e32 v7, 64, v7
	v_add_nc_u32_e32 v21, 0x800, v21
	;; [unrolled: 1-line block ×3, first 2 shown]
	s_delay_alu instid0(VALU_DEP_3) | instskip(SKIP_1) | instid1(SALU_CYCLE_1)
	v_cmp_ge_i32_e32 vcc_lo, v7, v18
	s_or_b32 s16, vcc_lo, s16
	s_and_not1_b32 exec_lo, exec_lo, s16
	s_cbranch_execnz .LBB226_12
; %bb.15:
	s_or_b32 exec_lo, exec_lo, s16
.LBB226_16:
	s_delay_alu instid0(SALU_CYCLE_1) | instskip(NEXT) | instid1(SALU_CYCLE_1)
	s_or_b32 exec_lo, exec_lo, s14
	s_and_not1_b32 vcc_lo, exec_lo, s13
	s_cbranch_vccz .LBB226_21
	s_branch .LBB226_28
.LBB226_17:
	v_dual_mov_b32 v1, s4 :: v_dual_mov_b32 v2, s5
	flat_load_b32 v12, v[1:2]
	v_cndmask_b32_e64 v1, 0, 1, s6
	v_mov_b32_e32 v13, s5
	s_and_not1_b32 vcc_lo, exec_lo, s6
	s_cbranch_vccnz .LBB226_2
.LBB226_18:
	v_dual_mov_b32 v2, s4 :: v_dual_mov_b32 v3, s5
	flat_load_b32 v13, v[2:3] offset:4
	v_cmp_ne_u32_e32 vcc_lo, 1, v1
	v_mov_b32_e32 v14, s2
	s_cbranch_vccnz .LBB226_3
.LBB226_19:
	v_dual_mov_b32 v2, s2 :: v_dual_mov_b32 v3, s3
	flat_load_b32 v14, v[2:3]
	v_cmp_ne_u32_e32 vcc_lo, 1, v1
	v_mov_b32_e32 v15, s3
	s_cbranch_vccz .LBB226_4
	s_branch .LBB226_5
.LBB226_20:
                                        ; implicit-def: $vgpr16
                                        ; implicit-def: $vgpr19
                                        ; implicit-def: $vgpr20
                                        ; implicit-def: $vgpr17
.LBB226_21:
	v_dual_mov_b32 v16, 0 :: v_dual_mov_b32 v19, 0
	v_dual_mov_b32 v20, 0 :: v_dual_mov_b32 v17, 0
	s_delay_alu instid0(VALU_DEP_3)
	s_and_saveexec_b32 s4, s2
	s_cbranch_execz .LBB226_27
; %bb.22:
	v_dual_mov_b32 v5, 0 :: v_dual_lshlrev_b32 v4, 5, v2
	s_mov_b32 s5, 0
	s_delay_alu instid0(VALU_DEP_1)
	v_mov_b32_e32 v16, v5
	v_mov_b32_e32 v19, v5
	;; [unrolled: 1-line block ×4, first 2 shown]
.LBB226_23:                             ; =>This Loop Header: Depth=1
                                        ;     Child Loop BB226_24 Depth 2
	v_ashrrev_i32_e32 v3, 31, v2
	v_lshlrev_b64 v[8:9], 3, v[4:5]
	s_mov_b64 s[2:3], 0
	s_delay_alu instid0(VALU_DEP_2) | instskip(NEXT) | instid1(VALU_DEP_1)
	v_lshlrev_b64 v[6:7], 2, v[2:3]
	v_add_co_u32 v6, vcc_lo, s6, v6
	s_delay_alu instid0(VALU_DEP_2) | instskip(SKIP_3) | instid1(VALU_DEP_1)
	v_add_co_ci_u32_e32 v7, vcc_lo, s7, v7, vcc_lo
	global_load_b32 v3, v[6:7], off
	s_waitcnt vmcnt(0)
	v_subrev_nc_u32_e32 v3, s12, v3
	v_dual_mov_b32 v7, v5 :: v_dual_lshlrev_b32 v6, 4, v3
	v_add_co_u32 v3, vcc_lo, s8, v8
	s_delay_alu instid0(VALU_DEP_2) | instskip(SKIP_1) | instid1(VALU_DEP_2)
	v_lshlrev_b64 v[10:11], 3, v[6:7]
	v_add_co_ci_u32_e32 v6, vcc_lo, s9, v9, vcc_lo
	v_add_co_u32 v7, vcc_lo, s10, v10
	s_delay_alu instid0(VALU_DEP_3)
	v_add_co_ci_u32_e32 v8, vcc_lo, s11, v11, vcc_lo
.LBB226_24:                             ;   Parent Loop BB226_23 Depth=1
                                        ; =>  This Inner Loop Header: Depth=2
	v_add_co_u32 v9, vcc_lo, v3, s2
	s_delay_alu instid0(VALU_DEP_4) | instskip(NEXT) | instid1(VALU_DEP_4)
	v_add_co_ci_u32_e32 v10, vcc_lo, s3, v6, vcc_lo
	v_add_co_u32 v37, vcc_lo, v7, s2
	s_delay_alu instid0(VALU_DEP_4)
	v_add_co_ci_u32_e32 v38, vcc_lo, s3, v8, vcc_lo
	s_add_u32 s2, s2, 32
	global_load_b128 v[21:24], v[9:10], off
	global_load_b128 v[25:28], v[37:38], off
	s_clause 0x1
	global_load_b128 v[29:32], v[9:10], off offset:128
	global_load_b128 v[33:36], v[9:10], off offset:16
	;; [unrolled: 1-line block ×4, first 2 shown]
	s_addc_u32 s3, s3, 0
	s_cmpk_eq_i32 s2, 0x80
	s_waitcnt vmcnt(3)
	v_fmac_f32_e32 v17, v30, v25
	s_delay_alu instid0(VALU_DEP_1) | instskip(NEXT) | instid1(VALU_DEP_1)
	v_dual_fmac_f32 v16, v22, v25 :: v_dual_fmac_f32 v17, v29, v26
	v_fmac_f32_e32 v16, v21, v26
	s_delay_alu instid0(VALU_DEP_1) | instskip(NEXT) | instid1(VALU_DEP_1)
	v_dual_fmac_f32 v19, v21, v25 :: v_dual_fmac_f32 v16, v24, v27
	v_fma_f32 v9, -v22, v26, v19
	s_delay_alu instid0(VALU_DEP_4) | instskip(NEXT) | instid1(VALU_DEP_3)
	v_dual_fmac_f32 v20, v29, v25 :: v_dual_fmac_f32 v17, v32, v27
	v_fmac_f32_e32 v16, v23, v28
	s_delay_alu instid0(VALU_DEP_3) | instskip(NEXT) | instid1(VALU_DEP_3)
	v_fmac_f32_e32 v9, v23, v27
	v_fma_f32 v10, -v30, v26, v20
	s_waitcnt vmcnt(1)
	s_delay_alu instid0(VALU_DEP_3) | instskip(NEXT) | instid1(VALU_DEP_3)
	v_dual_fmac_f32 v17, v31, v28 :: v_dual_fmac_f32 v16, v34, v37
	v_fma_f32 v9, -v24, v28, v9
	s_waitcnt vmcnt(0)
	s_delay_alu instid0(VALU_DEP_2) | instskip(NEXT) | instid1(VALU_DEP_3)
	v_dual_fmac_f32 v10, v31, v27 :: v_dual_fmac_f32 v17, v42, v37
	v_fmac_f32_e32 v16, v33, v38
	s_delay_alu instid0(VALU_DEP_3) | instskip(NEXT) | instid1(VALU_DEP_3)
	v_fmac_f32_e32 v9, v33, v37
	v_fma_f32 v10, -v32, v28, v10
	s_delay_alu instid0(VALU_DEP_3) | instskip(NEXT) | instid1(VALU_DEP_3)
	v_dual_fmac_f32 v17, v41, v38 :: v_dual_fmac_f32 v16, v36, v39
	v_fma_f32 v9, -v34, v38, v9
	s_delay_alu instid0(VALU_DEP_2) | instskip(NEXT) | instid1(VALU_DEP_3)
	v_dual_fmac_f32 v10, v41, v37 :: v_dual_fmac_f32 v17, v44, v39
	v_fmac_f32_e32 v16, v35, v40
	s_delay_alu instid0(VALU_DEP_3) | instskip(NEXT) | instid1(VALU_DEP_3)
	v_fmac_f32_e32 v9, v35, v39
	v_fma_f32 v10, -v42, v38, v10
	s_delay_alu instid0(VALU_DEP_4) | instskip(NEXT) | instid1(VALU_DEP_3)
	v_fmac_f32_e32 v17, v43, v40
	v_fma_f32 v19, -v36, v40, v9
	s_delay_alu instid0(VALU_DEP_3) | instskip(NEXT) | instid1(VALU_DEP_1)
	v_fmac_f32_e32 v10, v43, v39
	v_fma_f32 v20, -v44, v40, v10
	s_cbranch_scc0 .LBB226_24
; %bb.25:                               ;   in Loop: Header=BB226_23 Depth=1
	v_add_nc_u32_e32 v2, 64, v2
	v_add_nc_u32_e32 v4, 0x800, v4
	s_delay_alu instid0(VALU_DEP_2) | instskip(SKIP_1) | instid1(SALU_CYCLE_1)
	v_cmp_ge_i32_e32 vcc_lo, v2, v18
	s_or_b32 s5, vcc_lo, s5
	s_and_not1_b32 exec_lo, exec_lo, s5
	s_cbranch_execnz .LBB226_23
; %bb.26:
	s_or_b32 exec_lo, exec_lo, s5
.LBB226_27:
	s_delay_alu instid0(SALU_CYCLE_1)
	s_or_b32 exec_lo, exec_lo, s4
.LBB226_28:
	v_mbcnt_lo_u32_b32 v2, -1, 0
	s_delay_alu instid0(VALU_DEP_1) | instskip(SKIP_2) | instid1(VALU_DEP_3)
	v_or_b32_e32 v3, 32, v2
	v_xor_b32_e32 v7, 16, v2
	v_xor_b32_e32 v11, 8, v2
	v_cmp_gt_i32_e32 vcc_lo, 32, v3
	v_cndmask_b32_e32 v3, v2, v3, vcc_lo
	s_delay_alu instid0(VALU_DEP_4) | instskip(NEXT) | instid1(VALU_DEP_2)
	v_cmp_gt_i32_e32 vcc_lo, 32, v7
	v_lshlrev_b32_e32 v3, 2, v3
	ds_bpermute_b32 v6, v3, v20
	s_waitcnt lgkmcnt(0)
	v_add_f32_e32 v6, v20, v6
	ds_bpermute_b32 v4, v3, v19
	ds_bpermute_b32 v5, v3, v16
	;; [unrolled: 1-line block ×3, first 2 shown]
	s_waitcnt lgkmcnt(2)
	v_dual_add_f32 v4, v19, v4 :: v_dual_cndmask_b32 v7, v2, v7
	s_waitcnt lgkmcnt(1)
	v_add_f32_e32 v5, v16, v5
	v_cmp_gt_i32_e32 vcc_lo, 32, v11
	s_delay_alu instid0(VALU_DEP_3)
	v_lshlrev_b32_e32 v7, 2, v7
	v_cndmask_b32_e32 v11, v2, v11, vcc_lo
	ds_bpermute_b32 v10, v7, v6
	s_waitcnt lgkmcnt(0)
	v_dual_add_f32 v6, v6, v10 :: v_dual_lshlrev_b32 v11, 2, v11
	ds_bpermute_b32 v8, v7, v4
	ds_bpermute_b32 v9, v7, v5
	s_waitcnt lgkmcnt(0)
	v_dual_add_f32 v4, v4, v8 :: v_dual_add_f32 v5, v5, v9
	ds_bpermute_b32 v9, v11, v6
	s_waitcnt lgkmcnt(0)
	v_dual_add_f32 v3, v17, v3 :: v_dual_add_f32 v6, v6, v9
	ds_bpermute_b32 v7, v7, v3
	s_waitcnt lgkmcnt(0)
	v_add_f32_e32 v3, v3, v7
	ds_bpermute_b32 v7, v11, v4
	ds_bpermute_b32 v10, v11, v3
	s_waitcnt lgkmcnt(1)
	v_add_f32_e32 v4, v4, v7
	ds_bpermute_b32 v8, v11, v5
	v_xor_b32_e32 v11, 4, v2
	s_delay_alu instid0(VALU_DEP_1) | instskip(SKIP_1) | instid1(VALU_DEP_1)
	v_cmp_gt_i32_e32 vcc_lo, 32, v11
	v_cndmask_b32_e32 v11, v2, v11, vcc_lo
	v_lshlrev_b32_e32 v11, 2, v11
	ds_bpermute_b32 v7, v11, v4
	s_waitcnt lgkmcnt(1)
	v_add_f32_e32 v5, v5, v8
	ds_bpermute_b32 v9, v11, v6
	s_waitcnt lgkmcnt(1)
	v_dual_add_f32 v4, v4, v7 :: v_dual_add_f32 v3, v3, v10
	ds_bpermute_b32 v8, v11, v5
	s_waitcnt lgkmcnt(1)
	v_add_f32_e32 v6, v6, v9
	ds_bpermute_b32 v10, v11, v3
	v_xor_b32_e32 v11, 2, v2
	s_delay_alu instid0(VALU_DEP_1) | instskip(SKIP_1) | instid1(VALU_DEP_1)
	v_cmp_gt_i32_e32 vcc_lo, 32, v11
	v_cndmask_b32_e32 v11, v2, v11, vcc_lo
	v_lshlrev_b32_e32 v11, 2, v11
	s_waitcnt lgkmcnt(1)
	v_add_f32_e32 v5, v5, v8
	ds_bpermute_b32 v7, v11, v4
	ds_bpermute_b32 v8, v11, v5
	;; [unrolled: 1-line block ×3, first 2 shown]
	s_waitcnt lgkmcnt(2)
	v_dual_add_f32 v4, v4, v7 :: v_dual_add_f32 v3, v3, v10
	s_waitcnt lgkmcnt(1)
	v_add_f32_e32 v5, v5, v8
	ds_bpermute_b32 v10, v11, v3
	v_xor_b32_e32 v11, 1, v2
	s_delay_alu instid0(VALU_DEP_1) | instskip(SKIP_3) | instid1(VALU_DEP_2)
	v_cmp_gt_i32_e32 vcc_lo, 32, v11
	v_cndmask_b32_e32 v2, v2, v11, vcc_lo
	v_cmp_eq_u32_e32 vcc_lo, 63, v0
	s_waitcnt lgkmcnt(1)
	v_dual_add_f32 v2, v6, v9 :: v_dual_lshlrev_b32 v11, 2, v2
	s_waitcnt lgkmcnt(0)
	v_add_f32_e32 v3, v3, v10
	ds_bpermute_b32 v8, v11, v4
	ds_bpermute_b32 v9, v11, v5
	;; [unrolled: 1-line block ×4, first 2 shown]
	s_and_b32 exec_lo, exec_lo, vcc_lo
	s_cbranch_execz .LBB226_33
; %bb.29:
	s_load_b64 s[2:3], s[0:1], 0x38
	v_cmp_eq_f32_e32 vcc_lo, 0, v14
	v_cmp_eq_f32_e64 s0, 0, v15
	s_waitcnt lgkmcnt(0)
	v_dual_add_f32 v0, v4, v8 :: v_dual_add_f32 v3, v3, v7
	v_add_f32_e32 v4, v5, v9
	v_add_f32_e32 v2, v2, v6
	s_and_b32 s0, vcc_lo, s0
	s_delay_alu instid0(SALU_CYCLE_1) | instskip(NEXT) | instid1(SALU_CYCLE_1)
	s_and_saveexec_b32 s1, s0
	s_xor_b32 s0, exec_lo, s1
	s_cbranch_execz .LBB226_31
; %bb.30:
	v_mul_f32_e64 v5, v4, -v13
	v_lshlrev_b32_e32 v8, 1, v1
	v_mul_f32_e32 v6, v4, v12
	v_mul_f32_e64 v7, v3, -v13
                                        ; implicit-def: $vgpr14
                                        ; implicit-def: $vgpr15
                                        ; implicit-def: $vgpr4
	s_delay_alu instid0(VALU_DEP_4) | instskip(NEXT) | instid1(VALU_DEP_4)
	v_fmac_f32_e32 v5, v12, v0
	v_ashrrev_i32_e32 v9, 31, v8
	s_delay_alu instid0(VALU_DEP_3) | instskip(NEXT) | instid1(VALU_DEP_2)
	v_dual_fmac_f32 v6, v13, v0 :: v_dual_fmac_f32 v7, v12, v2
	v_lshlrev_b64 v[9:10], 3, v[8:9]
	v_mul_f32_e32 v8, v3, v12
                                        ; implicit-def: $vgpr12
                                        ; implicit-def: $vgpr3
	s_delay_alu instid0(VALU_DEP_1) | instskip(NEXT) | instid1(VALU_DEP_3)
	v_fmac_f32_e32 v8, v13, v2
	v_add_co_u32 v0, vcc_lo, s2, v9
	s_delay_alu instid0(VALU_DEP_4)
	v_add_co_ci_u32_e32 v1, vcc_lo, s3, v10, vcc_lo
                                        ; implicit-def: $vgpr13
                                        ; implicit-def: $vgpr2
	global_store_b128 v[0:1], v[5:8], off
                                        ; implicit-def: $vgpr1
                                        ; implicit-def: $vgpr0
.LBB226_31:
	s_and_not1_saveexec_b32 s0, s0
	s_cbranch_execz .LBB226_33
; %bb.32:
	v_lshlrev_b32_e32 v5, 1, v1
	v_mul_f32_e64 v11, v4, -v13
	v_mul_f32_e32 v1, v4, v12
	v_mul_f32_e64 v4, v3, -v13
	v_mul_f32_e32 v3, v3, v12
	s_delay_alu instid0(VALU_DEP_4) | instskip(NEXT) | instid1(VALU_DEP_3)
	v_fmac_f32_e32 v11, v12, v0
	v_fmac_f32_e32 v4, v12, v2
	v_ashrrev_i32_e32 v6, 31, v5
	s_delay_alu instid0(VALU_DEP_4) | instskip(NEXT) | instid1(VALU_DEP_2)
	v_fmac_f32_e32 v3, v13, v2
	v_lshlrev_b64 v[5:6], 3, v[5:6]
	s_delay_alu instid0(VALU_DEP_1) | instskip(NEXT) | instid1(VALU_DEP_2)
	v_add_co_u32 v9, vcc_lo, s2, v5
	v_add_co_ci_u32_e32 v10, vcc_lo, s3, v6, vcc_lo
	global_load_b128 v[5:8], v[9:10], off
	s_waitcnt vmcnt(0)
	v_dual_fmac_f32 v4, v14, v7 :: v_dual_fmac_f32 v1, v13, v0
	v_fmac_f32_e32 v11, v14, v5
	v_fmac_f32_e32 v3, v15, v7
	s_delay_alu instid0(VALU_DEP_3) | instskip(NEXT) | instid1(VALU_DEP_4)
	v_fma_f32 v2, -v15, v8, v4
	v_fmac_f32_e32 v1, v15, v5
	s_delay_alu instid0(VALU_DEP_4) | instskip(NEXT) | instid1(VALU_DEP_4)
	v_fma_f32 v0, -v15, v6, v11
	v_fmac_f32_e32 v3, v14, v8
	s_delay_alu instid0(VALU_DEP_3)
	v_fmac_f32_e32 v1, v14, v6
	global_store_b128 v[9:10], v[0:3], off
.LBB226_33:
	s_nop 0
	s_sendmsg sendmsg(MSG_DEALLOC_VGPRS)
	s_endpgm
	.section	.rodata,"a",@progbits
	.p2align	6, 0x0
	.amdhsa_kernel _ZN9rocsparseL19gebsrmvn_2xn_kernelILj128ELj16ELj64E21rocsparse_complex_numIfEEEvi20rocsparse_direction_NS_24const_host_device_scalarIT2_EEPKiS8_PKS5_SA_S6_PS5_21rocsparse_index_base_b
		.amdhsa_group_segment_fixed_size 0
		.amdhsa_private_segment_fixed_size 0
		.amdhsa_kernarg_size 72
		.amdhsa_user_sgpr_count 15
		.amdhsa_user_sgpr_dispatch_ptr 0
		.amdhsa_user_sgpr_queue_ptr 0
		.amdhsa_user_sgpr_kernarg_segment_ptr 1
		.amdhsa_user_sgpr_dispatch_id 0
		.amdhsa_user_sgpr_private_segment_size 0
		.amdhsa_wavefront_size32 1
		.amdhsa_uses_dynamic_stack 0
		.amdhsa_enable_private_segment 0
		.amdhsa_system_sgpr_workgroup_id_x 1
		.amdhsa_system_sgpr_workgroup_id_y 0
		.amdhsa_system_sgpr_workgroup_id_z 0
		.amdhsa_system_sgpr_workgroup_info 0
		.amdhsa_system_vgpr_workitem_id 0
		.amdhsa_next_free_vgpr 47
		.amdhsa_next_free_sgpr 18
		.amdhsa_reserve_vcc 1
		.amdhsa_float_round_mode_32 0
		.amdhsa_float_round_mode_16_64 0
		.amdhsa_float_denorm_mode_32 3
		.amdhsa_float_denorm_mode_16_64 3
		.amdhsa_dx10_clamp 1
		.amdhsa_ieee_mode 1
		.amdhsa_fp16_overflow 0
		.amdhsa_workgroup_processor_mode 1
		.amdhsa_memory_ordered 1
		.amdhsa_forward_progress 0
		.amdhsa_shared_vgpr_count 0
		.amdhsa_exception_fp_ieee_invalid_op 0
		.amdhsa_exception_fp_denorm_src 0
		.amdhsa_exception_fp_ieee_div_zero 0
		.amdhsa_exception_fp_ieee_overflow 0
		.amdhsa_exception_fp_ieee_underflow 0
		.amdhsa_exception_fp_ieee_inexact 0
		.amdhsa_exception_int_div_zero 0
	.end_amdhsa_kernel
	.section	.text._ZN9rocsparseL19gebsrmvn_2xn_kernelILj128ELj16ELj64E21rocsparse_complex_numIfEEEvi20rocsparse_direction_NS_24const_host_device_scalarIT2_EEPKiS8_PKS5_SA_S6_PS5_21rocsparse_index_base_b,"axG",@progbits,_ZN9rocsparseL19gebsrmvn_2xn_kernelILj128ELj16ELj64E21rocsparse_complex_numIfEEEvi20rocsparse_direction_NS_24const_host_device_scalarIT2_EEPKiS8_PKS5_SA_S6_PS5_21rocsparse_index_base_b,comdat
.Lfunc_end226:
	.size	_ZN9rocsparseL19gebsrmvn_2xn_kernelILj128ELj16ELj64E21rocsparse_complex_numIfEEEvi20rocsparse_direction_NS_24const_host_device_scalarIT2_EEPKiS8_PKS5_SA_S6_PS5_21rocsparse_index_base_b, .Lfunc_end226-_ZN9rocsparseL19gebsrmvn_2xn_kernelILj128ELj16ELj64E21rocsparse_complex_numIfEEEvi20rocsparse_direction_NS_24const_host_device_scalarIT2_EEPKiS8_PKS5_SA_S6_PS5_21rocsparse_index_base_b
                                        ; -- End function
	.section	.AMDGPU.csdata,"",@progbits
; Kernel info:
; codeLenInByte = 2400
; NumSgprs: 20
; NumVgprs: 47
; ScratchSize: 0
; MemoryBound: 0
; FloatMode: 240
; IeeeMode: 1
; LDSByteSize: 0 bytes/workgroup (compile time only)
; SGPRBlocks: 2
; VGPRBlocks: 5
; NumSGPRsForWavesPerEU: 20
; NumVGPRsForWavesPerEU: 47
; Occupancy: 16
; WaveLimiterHint : 1
; COMPUTE_PGM_RSRC2:SCRATCH_EN: 0
; COMPUTE_PGM_RSRC2:USER_SGPR: 15
; COMPUTE_PGM_RSRC2:TRAP_HANDLER: 0
; COMPUTE_PGM_RSRC2:TGID_X_EN: 1
; COMPUTE_PGM_RSRC2:TGID_Y_EN: 0
; COMPUTE_PGM_RSRC2:TGID_Z_EN: 0
; COMPUTE_PGM_RSRC2:TIDIG_COMP_CNT: 0
	.section	.text._ZN9rocsparseL23gebsrmvn_general_kernelILj32ELj32E21rocsparse_complex_numIfEEEvi20rocsparse_direction_NS_24const_host_device_scalarIT1_EEPKiS8_PKS5_iiSA_S6_PS5_21rocsparse_index_base_b,"axG",@progbits,_ZN9rocsparseL23gebsrmvn_general_kernelILj32ELj32E21rocsparse_complex_numIfEEEvi20rocsparse_direction_NS_24const_host_device_scalarIT1_EEPKiS8_PKS5_iiSA_S6_PS5_21rocsparse_index_base_b,comdat
	.globl	_ZN9rocsparseL23gebsrmvn_general_kernelILj32ELj32E21rocsparse_complex_numIfEEEvi20rocsparse_direction_NS_24const_host_device_scalarIT1_EEPKiS8_PKS5_iiSA_S6_PS5_21rocsparse_index_base_b ; -- Begin function _ZN9rocsparseL23gebsrmvn_general_kernelILj32ELj32E21rocsparse_complex_numIfEEEvi20rocsparse_direction_NS_24const_host_device_scalarIT1_EEPKiS8_PKS5_iiSA_S6_PS5_21rocsparse_index_base_b
	.p2align	8
	.type	_ZN9rocsparseL23gebsrmvn_general_kernelILj32ELj32E21rocsparse_complex_numIfEEEvi20rocsparse_direction_NS_24const_host_device_scalarIT1_EEPKiS8_PKS5_iiSA_S6_PS5_21rocsparse_index_base_b,@function
_ZN9rocsparseL23gebsrmvn_general_kernelILj32ELj32E21rocsparse_complex_numIfEEEvi20rocsparse_direction_NS_24const_host_device_scalarIT1_EEPKiS8_PKS5_iiSA_S6_PS5_21rocsparse_index_base_b: ; @_ZN9rocsparseL23gebsrmvn_general_kernelILj32ELj32E21rocsparse_complex_numIfEEEvi20rocsparse_direction_NS_24const_host_device_scalarIT1_EEPKiS8_PKS5_iiSA_S6_PS5_21rocsparse_index_base_b
; %bb.0:
	s_clause 0x2
	s_load_b64 s[8:9], s[0:1], 0x48
	s_load_b64 s[4:5], s[0:1], 0x8
	;; [unrolled: 1-line block ×3, first 2 shown]
	s_mov_b32 s18, s15
	s_waitcnt lgkmcnt(0)
	s_bitcmp1_b32 s9, 0
	v_mov_b32_e32 v6, s4
	s_cselect_b32 s6, -1, 0
	s_delay_alu instid0(SALU_CYCLE_1)
	s_and_b32 vcc_lo, exec_lo, s6
	s_xor_b32 s6, s6, -1
	s_cbranch_vccz .LBB227_28
; %bb.1:
	v_cndmask_b32_e64 v1, 0, 1, s6
	v_mov_b32_e32 v7, s5
	s_and_not1_b32 vcc_lo, exec_lo, s6
	s_cbranch_vccz .LBB227_29
.LBB227_2:
	s_delay_alu instid0(VALU_DEP_2)
	v_cmp_ne_u32_e32 vcc_lo, 1, v1
	v_mov_b32_e32 v8, s2
	s_cbranch_vccz .LBB227_30
.LBB227_3:
	v_cmp_ne_u32_e32 vcc_lo, 1, v1
	v_mov_b32_e32 v9, s3
	s_cbranch_vccnz .LBB227_5
.LBB227_4:
	v_dual_mov_b32 v1, s2 :: v_dual_mov_b32 v2, s3
	flat_load_b32 v9, v[1:2] offset:4
.LBB227_5:
	s_waitcnt vmcnt(0) lgkmcnt(0)
	v_cmp_eq_f32_e32 vcc_lo, 0, v6
	v_cmp_eq_f32_e64 s2, 0, v7
	s_delay_alu instid0(VALU_DEP_1)
	s_and_b32 s4, vcc_lo, s2
	s_mov_b32 s2, -1
	s_and_saveexec_b32 s3, s4
; %bb.6:
	v_cmp_neq_f32_e32 vcc_lo, 1.0, v8
	v_cmp_neq_f32_e64 s2, 0, v9
	s_delay_alu instid0(VALU_DEP_1) | instskip(NEXT) | instid1(SALU_CYCLE_1)
	s_or_b32 s2, vcc_lo, s2
	s_or_not1_b32 s2, s2, exec_lo
; %bb.7:
	s_or_b32 exec_lo, exec_lo, s3
	s_and_saveexec_b32 s3, s2
	s_cbranch_execz .LBB227_27
; %bb.8:
	s_load_b64 s[10:11], s[0:1], 0x28
	s_mov_b32 s9, 0
	s_waitcnt lgkmcnt(0)
	s_cmp_gt_i32 s10, 0
	s_cselect_b32 s2, -1, 0
	s_delay_alu instid0(SALU_CYCLE_1)
	s_and_b32 exec_lo, exec_lo, s2
	s_cbranch_execz .LBB227_27
; %bb.9:
	s_clause 0x3
	s_load_b128 s[4:7], s[0:1], 0x10
	s_load_b64 s[12:13], s[0:1], 0x20
	s_load_b64 s[14:15], s[0:1], 0x30
	;; [unrolled: 1-line block ×3, first 2 shown]
	v_mbcnt_lo_u32_b32 v2, -1, 0
	s_ashr_i32 s19, s18, 31
	s_load_b32 s22, s[0:1], 0x4
	s_lshl_b64 s[20:21], s[18:19], 2
	v_cmp_eq_f32_e32 vcc_lo, 0, v8
	v_xor_b32_e32 v3, 16, v2
	v_xor_b32_e32 v4, 8, v2
	;; [unrolled: 1-line block ×5, first 2 shown]
	v_cmp_gt_i32_e64 s3, 32, v3
	v_cmp_eq_f32_e64 s2, 0, v9
	v_cmp_gt_i32_e64 s0, s11, v0
	v_cmp_eq_u32_e64 s1, 31, v0
	s_mul_i32 s18, s18, s10
	v_cndmask_b32_e64 v3, v2, v3, s3
	s_waitcnt lgkmcnt(0)
	s_add_u32 s4, s4, s20
	s_addc_u32 s5, s5, s21
	v_cmp_gt_i32_e64 s3, 32, v4
	s_load_b64 s[20:21], s[4:5], 0x0
	v_mov_b32_e32 v1, 0
	s_delay_alu instid0(VALU_DEP_2) | instskip(SKIP_1) | instid1(VALU_DEP_1)
	v_cndmask_b32_e64 v4, v2, v4, s3
	v_cmp_gt_i32_e64 s3, 32, v5
	v_cndmask_b32_e64 v5, v2, v5, s3
	v_cmp_gt_i32_e64 s3, 32, v10
	s_delay_alu instid0(VALU_DEP_1)
	v_cndmask_b32_e64 v13, v2, v10, s3
	v_lshlrev_b32_e32 v10, 2, v3
	v_cmp_gt_i32_e64 s3, 32, v11
	s_waitcnt lgkmcnt(0)
	s_sub_i32 s4, s20, s8
	s_sub_i32 s5, s21, s8
	s_cmp_lt_i32 s20, s21
	v_cndmask_b32_e64 v2, v2, v11, s3
	s_mul_i32 s3, s10, s4
	v_lshlrev_b32_e32 v11, 2, v4
	s_mul_i32 s3, s11, s3
	s_delay_alu instid0(SALU_CYCLE_1)
	v_dual_mov_b32 v15, s3 :: v_dual_lshlrev_b32 v12, 2, v5
	v_lshlrev_b32_e32 v13, 2, v13
	v_lshlrev_b32_e32 v14, 2, v2
	s_cselect_b32 s19, -1, 0
	s_cmp_lg_u32 s22, 0
	s_mul_i32 s22, s11, s10
	s_cselect_b32 s20, -1, 0
	s_and_b32 s21, vcc_lo, s2
	s_branch .LBB227_11
.LBB227_10:                             ;   in Loop: Header=BB227_11 Depth=1
	s_or_b32 exec_lo, exec_lo, s2
	v_add_nc_u32_e32 v1, 1, v1
	v_add_nc_u32_e32 v15, s11, v15
	s_delay_alu instid0(VALU_DEP_2) | instskip(SKIP_1) | instid1(SALU_CYCLE_1)
	v_cmp_le_i32_e32 vcc_lo, s10, v1
	s_or_b32 s9, vcc_lo, s9
	s_and_not1_b32 exec_lo, exec_lo, s9
	s_cbranch_execz .LBB227_27
.LBB227_11:                             ; =>This Loop Header: Depth=1
                                        ;     Child Loop BB227_15 Depth 2
                                        ;       Child Loop BB227_18 Depth 3
	s_waitcnt lgkmcnt(0)
	v_dual_mov_b32 v4, 0 :: v_dual_mov_b32 v5, 0
	s_and_not1_b32 vcc_lo, exec_lo, s19
	s_cbranch_vccnz .LBB227_22
; %bb.12:                               ;   in Loop: Header=BB227_11 Depth=1
	v_dual_mov_b32 v4, 0 :: v_dual_mov_b32 v5, 0
	v_mov_b32_e32 v16, v15
	s_mov_b32 s2, s4
	s_branch .LBB227_15
.LBB227_13:                             ;   in Loop: Header=BB227_15 Depth=2
	s_set_inst_prefetch_distance 0x2
	s_or_b32 exec_lo, exec_lo, s24
.LBB227_14:                             ;   in Loop: Header=BB227_15 Depth=2
	s_delay_alu instid0(SALU_CYCLE_1) | instskip(SKIP_2) | instid1(SALU_CYCLE_1)
	s_or_b32 exec_lo, exec_lo, s23
	v_add_nc_u32_e32 v16, s22, v16
	s_add_i32 s2, s2, 1
	s_cmp_ge_i32 s2, s5
	s_cbranch_scc1 .LBB227_22
.LBB227_15:                             ;   Parent Loop BB227_11 Depth=1
                                        ; =>  This Loop Header: Depth=2
                                        ;       Child Loop BB227_18 Depth 3
	s_and_saveexec_b32 s23, s0
	s_cbranch_execz .LBB227_14
; %bb.16:                               ;   in Loop: Header=BB227_15 Depth=2
	s_ashr_i32 s3, s2, 31
	v_mov_b32_e32 v17, v0
	s_lshl_b64 s[24:25], s[2:3], 2
	s_delay_alu instid0(SALU_CYCLE_1)
	s_add_u32 s24, s6, s24
	s_addc_u32 s25, s7, s25
	s_load_b32 s3, s[24:25], 0x0
	s_mov_b32 s24, 0
	s_waitcnt lgkmcnt(0)
	s_sub_i32 s25, s3, s8
	s_mul_i32 s3, s2, s11
	s_mul_i32 s25, s25, s11
	s_set_inst_prefetch_distance 0x1
	s_branch .LBB227_18
	.p2align	6
.LBB227_17:                             ;   in Loop: Header=BB227_18 Depth=3
	v_add_nc_u32_e32 v18, s25, v17
	s_delay_alu instid0(VALU_DEP_2) | instskip(NEXT) | instid1(VALU_DEP_2)
	v_ashrrev_i32_e32 v3, 31, v2
	v_ashrrev_i32_e32 v19, 31, v18
	s_delay_alu instid0(VALU_DEP_2) | instskip(NEXT) | instid1(VALU_DEP_2)
	v_lshlrev_b64 v[2:3], 3, v[2:3]
	v_lshlrev_b64 v[18:19], 3, v[18:19]
	s_delay_alu instid0(VALU_DEP_2) | instskip(NEXT) | instid1(VALU_DEP_3)
	v_add_co_u32 v2, vcc_lo, s12, v2
	v_add_co_ci_u32_e32 v3, vcc_lo, s13, v3, vcc_lo
	s_delay_alu instid0(VALU_DEP_3) | instskip(NEXT) | instid1(VALU_DEP_4)
	v_add_co_u32 v18, vcc_lo, s14, v18
	v_add_co_ci_u32_e32 v19, vcc_lo, s15, v19, vcc_lo
	global_load_b64 v[2:3], v[2:3], off
	global_load_b64 v[18:19], v[18:19], off
	s_waitcnt vmcnt(0)
	v_dual_fmac_f32 v4, v3, v18 :: v_dual_add_nc_u32 v17, 32, v17
	v_fmac_f32_e32 v5, v2, v18
	s_delay_alu instid0(VALU_DEP_2) | instskip(NEXT) | instid1(VALU_DEP_3)
	v_cmp_le_i32_e32 vcc_lo, s11, v17
	v_fmac_f32_e32 v4, v2, v19
	s_delay_alu instid0(VALU_DEP_3) | instskip(SKIP_1) | instid1(SALU_CYCLE_1)
	v_fma_f32 v5, -v3, v19, v5
	s_or_b32 s24, vcc_lo, s24
	s_and_not1_b32 exec_lo, exec_lo, s24
	s_cbranch_execz .LBB227_13
.LBB227_18:                             ;   Parent Loop BB227_11 Depth=1
                                        ;     Parent Loop BB227_15 Depth=2
                                        ; =>    This Inner Loop Header: Depth=3
	s_and_b32 vcc_lo, exec_lo, s20
	s_cbranch_vccz .LBB227_20
; %bb.19:                               ;   in Loop: Header=BB227_18 Depth=3
	v_add_nc_u32_e32 v18, s3, v17
	s_delay_alu instid0(VALU_DEP_1)
	v_mad_u64_u32 v[2:3], null, v18, s10, v[1:2]
	s_cbranch_execnz .LBB227_17
	s_branch .LBB227_21
.LBB227_20:                             ;   in Loop: Header=BB227_18 Depth=3
                                        ; implicit-def: $vgpr2
.LBB227_21:                             ;   in Loop: Header=BB227_18 Depth=3
	v_add_nc_u32_e32 v2, v16, v17
	s_branch .LBB227_17
.LBB227_22:                             ;   in Loop: Header=BB227_11 Depth=1
	ds_bpermute_b32 v2, v10, v5
	ds_bpermute_b32 v3, v10, v4
	s_waitcnt lgkmcnt(0)
	v_dual_add_f32 v2, v5, v2 :: v_dual_add_f32 v3, v4, v3
	ds_bpermute_b32 v4, v11, v2
	ds_bpermute_b32 v5, v11, v3
	s_waitcnt lgkmcnt(0)
	v_dual_add_f32 v2, v2, v4 :: v_dual_add_f32 v3, v3, v5
	;; [unrolled: 4-line block ×3, first 2 shown]
	ds_bpermute_b32 v4, v13, v2
	ds_bpermute_b32 v5, v13, v3
	s_waitcnt lgkmcnt(1)
	v_add_f32_e32 v2, v2, v4
	s_waitcnt lgkmcnt(0)
	v_add_f32_e32 v4, v3, v5
	ds_bpermute_b32 v3, v14, v2
	ds_bpermute_b32 v5, v14, v4
	s_and_saveexec_b32 s2, s1
	s_cbranch_execz .LBB227_10
; %bb.23:                               ;   in Loop: Header=BB227_11 Depth=1
	s_waitcnt lgkmcnt(0)
	v_dual_add_f32 v4, v4, v5 :: v_dual_add_f32 v5, v2, v3
	s_delay_alu instid0(VALU_DEP_1) | instskip(SKIP_1) | instid1(VALU_DEP_2)
	v_mul_f32_e64 v2, v4, -v7
	v_dual_mul_f32 v3, v4, v6 :: v_dual_add_nc_u32 v4, s18, v1
	v_fmac_f32_e32 v2, v6, v5
	s_delay_alu instid0(VALU_DEP_2) | instskip(NEXT) | instid1(VALU_DEP_3)
	v_fmac_f32_e32 v3, v7, v5
	v_ashrrev_i32_e32 v5, 31, v4
	s_and_saveexec_b32 s3, s21
	s_delay_alu instid0(SALU_CYCLE_1)
	s_xor_b32 s3, exec_lo, s3
	s_cbranch_execz .LBB227_25
; %bb.24:                               ;   in Loop: Header=BB227_11 Depth=1
	s_delay_alu instid0(VALU_DEP_1) | instskip(NEXT) | instid1(VALU_DEP_1)
	v_lshlrev_b64 v[4:5], 3, v[4:5]
	v_add_co_u32 v4, vcc_lo, s16, v4
	s_delay_alu instid0(VALU_DEP_2)
	v_add_co_ci_u32_e32 v5, vcc_lo, s17, v5, vcc_lo
	global_store_b64 v[4:5], v[2:3], off
                                        ; implicit-def: $vgpr4
                                        ; implicit-def: $vgpr2
.LBB227_25:                             ;   in Loop: Header=BB227_11 Depth=1
	s_and_not1_saveexec_b32 s3, s3
	s_cbranch_execz .LBB227_10
; %bb.26:                               ;   in Loop: Header=BB227_11 Depth=1
	v_lshlrev_b64 v[4:5], 3, v[4:5]
	s_delay_alu instid0(VALU_DEP_1) | instskip(NEXT) | instid1(VALU_DEP_2)
	v_add_co_u32 v4, vcc_lo, s16, v4
	v_add_co_ci_u32_e32 v5, vcc_lo, s17, v5, vcc_lo
	global_load_b64 v[16:17], v[4:5], off
	s_waitcnt vmcnt(0)
	v_fmac_f32_e32 v2, v8, v16
	v_fmac_f32_e32 v3, v9, v16
	s_delay_alu instid0(VALU_DEP_2) | instskip(NEXT) | instid1(VALU_DEP_2)
	v_fma_f32 v2, -v9, v17, v2
	v_fmac_f32_e32 v3, v8, v17
	global_store_b64 v[4:5], v[2:3], off
	s_branch .LBB227_10
.LBB227_27:
	s_nop 0
	s_sendmsg sendmsg(MSG_DEALLOC_VGPRS)
	s_endpgm
.LBB227_28:
	v_dual_mov_b32 v1, s4 :: v_dual_mov_b32 v2, s5
	flat_load_b32 v6, v[1:2]
	v_cndmask_b32_e64 v1, 0, 1, s6
	v_mov_b32_e32 v7, s5
	s_and_not1_b32 vcc_lo, exec_lo, s6
	s_cbranch_vccnz .LBB227_2
.LBB227_29:
	v_dual_mov_b32 v2, s4 :: v_dual_mov_b32 v3, s5
	flat_load_b32 v7, v[2:3] offset:4
	v_cmp_ne_u32_e32 vcc_lo, 1, v1
	v_mov_b32_e32 v8, s2
	s_cbranch_vccnz .LBB227_3
.LBB227_30:
	v_dual_mov_b32 v2, s2 :: v_dual_mov_b32 v3, s3
	flat_load_b32 v8, v[2:3]
	v_cmp_ne_u32_e32 vcc_lo, 1, v1
	v_mov_b32_e32 v9, s3
	s_cbranch_vccz .LBB227_4
	s_branch .LBB227_5
	.section	.rodata,"a",@progbits
	.p2align	6, 0x0
	.amdhsa_kernel _ZN9rocsparseL23gebsrmvn_general_kernelILj32ELj32E21rocsparse_complex_numIfEEEvi20rocsparse_direction_NS_24const_host_device_scalarIT1_EEPKiS8_PKS5_iiSA_S6_PS5_21rocsparse_index_base_b
		.amdhsa_group_segment_fixed_size 0
		.amdhsa_private_segment_fixed_size 0
		.amdhsa_kernarg_size 80
		.amdhsa_user_sgpr_count 15
		.amdhsa_user_sgpr_dispatch_ptr 0
		.amdhsa_user_sgpr_queue_ptr 0
		.amdhsa_user_sgpr_kernarg_segment_ptr 1
		.amdhsa_user_sgpr_dispatch_id 0
		.amdhsa_user_sgpr_private_segment_size 0
		.amdhsa_wavefront_size32 1
		.amdhsa_uses_dynamic_stack 0
		.amdhsa_enable_private_segment 0
		.amdhsa_system_sgpr_workgroup_id_x 1
		.amdhsa_system_sgpr_workgroup_id_y 0
		.amdhsa_system_sgpr_workgroup_id_z 0
		.amdhsa_system_sgpr_workgroup_info 0
		.amdhsa_system_vgpr_workitem_id 0
		.amdhsa_next_free_vgpr 20
		.amdhsa_next_free_sgpr 26
		.amdhsa_reserve_vcc 1
		.amdhsa_float_round_mode_32 0
		.amdhsa_float_round_mode_16_64 0
		.amdhsa_float_denorm_mode_32 3
		.amdhsa_float_denorm_mode_16_64 3
		.amdhsa_dx10_clamp 1
		.amdhsa_ieee_mode 1
		.amdhsa_fp16_overflow 0
		.amdhsa_workgroup_processor_mode 1
		.amdhsa_memory_ordered 1
		.amdhsa_forward_progress 0
		.amdhsa_shared_vgpr_count 0
		.amdhsa_exception_fp_ieee_invalid_op 0
		.amdhsa_exception_fp_denorm_src 0
		.amdhsa_exception_fp_ieee_div_zero 0
		.amdhsa_exception_fp_ieee_overflow 0
		.amdhsa_exception_fp_ieee_underflow 0
		.amdhsa_exception_fp_ieee_inexact 0
		.amdhsa_exception_int_div_zero 0
	.end_amdhsa_kernel
	.section	.text._ZN9rocsparseL23gebsrmvn_general_kernelILj32ELj32E21rocsparse_complex_numIfEEEvi20rocsparse_direction_NS_24const_host_device_scalarIT1_EEPKiS8_PKS5_iiSA_S6_PS5_21rocsparse_index_base_b,"axG",@progbits,_ZN9rocsparseL23gebsrmvn_general_kernelILj32ELj32E21rocsparse_complex_numIfEEEvi20rocsparse_direction_NS_24const_host_device_scalarIT1_EEPKiS8_PKS5_iiSA_S6_PS5_21rocsparse_index_base_b,comdat
.Lfunc_end227:
	.size	_ZN9rocsparseL23gebsrmvn_general_kernelILj32ELj32E21rocsparse_complex_numIfEEEvi20rocsparse_direction_NS_24const_host_device_scalarIT1_EEPKiS8_PKS5_iiSA_S6_PS5_21rocsparse_index_base_b, .Lfunc_end227-_ZN9rocsparseL23gebsrmvn_general_kernelILj32ELj32E21rocsparse_complex_numIfEEEvi20rocsparse_direction_NS_24const_host_device_scalarIT1_EEPKiS8_PKS5_iiSA_S6_PS5_21rocsparse_index_base_b
                                        ; -- End function
	.section	.AMDGPU.csdata,"",@progbits
; Kernel info:
; codeLenInByte = 1308
; NumSgprs: 28
; NumVgprs: 20
; ScratchSize: 0
; MemoryBound: 0
; FloatMode: 240
; IeeeMode: 1
; LDSByteSize: 0 bytes/workgroup (compile time only)
; SGPRBlocks: 3
; VGPRBlocks: 2
; NumSGPRsForWavesPerEU: 28
; NumVGPRsForWavesPerEU: 20
; Occupancy: 16
; WaveLimiterHint : 1
; COMPUTE_PGM_RSRC2:SCRATCH_EN: 0
; COMPUTE_PGM_RSRC2:USER_SGPR: 15
; COMPUTE_PGM_RSRC2:TRAP_HANDLER: 0
; COMPUTE_PGM_RSRC2:TGID_X_EN: 1
; COMPUTE_PGM_RSRC2:TGID_Y_EN: 0
; COMPUTE_PGM_RSRC2:TGID_Z_EN: 0
; COMPUTE_PGM_RSRC2:TIDIG_COMP_CNT: 0
	.section	.text._ZN9rocsparseL19gebsrmvn_2xn_kernelILj128ELj1ELj4E21rocsparse_complex_numIdEEEvi20rocsparse_direction_NS_24const_host_device_scalarIT2_EEPKiS8_PKS5_SA_S6_PS5_21rocsparse_index_base_b,"axG",@progbits,_ZN9rocsparseL19gebsrmvn_2xn_kernelILj128ELj1ELj4E21rocsparse_complex_numIdEEEvi20rocsparse_direction_NS_24const_host_device_scalarIT2_EEPKiS8_PKS5_SA_S6_PS5_21rocsparse_index_base_b,comdat
	.globl	_ZN9rocsparseL19gebsrmvn_2xn_kernelILj128ELj1ELj4E21rocsparse_complex_numIdEEEvi20rocsparse_direction_NS_24const_host_device_scalarIT2_EEPKiS8_PKS5_SA_S6_PS5_21rocsparse_index_base_b ; -- Begin function _ZN9rocsparseL19gebsrmvn_2xn_kernelILj128ELj1ELj4E21rocsparse_complex_numIdEEEvi20rocsparse_direction_NS_24const_host_device_scalarIT2_EEPKiS8_PKS5_SA_S6_PS5_21rocsparse_index_base_b
	.p2align	8
	.type	_ZN9rocsparseL19gebsrmvn_2xn_kernelILj128ELj1ELj4E21rocsparse_complex_numIdEEEvi20rocsparse_direction_NS_24const_host_device_scalarIT2_EEPKiS8_PKS5_SA_S6_PS5_21rocsparse_index_base_b,@function
_ZN9rocsparseL19gebsrmvn_2xn_kernelILj128ELj1ELj4E21rocsparse_complex_numIdEEEvi20rocsparse_direction_NS_24const_host_device_scalarIT2_EEPKiS8_PKS5_SA_S6_PS5_21rocsparse_index_base_b: ; @_ZN9rocsparseL19gebsrmvn_2xn_kernelILj128ELj1ELj4E21rocsparse_complex_numIdEEEvi20rocsparse_direction_NS_24const_host_device_scalarIT2_EEPKiS8_PKS5_SA_S6_PS5_21rocsparse_index_base_b
; %bb.0:
	s_load_b64 s[12:13], s[2:3], 0x50
	s_load_b64 s[16:17], s[0:1], 0x4
	s_load_b128 s[8:11], s[2:3], 0x8
	v_bfe_u32 v1, v0, 10, 10
	s_mov_b64 s[0:1], src_shared_base
	s_load_b128 s[4:7], s[2:3], 0x38
	v_and_b32_e32 v10, 0x3ff, v0
	v_bfe_u32 v0, v0, 20, 10
	s_waitcnt lgkmcnt(0)
	s_bitcmp1_b32 s13, 0
	v_mul_u32_u24_e32 v1, s17, v1
	s_cselect_b32 s0, -1, 0
	s_delay_alu instid0(SALU_CYCLE_1)
	s_and_b32 vcc_lo, s0, exec_lo
	s_cselect_b32 s13, s1, s9
	s_lshr_b32 s14, s16, 16
	v_dual_mov_b32 v2, s4 :: v_dual_mov_b32 v3, s5
	s_mul_i32 s14, s14, s17
	v_mov_b32_e32 v6, s13
	v_mad_u32_u24 v1, s14, v10, v1
	s_delay_alu instid0(VALU_DEP_1) | instskip(SKIP_1) | instid1(VALU_DEP_2)
	v_add_lshl_u32 v4, v1, v0, 3
	v_dual_mov_b32 v0, s8 :: v_dual_mov_b32 v1, s9
	v_add_nc_u32_e32 v5, 0x400, v4
	ds_store_2addr_stride64_b64 v4, v[2:3], v[0:1] offset1:2
	v_dual_mov_b32 v2, s10 :: v_dual_mov_b32 v3, s11
	v_cndmask_b32_e64 v5, s8, v5, s0
	s_xor_b32 s10, s0, -1
	flat_load_b64 v[0:1], v[5:6]
	s_cbranch_vccnz .LBB228_2
; %bb.1:
	v_dual_mov_b32 v2, s8 :: v_dual_mov_b32 v3, s9
	flat_load_b64 v[2:3], v[2:3] offset:8
.LBB228_2:
	s_and_b32 s8, s0, exec_lo
	s_cselect_b32 s1, s1, s5
	v_cndmask_b32_e64 v4, s4, v4, s0
	v_dual_mov_b32 v5, s1 :: v_dual_mov_b32 v6, s6
	v_mov_b32_e32 v7, s7
	s_and_not1_b32 vcc_lo, exec_lo, s10
	flat_load_b64 v[4:5], v[4:5]
	s_cbranch_vccnz .LBB228_4
; %bb.3:
	v_dual_mov_b32 v7, s5 :: v_dual_mov_b32 v6, s4
	flat_load_b64 v[6:7], v[6:7] offset:8
.LBB228_4:
	s_waitcnt vmcnt(1) lgkmcnt(1)
	v_cmp_eq_f64_e32 vcc_lo, 0, v[0:1]
	v_cmp_eq_f64_e64 s0, 0, v[2:3]
	s_delay_alu instid0(VALU_DEP_1)
	s_and_b32 s4, vcc_lo, s0
	s_mov_b32 s0, -1
	s_and_saveexec_b32 s1, s4
	s_cbranch_execz .LBB228_6
; %bb.5:
	s_waitcnt vmcnt(0) lgkmcnt(0)
	v_cmp_neq_f64_e32 vcc_lo, 1.0, v[4:5]
	v_cmp_neq_f64_e64 s0, 0, v[6:7]
	s_delay_alu instid0(VALU_DEP_1) | instskip(NEXT) | instid1(SALU_CYCLE_1)
	s_or_b32 s0, vcc_lo, s0
	s_or_not1_b32 s0, s0, exec_lo
.LBB228_6:
	s_or_b32 exec_lo, exec_lo, s1
	s_and_saveexec_b32 s1, s0
	s_cbranch_execz .LBB228_25
; %bb.7:
	s_load_b64 s[0:1], s[2:3], 0x0
	v_lshrrev_b32_e32 v8, 2, v10
	s_delay_alu instid0(VALU_DEP_1) | instskip(SKIP_1) | instid1(VALU_DEP_1)
	v_lshl_or_b32 v8, s15, 5, v8
	s_waitcnt lgkmcnt(0)
	v_cmp_gt_i32_e32 vcc_lo, s0, v8
	s_and_b32 exec_lo, exec_lo, vcc_lo
	s_cbranch_execz .LBB228_25
; %bb.8:
	s_load_b256 s[4:11], s[2:3], 0x18
	v_ashrrev_i32_e32 v9, 31, v8
	v_and_b32_e32 v25, 3, v10
	s_cmp_lg_u32 s1, 0
	s_delay_alu instid0(VALU_DEP_2) | instskip(SKIP_1) | instid1(VALU_DEP_1)
	v_lshlrev_b64 v[11:12], 2, v[8:9]
	s_waitcnt lgkmcnt(0)
	v_add_co_u32 v11, vcc_lo, s4, v11
	s_delay_alu instid0(VALU_DEP_2) | instskip(SKIP_4) | instid1(VALU_DEP_2)
	v_add_co_ci_u32_e32 v12, vcc_lo, s5, v12, vcc_lo
	global_load_b64 v[11:12], v[11:12], off
	s_waitcnt vmcnt(0)
	v_subrev_nc_u32_e32 v9, s12, v11
	v_subrev_nc_u32_e32 v22, s12, v12
	v_add_nc_u32_e32 v17, v9, v25
	s_delay_alu instid0(VALU_DEP_1)
	v_cmp_lt_i32_e64 s0, v17, v22
	s_cbranch_scc0 .LBB228_14
; %bb.9:
	v_mov_b32_e32 v9, 0
	v_mov_b32_e32 v10, 0
	s_delay_alu instid0(VALU_DEP_1)
	v_dual_mov_b32 v16, v10 :: v_dual_mov_b32 v15, v9
	v_dual_mov_b32 v14, v10 :: v_dual_mov_b32 v13, v9
	;; [unrolled: 1-line block ×3, first 2 shown]
	s_and_saveexec_b32 s1, s0
	s_cbranch_execz .LBB228_13
; %bb.10:
	v_dual_mov_b32 v9, 0 :: v_dual_lshlrev_b32 v18, 1, v17
	v_dual_mov_b32 v10, 0 :: v_dual_mov_b32 v19, 0
	v_mov_b32_e32 v20, v17
	s_mov_b32 s4, 0
	s_delay_alu instid0(VALU_DEP_2)
	v_dual_mov_b32 v16, v10 :: v_dual_mov_b32 v15, v9
	v_dual_mov_b32 v14, v10 :: v_dual_mov_b32 v13, v9
	;; [unrolled: 1-line block ×3, first 2 shown]
	s_set_inst_prefetch_distance 0x1
	.p2align	6
.LBB228_11:                             ; =>This Inner Loop Header: Depth=1
	v_ashrrev_i32_e32 v21, 31, v20
	v_mov_b32_e32 v31, v19
	s_delay_alu instid0(VALU_DEP_2) | instskip(SKIP_1) | instid1(VALU_DEP_2)
	v_lshlrev_b64 v[23:24], 2, v[20:21]
	v_add_nc_u32_e32 v20, 4, v20
	v_add_co_u32 v23, vcc_lo, s6, v23
	s_delay_alu instid0(VALU_DEP_3) | instskip(SKIP_3) | instid1(VALU_DEP_2)
	v_add_co_ci_u32_e32 v24, vcc_lo, s7, v24, vcc_lo
	global_load_b32 v21, v[23:24], off
	v_lshlrev_b64 v[23:24], 4, v[18:19]
	v_add_nc_u32_e32 v18, 8, v18
	v_add_co_u32 v23, vcc_lo, s8, v23
	s_delay_alu instid0(VALU_DEP_3) | instskip(SKIP_3) | instid1(VALU_DEP_1)
	v_add_co_ci_u32_e32 v24, vcc_lo, s9, v24, vcc_lo
	global_load_b128 v[26:29], v[23:24], off offset:16
	s_waitcnt vmcnt(1)
	v_subrev_nc_u32_e32 v30, s12, v21
	v_lshlrev_b64 v[30:31], 4, v[30:31]
	s_delay_alu instid0(VALU_DEP_1) | instskip(NEXT) | instid1(VALU_DEP_2)
	v_add_co_u32 v34, vcc_lo, s10, v30
	v_add_co_ci_u32_e32 v35, vcc_lo, s11, v31, vcc_lo
	v_cmp_ge_i32_e32 vcc_lo, v20, v22
	global_load_b128 v[30:33], v[23:24], off
	global_load_b128 v[34:37], v[34:35], off
	s_or_b32 s4, vcc_lo, s4
	s_waitcnt vmcnt(0)
	v_fma_f64 v[15:16], v[30:31], v[34:35], v[15:16]
	v_fma_f64 v[9:10], v[32:33], v[34:35], v[9:10]
	;; [unrolled: 1-line block ×4, first 2 shown]
	s_delay_alu instid0(VALU_DEP_4) | instskip(NEXT) | instid1(VALU_DEP_4)
	v_fma_f64 v[15:16], -v[32:33], v[36:37], v[15:16]
	v_fma_f64 v[9:10], v[30:31], v[36:37], v[9:10]
	s_delay_alu instid0(VALU_DEP_4) | instskip(NEXT) | instid1(VALU_DEP_4)
	v_fma_f64 v[13:14], -v[28:29], v[36:37], v[13:14]
	v_fma_f64 v[11:12], v[26:27], v[36:37], v[11:12]
	s_and_not1_b32 exec_lo, exec_lo, s4
	s_cbranch_execnz .LBB228_11
; %bb.12:
	s_set_inst_prefetch_distance 0x2
	s_or_b32 exec_lo, exec_lo, s4
.LBB228_13:
	s_delay_alu instid0(SALU_CYCLE_1)
	s_or_b32 exec_lo, exec_lo, s1
	s_cbranch_execz .LBB228_15
	s_branch .LBB228_20
.LBB228_14:
                                        ; implicit-def: $vgpr9_vgpr10
                                        ; implicit-def: $vgpr15_vgpr16
                                        ; implicit-def: $vgpr13_vgpr14
                                        ; implicit-def: $vgpr11_vgpr12
.LBB228_15:
	v_mov_b32_e32 v9, 0
	v_mov_b32_e32 v10, 0
	s_delay_alu instid0(VALU_DEP_1)
	v_dual_mov_b32 v16, v10 :: v_dual_mov_b32 v15, v9
	v_dual_mov_b32 v14, v10 :: v_dual_mov_b32 v13, v9
	v_dual_mov_b32 v12, v10 :: v_dual_mov_b32 v11, v9
	s_and_saveexec_b32 s1, s0
	s_cbranch_execz .LBB228_19
; %bb.16:
	v_dual_mov_b32 v9, 0 :: v_dual_mov_b32 v20, 0
	v_dual_mov_b32 v10, 0 :: v_dual_lshlrev_b32 v19, 1, v17
	s_mov_b32 s0, 0
	s_delay_alu instid0(VALU_DEP_1)
	v_dual_mov_b32 v16, v10 :: v_dual_mov_b32 v15, v9
	v_dual_mov_b32 v14, v10 :: v_dual_mov_b32 v13, v9
	;; [unrolled: 1-line block ×3, first 2 shown]
	s_set_inst_prefetch_distance 0x1
	.p2align	6
.LBB228_17:                             ; =>This Inner Loop Header: Depth=1
	v_ashrrev_i32_e32 v18, 31, v17
	v_mov_b32_e32 v31, v20
	s_delay_alu instid0(VALU_DEP_2) | instskip(SKIP_1) | instid1(VALU_DEP_2)
	v_lshlrev_b64 v[23:24], 2, v[17:18]
	v_add_nc_u32_e32 v17, 4, v17
	v_add_co_u32 v23, vcc_lo, s6, v23
	s_delay_alu instid0(VALU_DEP_3) | instskip(SKIP_3) | instid1(VALU_DEP_2)
	v_add_co_ci_u32_e32 v24, vcc_lo, s7, v24, vcc_lo
	global_load_b32 v18, v[23:24], off
	v_lshlrev_b64 v[23:24], 4, v[19:20]
	v_add_nc_u32_e32 v19, 8, v19
	v_add_co_u32 v23, vcc_lo, s8, v23
	s_delay_alu instid0(VALU_DEP_3) | instskip(SKIP_3) | instid1(VALU_DEP_1)
	v_add_co_ci_u32_e32 v24, vcc_lo, s9, v24, vcc_lo
	global_load_b128 v[26:29], v[23:24], off offset:16
	s_waitcnt vmcnt(1)
	v_subrev_nc_u32_e32 v30, s12, v18
	v_lshlrev_b64 v[30:31], 4, v[30:31]
	s_delay_alu instid0(VALU_DEP_1) | instskip(NEXT) | instid1(VALU_DEP_2)
	v_add_co_u32 v34, vcc_lo, s10, v30
	v_add_co_ci_u32_e32 v35, vcc_lo, s11, v31, vcc_lo
	v_cmp_ge_i32_e32 vcc_lo, v17, v22
	global_load_b128 v[30:33], v[23:24], off
	global_load_b128 v[34:37], v[34:35], off
	s_or_b32 s0, vcc_lo, s0
	s_waitcnt vmcnt(0)
	v_fma_f64 v[15:16], v[30:31], v[34:35], v[15:16]
	v_fma_f64 v[9:10], v[32:33], v[34:35], v[9:10]
	;; [unrolled: 1-line block ×4, first 2 shown]
	s_delay_alu instid0(VALU_DEP_4) | instskip(NEXT) | instid1(VALU_DEP_4)
	v_fma_f64 v[15:16], -v[32:33], v[36:37], v[15:16]
	v_fma_f64 v[9:10], v[30:31], v[36:37], v[9:10]
	s_delay_alu instid0(VALU_DEP_4) | instskip(NEXT) | instid1(VALU_DEP_4)
	v_fma_f64 v[13:14], -v[28:29], v[36:37], v[13:14]
	v_fma_f64 v[11:12], v[26:27], v[36:37], v[11:12]
	s_and_not1_b32 exec_lo, exec_lo, s0
	s_cbranch_execnz .LBB228_17
; %bb.18:
	s_set_inst_prefetch_distance 0x2
	s_or_b32 exec_lo, exec_lo, s0
.LBB228_19:
	s_delay_alu instid0(SALU_CYCLE_1)
	s_or_b32 exec_lo, exec_lo, s1
.LBB228_20:
	v_mbcnt_lo_u32_b32 v28, -1, 0
	s_delay_alu instid0(VALU_DEP_1) | instskip(NEXT) | instid1(VALU_DEP_1)
	v_xor_b32_e32 v17, 2, v28
	v_cmp_gt_i32_e32 vcc_lo, 32, v17
	v_cndmask_b32_e32 v17, v28, v17, vcc_lo
	s_delay_alu instid0(VALU_DEP_1)
	v_lshlrev_b32_e32 v19, 2, v17
	ds_bpermute_b32 v17, v19, v15
	ds_bpermute_b32 v18, v19, v16
	;; [unrolled: 1-line block ×8, first 2 shown]
	s_waitcnt lgkmcnt(6)
	v_add_f64 v[19:20], v[15:16], v[17:18]
	s_waitcnt lgkmcnt(4)
	v_add_f64 v[15:16], v[9:10], v[21:22]
	v_xor_b32_e32 v9, 1, v28
	s_waitcnt lgkmcnt(2)
	v_add_f64 v[13:14], v[13:14], v[23:24]
	s_waitcnt lgkmcnt(0)
	v_add_f64 v[17:18], v[11:12], v[26:27]
	v_cmp_gt_i32_e32 vcc_lo, 32, v9
	v_cndmask_b32_e32 v9, v28, v9, vcc_lo
	v_cmp_eq_u32_e32 vcc_lo, 3, v25
	s_delay_alu instid0(VALU_DEP_2)
	v_lshlrev_b32_e32 v22, 2, v9
	ds_bpermute_b32 v9, v22, v19
	ds_bpermute_b32 v10, v22, v20
	ds_bpermute_b32 v23, v22, v15
	ds_bpermute_b32 v24, v22, v16
	ds_bpermute_b32 v11, v22, v13
	ds_bpermute_b32 v12, v22, v14
	ds_bpermute_b32 v21, v22, v17
	ds_bpermute_b32 v22, v22, v18
	s_and_b32 exec_lo, exec_lo, vcc_lo
	s_cbranch_execz .LBB228_25
; %bb.21:
	v_cmp_eq_f64_e32 vcc_lo, 0, v[4:5]
	v_cmp_eq_f64_e64 s0, 0, v[6:7]
	s_waitcnt lgkmcnt(6)
	v_add_f64 v[9:10], v[19:20], v[9:10]
	s_waitcnt lgkmcnt(4)
	v_add_f64 v[15:16], v[15:16], v[23:24]
	;; [unrolled: 2-line block ×4, first 2 shown]
	s_load_b64 s[2:3], s[2:3], 0x48
	s_and_b32 s0, vcc_lo, s0
	s_delay_alu instid0(SALU_CYCLE_1) | instskip(NEXT) | instid1(SALU_CYCLE_1)
	s_and_saveexec_b32 s1, s0
	s_xor_b32 s0, exec_lo, s1
	s_cbranch_execz .LBB228_23
; %bb.22:
	s_delay_alu instid0(VALU_DEP_3) | instskip(SKIP_1) | instid1(VALU_DEP_3)
	v_mul_f64 v[4:5], v[15:16], -v[2:3]
	v_mul_f64 v[6:7], v[0:1], v[15:16]
	v_mul_f64 v[15:16], v[13:14], -v[2:3]
	v_mul_f64 v[13:14], v[0:1], v[13:14]
	v_lshlrev_b32_e32 v8, 1, v8
	v_fma_f64 v[4:5], v[0:1], v[9:10], v[4:5]
	v_fma_f64 v[6:7], v[2:3], v[9:10], v[6:7]
	;; [unrolled: 1-line block ×4, first 2 shown]
	v_ashrrev_i32_e32 v9, 31, v8
                                        ; implicit-def: $vgpr15_vgpr16
                                        ; implicit-def: $vgpr11_vgpr12
                                        ; implicit-def: $vgpr13_vgpr14
	s_delay_alu instid0(VALU_DEP_1) | instskip(SKIP_1) | instid1(VALU_DEP_1)
	v_lshlrev_b64 v[8:9], 4, v[8:9]
	s_waitcnt lgkmcnt(0)
	v_add_co_u32 v8, vcc_lo, s2, v8
	s_delay_alu instid0(VALU_DEP_2)
	v_add_co_ci_u32_e32 v9, vcc_lo, s3, v9, vcc_lo
	s_clause 0x1
	global_store_b128 v[8:9], v[4:7], off
	global_store_b128 v[8:9], v[0:3], off offset:16
                                        ; implicit-def: $vgpr0_vgpr1
                                        ; implicit-def: $vgpr2_vgpr3
                                        ; implicit-def: $vgpr4_vgpr5
                                        ; implicit-def: $vgpr6_vgpr7
                                        ; implicit-def: $vgpr8
                                        ; implicit-def: $vgpr9_vgpr10
.LBB228_23:
	s_and_not1_saveexec_b32 s0, s0
	s_cbranch_execz .LBB228_25
; %bb.24:
	v_lshlrev_b32_e32 v17, 1, v8
	s_delay_alu instid0(VALU_DEP_4) | instskip(SKIP_1) | instid1(VALU_DEP_4)
	v_mul_f64 v[27:28], v[15:16], -v[2:3]
	v_mul_f64 v[15:16], v[0:1], v[15:16]
	v_mul_f64 v[29:30], v[13:14], -v[2:3]
	v_mul_f64 v[13:14], v[0:1], v[13:14]
	v_ashrrev_i32_e32 v18, 31, v17
	s_delay_alu instid0(VALU_DEP_1) | instskip(SKIP_1) | instid1(VALU_DEP_1)
	v_lshlrev_b64 v[17:18], 4, v[17:18]
	s_waitcnt lgkmcnt(0)
	v_add_co_u32 v25, vcc_lo, s2, v17
	s_delay_alu instid0(VALU_DEP_2)
	v_add_co_ci_u32_e32 v26, vcc_lo, s3, v18, vcc_lo
	s_clause 0x1
	global_load_b128 v[17:20], v[25:26], off
	global_load_b128 v[21:24], v[25:26], off offset:16
	v_fma_f64 v[27:28], v[0:1], v[9:10], v[27:28]
	v_fma_f64 v[8:9], v[2:3], v[9:10], v[15:16]
	;; [unrolled: 1-line block ×4, first 2 shown]
	s_waitcnt vmcnt(1)
	s_delay_alu instid0(VALU_DEP_4) | instskip(NEXT) | instid1(VALU_DEP_4)
	v_fma_f64 v[10:11], v[4:5], v[17:18], v[27:28]
	v_fma_f64 v[8:9], v[6:7], v[17:18], v[8:9]
	s_waitcnt vmcnt(0)
	s_delay_alu instid0(VALU_DEP_4) | instskip(NEXT) | instid1(VALU_DEP_4)
	v_fma_f64 v[12:13], v[4:5], v[21:22], v[0:1]
	v_fma_f64 v[14:15], v[6:7], v[21:22], v[2:3]
	s_delay_alu instid0(VALU_DEP_4) | instskip(NEXT) | instid1(VALU_DEP_4)
	v_fma_f64 v[0:1], -v[6:7], v[19:20], v[10:11]
	v_fma_f64 v[2:3], v[4:5], v[19:20], v[8:9]
	s_delay_alu instid0(VALU_DEP_4) | instskip(NEXT) | instid1(VALU_DEP_4)
	v_fma_f64 v[6:7], -v[6:7], v[23:24], v[12:13]
	v_fma_f64 v[8:9], v[4:5], v[23:24], v[14:15]
	s_clause 0x1
	global_store_b128 v[25:26], v[0:3], off
	global_store_b128 v[25:26], v[6:9], off offset:16
.LBB228_25:
	s_nop 0
	s_sendmsg sendmsg(MSG_DEALLOC_VGPRS)
	s_endpgm
	.section	.rodata,"a",@progbits
	.p2align	6, 0x0
	.amdhsa_kernel _ZN9rocsparseL19gebsrmvn_2xn_kernelILj128ELj1ELj4E21rocsparse_complex_numIdEEEvi20rocsparse_direction_NS_24const_host_device_scalarIT2_EEPKiS8_PKS5_SA_S6_PS5_21rocsparse_index_base_b
		.amdhsa_group_segment_fixed_size 2048
		.amdhsa_private_segment_fixed_size 0
		.amdhsa_kernarg_size 88
		.amdhsa_user_sgpr_count 15
		.amdhsa_user_sgpr_dispatch_ptr 1
		.amdhsa_user_sgpr_queue_ptr 0
		.amdhsa_user_sgpr_kernarg_segment_ptr 1
		.amdhsa_user_sgpr_dispatch_id 0
		.amdhsa_user_sgpr_private_segment_size 0
		.amdhsa_wavefront_size32 1
		.amdhsa_uses_dynamic_stack 0
		.amdhsa_enable_private_segment 0
		.amdhsa_system_sgpr_workgroup_id_x 1
		.amdhsa_system_sgpr_workgroup_id_y 0
		.amdhsa_system_sgpr_workgroup_id_z 0
		.amdhsa_system_sgpr_workgroup_info 0
		.amdhsa_system_vgpr_workitem_id 2
		.amdhsa_next_free_vgpr 38
		.amdhsa_next_free_sgpr 18
		.amdhsa_reserve_vcc 1
		.amdhsa_float_round_mode_32 0
		.amdhsa_float_round_mode_16_64 0
		.amdhsa_float_denorm_mode_32 3
		.amdhsa_float_denorm_mode_16_64 3
		.amdhsa_dx10_clamp 1
		.amdhsa_ieee_mode 1
		.amdhsa_fp16_overflow 0
		.amdhsa_workgroup_processor_mode 1
		.amdhsa_memory_ordered 1
		.amdhsa_forward_progress 0
		.amdhsa_shared_vgpr_count 0
		.amdhsa_exception_fp_ieee_invalid_op 0
		.amdhsa_exception_fp_denorm_src 0
		.amdhsa_exception_fp_ieee_div_zero 0
		.amdhsa_exception_fp_ieee_overflow 0
		.amdhsa_exception_fp_ieee_underflow 0
		.amdhsa_exception_fp_ieee_inexact 0
		.amdhsa_exception_int_div_zero 0
	.end_amdhsa_kernel
	.section	.text._ZN9rocsparseL19gebsrmvn_2xn_kernelILj128ELj1ELj4E21rocsparse_complex_numIdEEEvi20rocsparse_direction_NS_24const_host_device_scalarIT2_EEPKiS8_PKS5_SA_S6_PS5_21rocsparse_index_base_b,"axG",@progbits,_ZN9rocsparseL19gebsrmvn_2xn_kernelILj128ELj1ELj4E21rocsparse_complex_numIdEEEvi20rocsparse_direction_NS_24const_host_device_scalarIT2_EEPKiS8_PKS5_SA_S6_PS5_21rocsparse_index_base_b,comdat
.Lfunc_end228:
	.size	_ZN9rocsparseL19gebsrmvn_2xn_kernelILj128ELj1ELj4E21rocsparse_complex_numIdEEEvi20rocsparse_direction_NS_24const_host_device_scalarIT2_EEPKiS8_PKS5_SA_S6_PS5_21rocsparse_index_base_b, .Lfunc_end228-_ZN9rocsparseL19gebsrmvn_2xn_kernelILj128ELj1ELj4E21rocsparse_complex_numIdEEEvi20rocsparse_direction_NS_24const_host_device_scalarIT2_EEPKiS8_PKS5_SA_S6_PS5_21rocsparse_index_base_b
                                        ; -- End function
	.section	.AMDGPU.csdata,"",@progbits
; Kernel info:
; codeLenInByte = 1864
; NumSgprs: 20
; NumVgprs: 38
; ScratchSize: 0
; MemoryBound: 0
; FloatMode: 240
; IeeeMode: 1
; LDSByteSize: 2048 bytes/workgroup (compile time only)
; SGPRBlocks: 2
; VGPRBlocks: 4
; NumSGPRsForWavesPerEU: 20
; NumVGPRsForWavesPerEU: 38
; Occupancy: 16
; WaveLimiterHint : 1
; COMPUTE_PGM_RSRC2:SCRATCH_EN: 0
; COMPUTE_PGM_RSRC2:USER_SGPR: 15
; COMPUTE_PGM_RSRC2:TRAP_HANDLER: 0
; COMPUTE_PGM_RSRC2:TGID_X_EN: 1
; COMPUTE_PGM_RSRC2:TGID_Y_EN: 0
; COMPUTE_PGM_RSRC2:TGID_Z_EN: 0
; COMPUTE_PGM_RSRC2:TIDIG_COMP_CNT: 2
	.section	.text._ZN9rocsparseL19gebsrmvn_2xn_kernelILj128ELj1ELj8E21rocsparse_complex_numIdEEEvi20rocsparse_direction_NS_24const_host_device_scalarIT2_EEPKiS8_PKS5_SA_S6_PS5_21rocsparse_index_base_b,"axG",@progbits,_ZN9rocsparseL19gebsrmvn_2xn_kernelILj128ELj1ELj8E21rocsparse_complex_numIdEEEvi20rocsparse_direction_NS_24const_host_device_scalarIT2_EEPKiS8_PKS5_SA_S6_PS5_21rocsparse_index_base_b,comdat
	.globl	_ZN9rocsparseL19gebsrmvn_2xn_kernelILj128ELj1ELj8E21rocsparse_complex_numIdEEEvi20rocsparse_direction_NS_24const_host_device_scalarIT2_EEPKiS8_PKS5_SA_S6_PS5_21rocsparse_index_base_b ; -- Begin function _ZN9rocsparseL19gebsrmvn_2xn_kernelILj128ELj1ELj8E21rocsparse_complex_numIdEEEvi20rocsparse_direction_NS_24const_host_device_scalarIT2_EEPKiS8_PKS5_SA_S6_PS5_21rocsparse_index_base_b
	.p2align	8
	.type	_ZN9rocsparseL19gebsrmvn_2xn_kernelILj128ELj1ELj8E21rocsparse_complex_numIdEEEvi20rocsparse_direction_NS_24const_host_device_scalarIT2_EEPKiS8_PKS5_SA_S6_PS5_21rocsparse_index_base_b,@function
_ZN9rocsparseL19gebsrmvn_2xn_kernelILj128ELj1ELj8E21rocsparse_complex_numIdEEEvi20rocsparse_direction_NS_24const_host_device_scalarIT2_EEPKiS8_PKS5_SA_S6_PS5_21rocsparse_index_base_b: ; @_ZN9rocsparseL19gebsrmvn_2xn_kernelILj128ELj1ELj8E21rocsparse_complex_numIdEEEvi20rocsparse_direction_NS_24const_host_device_scalarIT2_EEPKiS8_PKS5_SA_S6_PS5_21rocsparse_index_base_b
; %bb.0:
	s_load_b64 s[12:13], s[2:3], 0x50
	s_load_b64 s[16:17], s[0:1], 0x4
	s_load_b128 s[8:11], s[2:3], 0x8
	v_bfe_u32 v1, v0, 10, 10
	s_mov_b64 s[0:1], src_shared_base
	s_load_b128 s[4:7], s[2:3], 0x38
	v_and_b32_e32 v10, 0x3ff, v0
	v_bfe_u32 v0, v0, 20, 10
	s_waitcnt lgkmcnt(0)
	s_bitcmp1_b32 s13, 0
	v_mul_u32_u24_e32 v1, s17, v1
	s_cselect_b32 s0, -1, 0
	s_delay_alu instid0(SALU_CYCLE_1)
	s_and_b32 vcc_lo, s0, exec_lo
	s_cselect_b32 s13, s1, s9
	s_lshr_b32 s14, s16, 16
	v_dual_mov_b32 v2, s4 :: v_dual_mov_b32 v3, s5
	s_mul_i32 s14, s14, s17
	v_mov_b32_e32 v6, s13
	v_mad_u32_u24 v1, s14, v10, v1
	s_delay_alu instid0(VALU_DEP_1) | instskip(SKIP_1) | instid1(VALU_DEP_2)
	v_add_lshl_u32 v4, v1, v0, 3
	v_dual_mov_b32 v0, s8 :: v_dual_mov_b32 v1, s9
	v_add_nc_u32_e32 v5, 0x400, v4
	ds_store_2addr_stride64_b64 v4, v[2:3], v[0:1] offset1:2
	v_dual_mov_b32 v2, s10 :: v_dual_mov_b32 v3, s11
	v_cndmask_b32_e64 v5, s8, v5, s0
	s_xor_b32 s10, s0, -1
	flat_load_b64 v[0:1], v[5:6]
	s_cbranch_vccnz .LBB229_2
; %bb.1:
	v_dual_mov_b32 v2, s8 :: v_dual_mov_b32 v3, s9
	flat_load_b64 v[2:3], v[2:3] offset:8
.LBB229_2:
	s_and_b32 s8, s0, exec_lo
	s_cselect_b32 s1, s1, s5
	v_cndmask_b32_e64 v4, s4, v4, s0
	v_dual_mov_b32 v5, s1 :: v_dual_mov_b32 v6, s6
	v_mov_b32_e32 v7, s7
	s_and_not1_b32 vcc_lo, exec_lo, s10
	flat_load_b64 v[4:5], v[4:5]
	s_cbranch_vccnz .LBB229_4
; %bb.3:
	v_dual_mov_b32 v7, s5 :: v_dual_mov_b32 v6, s4
	flat_load_b64 v[6:7], v[6:7] offset:8
.LBB229_4:
	s_waitcnt vmcnt(1) lgkmcnt(1)
	v_cmp_eq_f64_e32 vcc_lo, 0, v[0:1]
	v_cmp_eq_f64_e64 s0, 0, v[2:3]
	s_delay_alu instid0(VALU_DEP_1)
	s_and_b32 s4, vcc_lo, s0
	s_mov_b32 s0, -1
	s_and_saveexec_b32 s1, s4
	s_cbranch_execz .LBB229_6
; %bb.5:
	s_waitcnt vmcnt(0) lgkmcnt(0)
	v_cmp_neq_f64_e32 vcc_lo, 1.0, v[4:5]
	v_cmp_neq_f64_e64 s0, 0, v[6:7]
	s_delay_alu instid0(VALU_DEP_1) | instskip(NEXT) | instid1(SALU_CYCLE_1)
	s_or_b32 s0, vcc_lo, s0
	s_or_not1_b32 s0, s0, exec_lo
.LBB229_6:
	s_or_b32 exec_lo, exec_lo, s1
	s_and_saveexec_b32 s1, s0
	s_cbranch_execz .LBB229_25
; %bb.7:
	s_load_b64 s[0:1], s[2:3], 0x0
	v_lshrrev_b32_e32 v8, 3, v10
	s_delay_alu instid0(VALU_DEP_1) | instskip(SKIP_1) | instid1(VALU_DEP_1)
	v_lshl_or_b32 v8, s15, 4, v8
	s_waitcnt lgkmcnt(0)
	v_cmp_gt_i32_e32 vcc_lo, s0, v8
	s_and_b32 exec_lo, exec_lo, vcc_lo
	s_cbranch_execz .LBB229_25
; %bb.8:
	s_load_b256 s[4:11], s[2:3], 0x18
	v_ashrrev_i32_e32 v9, 31, v8
	v_and_b32_e32 v25, 7, v10
	s_cmp_lg_u32 s1, 0
	s_delay_alu instid0(VALU_DEP_2) | instskip(SKIP_1) | instid1(VALU_DEP_1)
	v_lshlrev_b64 v[11:12], 2, v[8:9]
	s_waitcnt lgkmcnt(0)
	v_add_co_u32 v11, vcc_lo, s4, v11
	s_delay_alu instid0(VALU_DEP_2) | instskip(SKIP_4) | instid1(VALU_DEP_2)
	v_add_co_ci_u32_e32 v12, vcc_lo, s5, v12, vcc_lo
	global_load_b64 v[11:12], v[11:12], off
	s_waitcnt vmcnt(0)
	v_subrev_nc_u32_e32 v9, s12, v11
	v_subrev_nc_u32_e32 v22, s12, v12
	v_add_nc_u32_e32 v17, v9, v25
	s_delay_alu instid0(VALU_DEP_1)
	v_cmp_lt_i32_e64 s0, v17, v22
	s_cbranch_scc0 .LBB229_14
; %bb.9:
	v_mov_b32_e32 v9, 0
	v_mov_b32_e32 v10, 0
	s_delay_alu instid0(VALU_DEP_1)
	v_dual_mov_b32 v16, v10 :: v_dual_mov_b32 v15, v9
	v_dual_mov_b32 v14, v10 :: v_dual_mov_b32 v13, v9
	;; [unrolled: 1-line block ×3, first 2 shown]
	s_and_saveexec_b32 s1, s0
	s_cbranch_execz .LBB229_13
; %bb.10:
	v_dual_mov_b32 v9, 0 :: v_dual_lshlrev_b32 v18, 1, v17
	v_dual_mov_b32 v10, 0 :: v_dual_mov_b32 v19, 0
	v_mov_b32_e32 v20, v17
	s_mov_b32 s4, 0
	s_delay_alu instid0(VALU_DEP_2)
	v_dual_mov_b32 v16, v10 :: v_dual_mov_b32 v15, v9
	v_dual_mov_b32 v14, v10 :: v_dual_mov_b32 v13, v9
	;; [unrolled: 1-line block ×3, first 2 shown]
	s_set_inst_prefetch_distance 0x1
	.p2align	6
.LBB229_11:                             ; =>This Inner Loop Header: Depth=1
	v_ashrrev_i32_e32 v21, 31, v20
	v_mov_b32_e32 v31, v19
	s_delay_alu instid0(VALU_DEP_2) | instskip(SKIP_1) | instid1(VALU_DEP_2)
	v_lshlrev_b64 v[23:24], 2, v[20:21]
	v_add_nc_u32_e32 v20, 8, v20
	v_add_co_u32 v23, vcc_lo, s6, v23
	s_delay_alu instid0(VALU_DEP_3) | instskip(SKIP_3) | instid1(VALU_DEP_2)
	v_add_co_ci_u32_e32 v24, vcc_lo, s7, v24, vcc_lo
	global_load_b32 v21, v[23:24], off
	v_lshlrev_b64 v[23:24], 4, v[18:19]
	v_add_nc_u32_e32 v18, 16, v18
	v_add_co_u32 v23, vcc_lo, s8, v23
	s_delay_alu instid0(VALU_DEP_3) | instskip(SKIP_3) | instid1(VALU_DEP_1)
	v_add_co_ci_u32_e32 v24, vcc_lo, s9, v24, vcc_lo
	global_load_b128 v[26:29], v[23:24], off offset:16
	s_waitcnt vmcnt(1)
	v_subrev_nc_u32_e32 v30, s12, v21
	v_lshlrev_b64 v[30:31], 4, v[30:31]
	s_delay_alu instid0(VALU_DEP_1) | instskip(NEXT) | instid1(VALU_DEP_2)
	v_add_co_u32 v34, vcc_lo, s10, v30
	v_add_co_ci_u32_e32 v35, vcc_lo, s11, v31, vcc_lo
	v_cmp_ge_i32_e32 vcc_lo, v20, v22
	global_load_b128 v[30:33], v[23:24], off
	global_load_b128 v[34:37], v[34:35], off
	s_or_b32 s4, vcc_lo, s4
	s_waitcnt vmcnt(0)
	v_fma_f64 v[15:16], v[30:31], v[34:35], v[15:16]
	v_fma_f64 v[9:10], v[32:33], v[34:35], v[9:10]
	;; [unrolled: 1-line block ×4, first 2 shown]
	s_delay_alu instid0(VALU_DEP_4) | instskip(NEXT) | instid1(VALU_DEP_4)
	v_fma_f64 v[15:16], -v[32:33], v[36:37], v[15:16]
	v_fma_f64 v[9:10], v[30:31], v[36:37], v[9:10]
	s_delay_alu instid0(VALU_DEP_4) | instskip(NEXT) | instid1(VALU_DEP_4)
	v_fma_f64 v[13:14], -v[28:29], v[36:37], v[13:14]
	v_fma_f64 v[11:12], v[26:27], v[36:37], v[11:12]
	s_and_not1_b32 exec_lo, exec_lo, s4
	s_cbranch_execnz .LBB229_11
; %bb.12:
	s_set_inst_prefetch_distance 0x2
	s_or_b32 exec_lo, exec_lo, s4
.LBB229_13:
	s_delay_alu instid0(SALU_CYCLE_1)
	s_or_b32 exec_lo, exec_lo, s1
	s_cbranch_execz .LBB229_15
	s_branch .LBB229_20
.LBB229_14:
                                        ; implicit-def: $vgpr9_vgpr10
                                        ; implicit-def: $vgpr15_vgpr16
                                        ; implicit-def: $vgpr13_vgpr14
                                        ; implicit-def: $vgpr11_vgpr12
.LBB229_15:
	v_mov_b32_e32 v9, 0
	v_mov_b32_e32 v10, 0
	s_delay_alu instid0(VALU_DEP_1)
	v_dual_mov_b32 v16, v10 :: v_dual_mov_b32 v15, v9
	v_dual_mov_b32 v14, v10 :: v_dual_mov_b32 v13, v9
	;; [unrolled: 1-line block ×3, first 2 shown]
	s_and_saveexec_b32 s1, s0
	s_cbranch_execz .LBB229_19
; %bb.16:
	v_dual_mov_b32 v9, 0 :: v_dual_mov_b32 v20, 0
	v_dual_mov_b32 v10, 0 :: v_dual_lshlrev_b32 v19, 1, v17
	s_mov_b32 s0, 0
	s_delay_alu instid0(VALU_DEP_1)
	v_dual_mov_b32 v16, v10 :: v_dual_mov_b32 v15, v9
	v_dual_mov_b32 v14, v10 :: v_dual_mov_b32 v13, v9
	;; [unrolled: 1-line block ×3, first 2 shown]
	s_set_inst_prefetch_distance 0x1
	.p2align	6
.LBB229_17:                             ; =>This Inner Loop Header: Depth=1
	v_ashrrev_i32_e32 v18, 31, v17
	v_mov_b32_e32 v31, v20
	s_delay_alu instid0(VALU_DEP_2) | instskip(SKIP_1) | instid1(VALU_DEP_2)
	v_lshlrev_b64 v[23:24], 2, v[17:18]
	v_add_nc_u32_e32 v17, 8, v17
	v_add_co_u32 v23, vcc_lo, s6, v23
	s_delay_alu instid0(VALU_DEP_3) | instskip(SKIP_3) | instid1(VALU_DEP_2)
	v_add_co_ci_u32_e32 v24, vcc_lo, s7, v24, vcc_lo
	global_load_b32 v18, v[23:24], off
	v_lshlrev_b64 v[23:24], 4, v[19:20]
	v_add_nc_u32_e32 v19, 16, v19
	v_add_co_u32 v23, vcc_lo, s8, v23
	s_delay_alu instid0(VALU_DEP_3) | instskip(SKIP_3) | instid1(VALU_DEP_1)
	v_add_co_ci_u32_e32 v24, vcc_lo, s9, v24, vcc_lo
	global_load_b128 v[26:29], v[23:24], off offset:16
	s_waitcnt vmcnt(1)
	v_subrev_nc_u32_e32 v30, s12, v18
	v_lshlrev_b64 v[30:31], 4, v[30:31]
	s_delay_alu instid0(VALU_DEP_1) | instskip(NEXT) | instid1(VALU_DEP_2)
	v_add_co_u32 v34, vcc_lo, s10, v30
	v_add_co_ci_u32_e32 v35, vcc_lo, s11, v31, vcc_lo
	v_cmp_ge_i32_e32 vcc_lo, v17, v22
	global_load_b128 v[30:33], v[23:24], off
	global_load_b128 v[34:37], v[34:35], off
	s_or_b32 s0, vcc_lo, s0
	s_waitcnt vmcnt(0)
	v_fma_f64 v[15:16], v[30:31], v[34:35], v[15:16]
	v_fma_f64 v[9:10], v[32:33], v[34:35], v[9:10]
	;; [unrolled: 1-line block ×4, first 2 shown]
	s_delay_alu instid0(VALU_DEP_4) | instskip(NEXT) | instid1(VALU_DEP_4)
	v_fma_f64 v[15:16], -v[32:33], v[36:37], v[15:16]
	v_fma_f64 v[9:10], v[30:31], v[36:37], v[9:10]
	s_delay_alu instid0(VALU_DEP_4) | instskip(NEXT) | instid1(VALU_DEP_4)
	v_fma_f64 v[13:14], -v[28:29], v[36:37], v[13:14]
	v_fma_f64 v[11:12], v[26:27], v[36:37], v[11:12]
	s_and_not1_b32 exec_lo, exec_lo, s0
	s_cbranch_execnz .LBB229_17
; %bb.18:
	s_set_inst_prefetch_distance 0x2
	s_or_b32 exec_lo, exec_lo, s0
.LBB229_19:
	s_delay_alu instid0(SALU_CYCLE_1)
	s_or_b32 exec_lo, exec_lo, s1
.LBB229_20:
	v_mbcnt_lo_u32_b32 v26, -1, 0
	s_delay_alu instid0(VALU_DEP_1) | instskip(NEXT) | instid1(VALU_DEP_1)
	v_xor_b32_e32 v17, 4, v26
	v_cmp_gt_i32_e32 vcc_lo, 32, v17
	v_cndmask_b32_e32 v17, v26, v17, vcc_lo
	s_delay_alu instid0(VALU_DEP_1)
	v_lshlrev_b32_e32 v24, 2, v17
	ds_bpermute_b32 v17, v24, v15
	ds_bpermute_b32 v18, v24, v16
	;; [unrolled: 1-line block ×8, first 2 shown]
	s_waitcnt lgkmcnt(6)
	v_add_f64 v[15:16], v[15:16], v[17:18]
	s_waitcnt lgkmcnt(4)
	v_add_f64 v[17:18], v[9:10], v[19:20]
	v_xor_b32_e32 v9, 2, v26
	s_waitcnt lgkmcnt(2)
	v_add_f64 v[13:14], v[13:14], v[21:22]
	s_waitcnt lgkmcnt(0)
	v_add_f64 v[19:20], v[11:12], v[23:24]
	v_cmp_gt_i32_e32 vcc_lo, 32, v9
	v_cndmask_b32_e32 v9, v26, v9, vcc_lo
	s_delay_alu instid0(VALU_DEP_1)
	v_lshlrev_b32_e32 v24, 2, v9
	ds_bpermute_b32 v9, v24, v15
	ds_bpermute_b32 v10, v24, v16
	;; [unrolled: 1-line block ×8, first 2 shown]
	s_waitcnt lgkmcnt(6)
	v_add_f64 v[9:10], v[15:16], v[9:10]
	s_waitcnt lgkmcnt(4)
	v_add_f64 v[15:16], v[17:18], v[11:12]
	v_xor_b32_e32 v17, 1, v26
	s_waitcnt lgkmcnt(2)
	v_add_f64 v[11:12], v[13:14], v[21:22]
	s_waitcnt lgkmcnt(0)
	v_add_f64 v[13:14], v[19:20], v[23:24]
	v_cmp_gt_i32_e32 vcc_lo, 32, v17
	v_cndmask_b32_e32 v17, v26, v17, vcc_lo
	v_cmp_eq_u32_e32 vcc_lo, 7, v25
	s_delay_alu instid0(VALU_DEP_2)
	v_lshlrev_b32_e32 v20, 2, v17
	ds_bpermute_b32 v23, v20, v9
	ds_bpermute_b32 v24, v20, v10
	;; [unrolled: 1-line block ×8, first 2 shown]
	s_and_b32 exec_lo, exec_lo, vcc_lo
	s_cbranch_execz .LBB229_25
; %bb.21:
	v_cmp_eq_f64_e32 vcc_lo, 0, v[4:5]
	v_cmp_eq_f64_e64 s0, 0, v[6:7]
	s_waitcnt lgkmcnt(6)
	v_add_f64 v[9:10], v[9:10], v[23:24]
	s_waitcnt lgkmcnt(4)
	v_add_f64 v[15:16], v[15:16], v[21:22]
	;; [unrolled: 2-line block ×4, first 2 shown]
	s_load_b64 s[2:3], s[2:3], 0x48
	s_and_b32 s0, vcc_lo, s0
	s_delay_alu instid0(SALU_CYCLE_1) | instskip(NEXT) | instid1(SALU_CYCLE_1)
	s_and_saveexec_b32 s1, s0
	s_xor_b32 s0, exec_lo, s1
	s_cbranch_execz .LBB229_23
; %bb.22:
	s_delay_alu instid0(VALU_DEP_3) | instskip(SKIP_1) | instid1(VALU_DEP_3)
	v_mul_f64 v[4:5], v[15:16], -v[2:3]
	v_mul_f64 v[6:7], v[0:1], v[15:16]
	v_mul_f64 v[15:16], v[13:14], -v[2:3]
	v_mul_f64 v[13:14], v[0:1], v[13:14]
	v_lshlrev_b32_e32 v8, 1, v8
	v_fma_f64 v[4:5], v[0:1], v[9:10], v[4:5]
	v_fma_f64 v[6:7], v[2:3], v[9:10], v[6:7]
	;; [unrolled: 1-line block ×4, first 2 shown]
	v_ashrrev_i32_e32 v9, 31, v8
                                        ; implicit-def: $vgpr15_vgpr16
                                        ; implicit-def: $vgpr11_vgpr12
                                        ; implicit-def: $vgpr13_vgpr14
	s_delay_alu instid0(VALU_DEP_1) | instskip(SKIP_1) | instid1(VALU_DEP_1)
	v_lshlrev_b64 v[8:9], 4, v[8:9]
	s_waitcnt lgkmcnt(0)
	v_add_co_u32 v8, vcc_lo, s2, v8
	s_delay_alu instid0(VALU_DEP_2)
	v_add_co_ci_u32_e32 v9, vcc_lo, s3, v9, vcc_lo
	s_clause 0x1
	global_store_b128 v[8:9], v[4:7], off
	global_store_b128 v[8:9], v[0:3], off offset:16
                                        ; implicit-def: $vgpr0_vgpr1
                                        ; implicit-def: $vgpr2_vgpr3
                                        ; implicit-def: $vgpr4_vgpr5
                                        ; implicit-def: $vgpr6_vgpr7
                                        ; implicit-def: $vgpr8
                                        ; implicit-def: $vgpr9_vgpr10
.LBB229_23:
	s_and_not1_saveexec_b32 s0, s0
	s_cbranch_execz .LBB229_25
; %bb.24:
	v_lshlrev_b32_e32 v17, 1, v8
	s_delay_alu instid0(VALU_DEP_4) | instskip(SKIP_1) | instid1(VALU_DEP_4)
	v_mul_f64 v[27:28], v[15:16], -v[2:3]
	v_mul_f64 v[15:16], v[0:1], v[15:16]
	v_mul_f64 v[29:30], v[13:14], -v[2:3]
	v_mul_f64 v[13:14], v[0:1], v[13:14]
	v_ashrrev_i32_e32 v18, 31, v17
	s_delay_alu instid0(VALU_DEP_1) | instskip(SKIP_1) | instid1(VALU_DEP_1)
	v_lshlrev_b64 v[17:18], 4, v[17:18]
	s_waitcnt lgkmcnt(0)
	v_add_co_u32 v25, vcc_lo, s2, v17
	s_delay_alu instid0(VALU_DEP_2)
	v_add_co_ci_u32_e32 v26, vcc_lo, s3, v18, vcc_lo
	s_clause 0x1
	global_load_b128 v[17:20], v[25:26], off
	global_load_b128 v[21:24], v[25:26], off offset:16
	v_fma_f64 v[27:28], v[0:1], v[9:10], v[27:28]
	v_fma_f64 v[8:9], v[2:3], v[9:10], v[15:16]
	;; [unrolled: 1-line block ×4, first 2 shown]
	s_waitcnt vmcnt(1)
	s_delay_alu instid0(VALU_DEP_4) | instskip(NEXT) | instid1(VALU_DEP_4)
	v_fma_f64 v[10:11], v[4:5], v[17:18], v[27:28]
	v_fma_f64 v[8:9], v[6:7], v[17:18], v[8:9]
	s_waitcnt vmcnt(0)
	s_delay_alu instid0(VALU_DEP_4) | instskip(NEXT) | instid1(VALU_DEP_4)
	v_fma_f64 v[12:13], v[4:5], v[21:22], v[0:1]
	v_fma_f64 v[14:15], v[6:7], v[21:22], v[2:3]
	s_delay_alu instid0(VALU_DEP_4) | instskip(NEXT) | instid1(VALU_DEP_4)
	v_fma_f64 v[0:1], -v[6:7], v[19:20], v[10:11]
	v_fma_f64 v[2:3], v[4:5], v[19:20], v[8:9]
	s_delay_alu instid0(VALU_DEP_4) | instskip(NEXT) | instid1(VALU_DEP_4)
	v_fma_f64 v[6:7], -v[6:7], v[23:24], v[12:13]
	v_fma_f64 v[8:9], v[4:5], v[23:24], v[14:15]
	s_clause 0x1
	global_store_b128 v[25:26], v[0:3], off
	global_store_b128 v[25:26], v[6:9], off offset:16
.LBB229_25:
	s_nop 0
	s_sendmsg sendmsg(MSG_DEALLOC_VGPRS)
	s_endpgm
	.section	.rodata,"a",@progbits
	.p2align	6, 0x0
	.amdhsa_kernel _ZN9rocsparseL19gebsrmvn_2xn_kernelILj128ELj1ELj8E21rocsparse_complex_numIdEEEvi20rocsparse_direction_NS_24const_host_device_scalarIT2_EEPKiS8_PKS5_SA_S6_PS5_21rocsparse_index_base_b
		.amdhsa_group_segment_fixed_size 2048
		.amdhsa_private_segment_fixed_size 0
		.amdhsa_kernarg_size 88
		.amdhsa_user_sgpr_count 15
		.amdhsa_user_sgpr_dispatch_ptr 1
		.amdhsa_user_sgpr_queue_ptr 0
		.amdhsa_user_sgpr_kernarg_segment_ptr 1
		.amdhsa_user_sgpr_dispatch_id 0
		.amdhsa_user_sgpr_private_segment_size 0
		.amdhsa_wavefront_size32 1
		.amdhsa_uses_dynamic_stack 0
		.amdhsa_enable_private_segment 0
		.amdhsa_system_sgpr_workgroup_id_x 1
		.amdhsa_system_sgpr_workgroup_id_y 0
		.amdhsa_system_sgpr_workgroup_id_z 0
		.amdhsa_system_sgpr_workgroup_info 0
		.amdhsa_system_vgpr_workitem_id 2
		.amdhsa_next_free_vgpr 38
		.amdhsa_next_free_sgpr 18
		.amdhsa_reserve_vcc 1
		.amdhsa_float_round_mode_32 0
		.amdhsa_float_round_mode_16_64 0
		.amdhsa_float_denorm_mode_32 3
		.amdhsa_float_denorm_mode_16_64 3
		.amdhsa_dx10_clamp 1
		.amdhsa_ieee_mode 1
		.amdhsa_fp16_overflow 0
		.amdhsa_workgroup_processor_mode 1
		.amdhsa_memory_ordered 1
		.amdhsa_forward_progress 0
		.amdhsa_shared_vgpr_count 0
		.amdhsa_exception_fp_ieee_invalid_op 0
		.amdhsa_exception_fp_denorm_src 0
		.amdhsa_exception_fp_ieee_div_zero 0
		.amdhsa_exception_fp_ieee_overflow 0
		.amdhsa_exception_fp_ieee_underflow 0
		.amdhsa_exception_fp_ieee_inexact 0
		.amdhsa_exception_int_div_zero 0
	.end_amdhsa_kernel
	.section	.text._ZN9rocsparseL19gebsrmvn_2xn_kernelILj128ELj1ELj8E21rocsparse_complex_numIdEEEvi20rocsparse_direction_NS_24const_host_device_scalarIT2_EEPKiS8_PKS5_SA_S6_PS5_21rocsparse_index_base_b,"axG",@progbits,_ZN9rocsparseL19gebsrmvn_2xn_kernelILj128ELj1ELj8E21rocsparse_complex_numIdEEEvi20rocsparse_direction_NS_24const_host_device_scalarIT2_EEPKiS8_PKS5_SA_S6_PS5_21rocsparse_index_base_b,comdat
.Lfunc_end229:
	.size	_ZN9rocsparseL19gebsrmvn_2xn_kernelILj128ELj1ELj8E21rocsparse_complex_numIdEEEvi20rocsparse_direction_NS_24const_host_device_scalarIT2_EEPKiS8_PKS5_SA_S6_PS5_21rocsparse_index_base_b, .Lfunc_end229-_ZN9rocsparseL19gebsrmvn_2xn_kernelILj128ELj1ELj8E21rocsparse_complex_numIdEEEvi20rocsparse_direction_NS_24const_host_device_scalarIT2_EEPKiS8_PKS5_SA_S6_PS5_21rocsparse_index_base_b
                                        ; -- End function
	.section	.AMDGPU.csdata,"",@progbits
; Kernel info:
; codeLenInByte = 1996
; NumSgprs: 20
; NumVgprs: 38
; ScratchSize: 0
; MemoryBound: 0
; FloatMode: 240
; IeeeMode: 1
; LDSByteSize: 2048 bytes/workgroup (compile time only)
; SGPRBlocks: 2
; VGPRBlocks: 4
; NumSGPRsForWavesPerEU: 20
; NumVGPRsForWavesPerEU: 38
; Occupancy: 16
; WaveLimiterHint : 1
; COMPUTE_PGM_RSRC2:SCRATCH_EN: 0
; COMPUTE_PGM_RSRC2:USER_SGPR: 15
; COMPUTE_PGM_RSRC2:TRAP_HANDLER: 0
; COMPUTE_PGM_RSRC2:TGID_X_EN: 1
; COMPUTE_PGM_RSRC2:TGID_Y_EN: 0
; COMPUTE_PGM_RSRC2:TGID_Z_EN: 0
; COMPUTE_PGM_RSRC2:TIDIG_COMP_CNT: 2
	.section	.text._ZN9rocsparseL19gebsrmvn_2xn_kernelILj128ELj1ELj16E21rocsparse_complex_numIdEEEvi20rocsparse_direction_NS_24const_host_device_scalarIT2_EEPKiS8_PKS5_SA_S6_PS5_21rocsparse_index_base_b,"axG",@progbits,_ZN9rocsparseL19gebsrmvn_2xn_kernelILj128ELj1ELj16E21rocsparse_complex_numIdEEEvi20rocsparse_direction_NS_24const_host_device_scalarIT2_EEPKiS8_PKS5_SA_S6_PS5_21rocsparse_index_base_b,comdat
	.globl	_ZN9rocsparseL19gebsrmvn_2xn_kernelILj128ELj1ELj16E21rocsparse_complex_numIdEEEvi20rocsparse_direction_NS_24const_host_device_scalarIT2_EEPKiS8_PKS5_SA_S6_PS5_21rocsparse_index_base_b ; -- Begin function _ZN9rocsparseL19gebsrmvn_2xn_kernelILj128ELj1ELj16E21rocsparse_complex_numIdEEEvi20rocsparse_direction_NS_24const_host_device_scalarIT2_EEPKiS8_PKS5_SA_S6_PS5_21rocsparse_index_base_b
	.p2align	8
	.type	_ZN9rocsparseL19gebsrmvn_2xn_kernelILj128ELj1ELj16E21rocsparse_complex_numIdEEEvi20rocsparse_direction_NS_24const_host_device_scalarIT2_EEPKiS8_PKS5_SA_S6_PS5_21rocsparse_index_base_b,@function
_ZN9rocsparseL19gebsrmvn_2xn_kernelILj128ELj1ELj16E21rocsparse_complex_numIdEEEvi20rocsparse_direction_NS_24const_host_device_scalarIT2_EEPKiS8_PKS5_SA_S6_PS5_21rocsparse_index_base_b: ; @_ZN9rocsparseL19gebsrmvn_2xn_kernelILj128ELj1ELj16E21rocsparse_complex_numIdEEEvi20rocsparse_direction_NS_24const_host_device_scalarIT2_EEPKiS8_PKS5_SA_S6_PS5_21rocsparse_index_base_b
; %bb.0:
	s_load_b64 s[12:13], s[2:3], 0x50
	s_load_b64 s[16:17], s[0:1], 0x4
	s_load_b128 s[8:11], s[2:3], 0x8
	v_bfe_u32 v1, v0, 10, 10
	s_mov_b64 s[0:1], src_shared_base
	s_load_b128 s[4:7], s[2:3], 0x38
	v_and_b32_e32 v10, 0x3ff, v0
	v_bfe_u32 v0, v0, 20, 10
	s_waitcnt lgkmcnt(0)
	s_bitcmp1_b32 s13, 0
	v_mul_u32_u24_e32 v1, s17, v1
	s_cselect_b32 s0, -1, 0
	s_delay_alu instid0(SALU_CYCLE_1)
	s_and_b32 vcc_lo, s0, exec_lo
	s_cselect_b32 s13, s1, s9
	s_lshr_b32 s14, s16, 16
	v_dual_mov_b32 v2, s4 :: v_dual_mov_b32 v3, s5
	s_mul_i32 s14, s14, s17
	v_mov_b32_e32 v6, s13
	v_mad_u32_u24 v1, s14, v10, v1
	s_delay_alu instid0(VALU_DEP_1) | instskip(SKIP_1) | instid1(VALU_DEP_2)
	v_add_lshl_u32 v4, v1, v0, 3
	v_dual_mov_b32 v0, s8 :: v_dual_mov_b32 v1, s9
	v_add_nc_u32_e32 v5, 0x400, v4
	ds_store_2addr_stride64_b64 v4, v[2:3], v[0:1] offset1:2
	v_dual_mov_b32 v2, s10 :: v_dual_mov_b32 v3, s11
	v_cndmask_b32_e64 v5, s8, v5, s0
	s_xor_b32 s10, s0, -1
	flat_load_b64 v[0:1], v[5:6]
	s_cbranch_vccnz .LBB230_2
; %bb.1:
	v_dual_mov_b32 v2, s8 :: v_dual_mov_b32 v3, s9
	flat_load_b64 v[2:3], v[2:3] offset:8
.LBB230_2:
	s_and_b32 s8, s0, exec_lo
	s_cselect_b32 s1, s1, s5
	v_cndmask_b32_e64 v4, s4, v4, s0
	v_dual_mov_b32 v5, s1 :: v_dual_mov_b32 v6, s6
	v_mov_b32_e32 v7, s7
	s_and_not1_b32 vcc_lo, exec_lo, s10
	flat_load_b64 v[4:5], v[4:5]
	s_cbranch_vccnz .LBB230_4
; %bb.3:
	v_dual_mov_b32 v7, s5 :: v_dual_mov_b32 v6, s4
	flat_load_b64 v[6:7], v[6:7] offset:8
.LBB230_4:
	s_waitcnt vmcnt(1) lgkmcnt(1)
	v_cmp_eq_f64_e32 vcc_lo, 0, v[0:1]
	v_cmp_eq_f64_e64 s0, 0, v[2:3]
	s_delay_alu instid0(VALU_DEP_1)
	s_and_b32 s4, vcc_lo, s0
	s_mov_b32 s0, -1
	s_and_saveexec_b32 s1, s4
	s_cbranch_execz .LBB230_6
; %bb.5:
	s_waitcnt vmcnt(0) lgkmcnt(0)
	v_cmp_neq_f64_e32 vcc_lo, 1.0, v[4:5]
	v_cmp_neq_f64_e64 s0, 0, v[6:7]
	s_delay_alu instid0(VALU_DEP_1) | instskip(NEXT) | instid1(SALU_CYCLE_1)
	s_or_b32 s0, vcc_lo, s0
	s_or_not1_b32 s0, s0, exec_lo
.LBB230_6:
	s_or_b32 exec_lo, exec_lo, s1
	s_and_saveexec_b32 s1, s0
	s_cbranch_execz .LBB230_25
; %bb.7:
	s_load_b64 s[0:1], s[2:3], 0x0
	v_lshrrev_b32_e32 v8, 4, v10
	s_delay_alu instid0(VALU_DEP_1) | instskip(SKIP_1) | instid1(VALU_DEP_1)
	v_lshl_or_b32 v8, s15, 3, v8
	s_waitcnt lgkmcnt(0)
	v_cmp_gt_i32_e32 vcc_lo, s0, v8
	s_and_b32 exec_lo, exec_lo, vcc_lo
	s_cbranch_execz .LBB230_25
; %bb.8:
	s_load_b256 s[4:11], s[2:3], 0x18
	v_ashrrev_i32_e32 v9, 31, v8
	v_and_b32_e32 v25, 15, v10
	s_cmp_lg_u32 s1, 0
	s_delay_alu instid0(VALU_DEP_2) | instskip(SKIP_1) | instid1(VALU_DEP_1)
	v_lshlrev_b64 v[11:12], 2, v[8:9]
	s_waitcnt lgkmcnt(0)
	v_add_co_u32 v11, vcc_lo, s4, v11
	s_delay_alu instid0(VALU_DEP_2) | instskip(SKIP_4) | instid1(VALU_DEP_2)
	v_add_co_ci_u32_e32 v12, vcc_lo, s5, v12, vcc_lo
	global_load_b64 v[11:12], v[11:12], off
	s_waitcnt vmcnt(0)
	v_subrev_nc_u32_e32 v9, s12, v11
	v_subrev_nc_u32_e32 v22, s12, v12
	v_add_nc_u32_e32 v17, v9, v25
	s_delay_alu instid0(VALU_DEP_1)
	v_cmp_lt_i32_e64 s0, v17, v22
	s_cbranch_scc0 .LBB230_14
; %bb.9:
	v_mov_b32_e32 v9, 0
	v_mov_b32_e32 v10, 0
	s_delay_alu instid0(VALU_DEP_1)
	v_dual_mov_b32 v16, v10 :: v_dual_mov_b32 v15, v9
	v_dual_mov_b32 v14, v10 :: v_dual_mov_b32 v13, v9
	;; [unrolled: 1-line block ×3, first 2 shown]
	s_and_saveexec_b32 s1, s0
	s_cbranch_execz .LBB230_13
; %bb.10:
	v_dual_mov_b32 v9, 0 :: v_dual_lshlrev_b32 v18, 1, v17
	v_dual_mov_b32 v10, 0 :: v_dual_mov_b32 v19, 0
	v_mov_b32_e32 v20, v17
	s_mov_b32 s4, 0
	s_delay_alu instid0(VALU_DEP_2)
	v_dual_mov_b32 v16, v10 :: v_dual_mov_b32 v15, v9
	v_dual_mov_b32 v14, v10 :: v_dual_mov_b32 v13, v9
	;; [unrolled: 1-line block ×3, first 2 shown]
	s_set_inst_prefetch_distance 0x1
	.p2align	6
.LBB230_11:                             ; =>This Inner Loop Header: Depth=1
	v_ashrrev_i32_e32 v21, 31, v20
	v_mov_b32_e32 v31, v19
	s_delay_alu instid0(VALU_DEP_2) | instskip(SKIP_1) | instid1(VALU_DEP_2)
	v_lshlrev_b64 v[23:24], 2, v[20:21]
	v_add_nc_u32_e32 v20, 16, v20
	v_add_co_u32 v23, vcc_lo, s6, v23
	s_delay_alu instid0(VALU_DEP_3) | instskip(SKIP_3) | instid1(VALU_DEP_2)
	v_add_co_ci_u32_e32 v24, vcc_lo, s7, v24, vcc_lo
	global_load_b32 v21, v[23:24], off
	v_lshlrev_b64 v[23:24], 4, v[18:19]
	v_add_nc_u32_e32 v18, 32, v18
	v_add_co_u32 v23, vcc_lo, s8, v23
	s_delay_alu instid0(VALU_DEP_3) | instskip(SKIP_3) | instid1(VALU_DEP_1)
	v_add_co_ci_u32_e32 v24, vcc_lo, s9, v24, vcc_lo
	global_load_b128 v[26:29], v[23:24], off offset:16
	s_waitcnt vmcnt(1)
	v_subrev_nc_u32_e32 v30, s12, v21
	v_lshlrev_b64 v[30:31], 4, v[30:31]
	s_delay_alu instid0(VALU_DEP_1) | instskip(NEXT) | instid1(VALU_DEP_2)
	v_add_co_u32 v34, vcc_lo, s10, v30
	v_add_co_ci_u32_e32 v35, vcc_lo, s11, v31, vcc_lo
	v_cmp_ge_i32_e32 vcc_lo, v20, v22
	global_load_b128 v[30:33], v[23:24], off
	global_load_b128 v[34:37], v[34:35], off
	s_or_b32 s4, vcc_lo, s4
	s_waitcnt vmcnt(0)
	v_fma_f64 v[15:16], v[30:31], v[34:35], v[15:16]
	v_fma_f64 v[9:10], v[32:33], v[34:35], v[9:10]
	;; [unrolled: 1-line block ×4, first 2 shown]
	s_delay_alu instid0(VALU_DEP_4) | instskip(NEXT) | instid1(VALU_DEP_4)
	v_fma_f64 v[15:16], -v[32:33], v[36:37], v[15:16]
	v_fma_f64 v[9:10], v[30:31], v[36:37], v[9:10]
	s_delay_alu instid0(VALU_DEP_4) | instskip(NEXT) | instid1(VALU_DEP_4)
	v_fma_f64 v[13:14], -v[28:29], v[36:37], v[13:14]
	v_fma_f64 v[11:12], v[26:27], v[36:37], v[11:12]
	s_and_not1_b32 exec_lo, exec_lo, s4
	s_cbranch_execnz .LBB230_11
; %bb.12:
	s_set_inst_prefetch_distance 0x2
	s_or_b32 exec_lo, exec_lo, s4
.LBB230_13:
	s_delay_alu instid0(SALU_CYCLE_1)
	s_or_b32 exec_lo, exec_lo, s1
	s_cbranch_execz .LBB230_15
	s_branch .LBB230_20
.LBB230_14:
                                        ; implicit-def: $vgpr9_vgpr10
                                        ; implicit-def: $vgpr15_vgpr16
                                        ; implicit-def: $vgpr13_vgpr14
                                        ; implicit-def: $vgpr11_vgpr12
.LBB230_15:
	v_mov_b32_e32 v9, 0
	v_mov_b32_e32 v10, 0
	s_delay_alu instid0(VALU_DEP_1)
	v_dual_mov_b32 v16, v10 :: v_dual_mov_b32 v15, v9
	v_dual_mov_b32 v14, v10 :: v_dual_mov_b32 v13, v9
	v_dual_mov_b32 v12, v10 :: v_dual_mov_b32 v11, v9
	s_and_saveexec_b32 s1, s0
	s_cbranch_execz .LBB230_19
; %bb.16:
	v_dual_mov_b32 v9, 0 :: v_dual_mov_b32 v20, 0
	v_dual_mov_b32 v10, 0 :: v_dual_lshlrev_b32 v19, 1, v17
	s_mov_b32 s0, 0
	s_delay_alu instid0(VALU_DEP_1)
	v_dual_mov_b32 v16, v10 :: v_dual_mov_b32 v15, v9
	v_dual_mov_b32 v14, v10 :: v_dual_mov_b32 v13, v9
	;; [unrolled: 1-line block ×3, first 2 shown]
	s_set_inst_prefetch_distance 0x1
	.p2align	6
.LBB230_17:                             ; =>This Inner Loop Header: Depth=1
	v_ashrrev_i32_e32 v18, 31, v17
	v_mov_b32_e32 v31, v20
	s_delay_alu instid0(VALU_DEP_2) | instskip(SKIP_1) | instid1(VALU_DEP_2)
	v_lshlrev_b64 v[23:24], 2, v[17:18]
	v_add_nc_u32_e32 v17, 16, v17
	v_add_co_u32 v23, vcc_lo, s6, v23
	s_delay_alu instid0(VALU_DEP_3) | instskip(SKIP_3) | instid1(VALU_DEP_2)
	v_add_co_ci_u32_e32 v24, vcc_lo, s7, v24, vcc_lo
	global_load_b32 v18, v[23:24], off
	v_lshlrev_b64 v[23:24], 4, v[19:20]
	v_add_nc_u32_e32 v19, 32, v19
	v_add_co_u32 v23, vcc_lo, s8, v23
	s_delay_alu instid0(VALU_DEP_3) | instskip(SKIP_3) | instid1(VALU_DEP_1)
	v_add_co_ci_u32_e32 v24, vcc_lo, s9, v24, vcc_lo
	global_load_b128 v[26:29], v[23:24], off offset:16
	s_waitcnt vmcnt(1)
	v_subrev_nc_u32_e32 v30, s12, v18
	v_lshlrev_b64 v[30:31], 4, v[30:31]
	s_delay_alu instid0(VALU_DEP_1) | instskip(NEXT) | instid1(VALU_DEP_2)
	v_add_co_u32 v34, vcc_lo, s10, v30
	v_add_co_ci_u32_e32 v35, vcc_lo, s11, v31, vcc_lo
	v_cmp_ge_i32_e32 vcc_lo, v17, v22
	global_load_b128 v[30:33], v[23:24], off
	global_load_b128 v[34:37], v[34:35], off
	s_or_b32 s0, vcc_lo, s0
	s_waitcnt vmcnt(0)
	v_fma_f64 v[15:16], v[30:31], v[34:35], v[15:16]
	v_fma_f64 v[9:10], v[32:33], v[34:35], v[9:10]
	;; [unrolled: 1-line block ×4, first 2 shown]
	s_delay_alu instid0(VALU_DEP_4) | instskip(NEXT) | instid1(VALU_DEP_4)
	v_fma_f64 v[15:16], -v[32:33], v[36:37], v[15:16]
	v_fma_f64 v[9:10], v[30:31], v[36:37], v[9:10]
	s_delay_alu instid0(VALU_DEP_4) | instskip(NEXT) | instid1(VALU_DEP_4)
	v_fma_f64 v[13:14], -v[28:29], v[36:37], v[13:14]
	v_fma_f64 v[11:12], v[26:27], v[36:37], v[11:12]
	s_and_not1_b32 exec_lo, exec_lo, s0
	s_cbranch_execnz .LBB230_17
; %bb.18:
	s_set_inst_prefetch_distance 0x2
	s_or_b32 exec_lo, exec_lo, s0
.LBB230_19:
	s_delay_alu instid0(SALU_CYCLE_1)
	s_or_b32 exec_lo, exec_lo, s1
.LBB230_20:
	v_mbcnt_lo_u32_b32 v26, -1, 0
	s_delay_alu instid0(VALU_DEP_1) | instskip(NEXT) | instid1(VALU_DEP_1)
	v_xor_b32_e32 v17, 8, v26
	v_cmp_gt_i32_e32 vcc_lo, 32, v17
	v_cndmask_b32_e32 v17, v26, v17, vcc_lo
	s_delay_alu instid0(VALU_DEP_1)
	v_lshlrev_b32_e32 v24, 2, v17
	ds_bpermute_b32 v17, v24, v15
	ds_bpermute_b32 v18, v24, v16
	;; [unrolled: 1-line block ×8, first 2 shown]
	s_waitcnt lgkmcnt(6)
	v_add_f64 v[15:16], v[15:16], v[17:18]
	v_xor_b32_e32 v17, 4, v26
	s_waitcnt lgkmcnt(4)
	v_add_f64 v[9:10], v[9:10], v[19:20]
	s_waitcnt lgkmcnt(2)
	v_add_f64 v[13:14], v[13:14], v[21:22]
	;; [unrolled: 2-line block ×3, first 2 shown]
	v_cmp_gt_i32_e32 vcc_lo, 32, v17
	v_cndmask_b32_e32 v17, v26, v17, vcc_lo
	s_delay_alu instid0(VALU_DEP_1)
	v_lshlrev_b32_e32 v24, 2, v17
	ds_bpermute_b32 v17, v24, v15
	ds_bpermute_b32 v18, v24, v16
	;; [unrolled: 1-line block ×8, first 2 shown]
	s_waitcnt lgkmcnt(6)
	v_add_f64 v[15:16], v[15:16], v[17:18]
	s_waitcnt lgkmcnt(4)
	v_add_f64 v[17:18], v[9:10], v[19:20]
	v_xor_b32_e32 v9, 2, v26
	s_waitcnt lgkmcnt(2)
	v_add_f64 v[13:14], v[13:14], v[21:22]
	s_waitcnt lgkmcnt(0)
	v_add_f64 v[19:20], v[11:12], v[23:24]
	v_cmp_gt_i32_e32 vcc_lo, 32, v9
	v_cndmask_b32_e32 v9, v26, v9, vcc_lo
	s_delay_alu instid0(VALU_DEP_1)
	v_lshlrev_b32_e32 v24, 2, v9
	ds_bpermute_b32 v9, v24, v15
	ds_bpermute_b32 v10, v24, v16
	;; [unrolled: 1-line block ×8, first 2 shown]
	s_waitcnt lgkmcnt(6)
	v_add_f64 v[9:10], v[15:16], v[9:10]
	s_waitcnt lgkmcnt(4)
	v_add_f64 v[15:16], v[17:18], v[11:12]
	v_xor_b32_e32 v17, 1, v26
	s_waitcnt lgkmcnt(2)
	v_add_f64 v[11:12], v[13:14], v[21:22]
	s_waitcnt lgkmcnt(0)
	v_add_f64 v[13:14], v[19:20], v[23:24]
	v_cmp_gt_i32_e32 vcc_lo, 32, v17
	v_cndmask_b32_e32 v17, v26, v17, vcc_lo
	v_cmp_eq_u32_e32 vcc_lo, 15, v25
	s_delay_alu instid0(VALU_DEP_2)
	v_lshlrev_b32_e32 v20, 2, v17
	ds_bpermute_b32 v23, v20, v9
	ds_bpermute_b32 v24, v20, v10
	;; [unrolled: 1-line block ×8, first 2 shown]
	s_and_b32 exec_lo, exec_lo, vcc_lo
	s_cbranch_execz .LBB230_25
; %bb.21:
	v_cmp_eq_f64_e32 vcc_lo, 0, v[4:5]
	v_cmp_eq_f64_e64 s0, 0, v[6:7]
	s_waitcnt lgkmcnt(6)
	v_add_f64 v[9:10], v[9:10], v[23:24]
	s_waitcnt lgkmcnt(4)
	v_add_f64 v[15:16], v[15:16], v[21:22]
	;; [unrolled: 2-line block ×4, first 2 shown]
	s_load_b64 s[2:3], s[2:3], 0x48
	s_and_b32 s0, vcc_lo, s0
	s_delay_alu instid0(SALU_CYCLE_1) | instskip(NEXT) | instid1(SALU_CYCLE_1)
	s_and_saveexec_b32 s1, s0
	s_xor_b32 s0, exec_lo, s1
	s_cbranch_execz .LBB230_23
; %bb.22:
	s_delay_alu instid0(VALU_DEP_3) | instskip(SKIP_1) | instid1(VALU_DEP_3)
	v_mul_f64 v[4:5], v[15:16], -v[2:3]
	v_mul_f64 v[6:7], v[0:1], v[15:16]
	v_mul_f64 v[15:16], v[13:14], -v[2:3]
	v_mul_f64 v[13:14], v[0:1], v[13:14]
	v_lshlrev_b32_e32 v8, 1, v8
	v_fma_f64 v[4:5], v[0:1], v[9:10], v[4:5]
	v_fma_f64 v[6:7], v[2:3], v[9:10], v[6:7]
	;; [unrolled: 1-line block ×4, first 2 shown]
	v_ashrrev_i32_e32 v9, 31, v8
                                        ; implicit-def: $vgpr15_vgpr16
                                        ; implicit-def: $vgpr11_vgpr12
                                        ; implicit-def: $vgpr13_vgpr14
	s_delay_alu instid0(VALU_DEP_1) | instskip(SKIP_1) | instid1(VALU_DEP_1)
	v_lshlrev_b64 v[8:9], 4, v[8:9]
	s_waitcnt lgkmcnt(0)
	v_add_co_u32 v8, vcc_lo, s2, v8
	s_delay_alu instid0(VALU_DEP_2)
	v_add_co_ci_u32_e32 v9, vcc_lo, s3, v9, vcc_lo
	s_clause 0x1
	global_store_b128 v[8:9], v[4:7], off
	global_store_b128 v[8:9], v[0:3], off offset:16
                                        ; implicit-def: $vgpr0_vgpr1
                                        ; implicit-def: $vgpr2_vgpr3
                                        ; implicit-def: $vgpr4_vgpr5
                                        ; implicit-def: $vgpr6_vgpr7
                                        ; implicit-def: $vgpr8
                                        ; implicit-def: $vgpr9_vgpr10
.LBB230_23:
	s_and_not1_saveexec_b32 s0, s0
	s_cbranch_execz .LBB230_25
; %bb.24:
	v_lshlrev_b32_e32 v17, 1, v8
	s_delay_alu instid0(VALU_DEP_4) | instskip(SKIP_1) | instid1(VALU_DEP_4)
	v_mul_f64 v[27:28], v[15:16], -v[2:3]
	v_mul_f64 v[15:16], v[0:1], v[15:16]
	v_mul_f64 v[29:30], v[13:14], -v[2:3]
	v_mul_f64 v[13:14], v[0:1], v[13:14]
	v_ashrrev_i32_e32 v18, 31, v17
	s_delay_alu instid0(VALU_DEP_1) | instskip(SKIP_1) | instid1(VALU_DEP_1)
	v_lshlrev_b64 v[17:18], 4, v[17:18]
	s_waitcnt lgkmcnt(0)
	v_add_co_u32 v25, vcc_lo, s2, v17
	s_delay_alu instid0(VALU_DEP_2)
	v_add_co_ci_u32_e32 v26, vcc_lo, s3, v18, vcc_lo
	s_clause 0x1
	global_load_b128 v[17:20], v[25:26], off
	global_load_b128 v[21:24], v[25:26], off offset:16
	v_fma_f64 v[27:28], v[0:1], v[9:10], v[27:28]
	v_fma_f64 v[8:9], v[2:3], v[9:10], v[15:16]
	;; [unrolled: 1-line block ×4, first 2 shown]
	s_waitcnt vmcnt(1)
	s_delay_alu instid0(VALU_DEP_4) | instskip(NEXT) | instid1(VALU_DEP_4)
	v_fma_f64 v[10:11], v[4:5], v[17:18], v[27:28]
	v_fma_f64 v[8:9], v[6:7], v[17:18], v[8:9]
	s_waitcnt vmcnt(0)
	s_delay_alu instid0(VALU_DEP_4) | instskip(NEXT) | instid1(VALU_DEP_4)
	v_fma_f64 v[12:13], v[4:5], v[21:22], v[0:1]
	v_fma_f64 v[14:15], v[6:7], v[21:22], v[2:3]
	s_delay_alu instid0(VALU_DEP_4) | instskip(NEXT) | instid1(VALU_DEP_4)
	v_fma_f64 v[0:1], -v[6:7], v[19:20], v[10:11]
	v_fma_f64 v[2:3], v[4:5], v[19:20], v[8:9]
	s_delay_alu instid0(VALU_DEP_4) | instskip(NEXT) | instid1(VALU_DEP_4)
	v_fma_f64 v[6:7], -v[6:7], v[23:24], v[12:13]
	v_fma_f64 v[8:9], v[4:5], v[23:24], v[14:15]
	s_clause 0x1
	global_store_b128 v[25:26], v[0:3], off
	global_store_b128 v[25:26], v[6:9], off offset:16
.LBB230_25:
	s_nop 0
	s_sendmsg sendmsg(MSG_DEALLOC_VGPRS)
	s_endpgm
	.section	.rodata,"a",@progbits
	.p2align	6, 0x0
	.amdhsa_kernel _ZN9rocsparseL19gebsrmvn_2xn_kernelILj128ELj1ELj16E21rocsparse_complex_numIdEEEvi20rocsparse_direction_NS_24const_host_device_scalarIT2_EEPKiS8_PKS5_SA_S6_PS5_21rocsparse_index_base_b
		.amdhsa_group_segment_fixed_size 2048
		.amdhsa_private_segment_fixed_size 0
		.amdhsa_kernarg_size 88
		.amdhsa_user_sgpr_count 15
		.amdhsa_user_sgpr_dispatch_ptr 1
		.amdhsa_user_sgpr_queue_ptr 0
		.amdhsa_user_sgpr_kernarg_segment_ptr 1
		.amdhsa_user_sgpr_dispatch_id 0
		.amdhsa_user_sgpr_private_segment_size 0
		.amdhsa_wavefront_size32 1
		.amdhsa_uses_dynamic_stack 0
		.amdhsa_enable_private_segment 0
		.amdhsa_system_sgpr_workgroup_id_x 1
		.amdhsa_system_sgpr_workgroup_id_y 0
		.amdhsa_system_sgpr_workgroup_id_z 0
		.amdhsa_system_sgpr_workgroup_info 0
		.amdhsa_system_vgpr_workitem_id 2
		.amdhsa_next_free_vgpr 38
		.amdhsa_next_free_sgpr 18
		.amdhsa_reserve_vcc 1
		.amdhsa_float_round_mode_32 0
		.amdhsa_float_round_mode_16_64 0
		.amdhsa_float_denorm_mode_32 3
		.amdhsa_float_denorm_mode_16_64 3
		.amdhsa_dx10_clamp 1
		.amdhsa_ieee_mode 1
		.amdhsa_fp16_overflow 0
		.amdhsa_workgroup_processor_mode 1
		.amdhsa_memory_ordered 1
		.amdhsa_forward_progress 0
		.amdhsa_shared_vgpr_count 0
		.amdhsa_exception_fp_ieee_invalid_op 0
		.amdhsa_exception_fp_denorm_src 0
		.amdhsa_exception_fp_ieee_div_zero 0
		.amdhsa_exception_fp_ieee_overflow 0
		.amdhsa_exception_fp_ieee_underflow 0
		.amdhsa_exception_fp_ieee_inexact 0
		.amdhsa_exception_int_div_zero 0
	.end_amdhsa_kernel
	.section	.text._ZN9rocsparseL19gebsrmvn_2xn_kernelILj128ELj1ELj16E21rocsparse_complex_numIdEEEvi20rocsparse_direction_NS_24const_host_device_scalarIT2_EEPKiS8_PKS5_SA_S6_PS5_21rocsparse_index_base_b,"axG",@progbits,_ZN9rocsparseL19gebsrmvn_2xn_kernelILj128ELj1ELj16E21rocsparse_complex_numIdEEEvi20rocsparse_direction_NS_24const_host_device_scalarIT2_EEPKiS8_PKS5_SA_S6_PS5_21rocsparse_index_base_b,comdat
.Lfunc_end230:
	.size	_ZN9rocsparseL19gebsrmvn_2xn_kernelILj128ELj1ELj16E21rocsparse_complex_numIdEEEvi20rocsparse_direction_NS_24const_host_device_scalarIT2_EEPKiS8_PKS5_SA_S6_PS5_21rocsparse_index_base_b, .Lfunc_end230-_ZN9rocsparseL19gebsrmvn_2xn_kernelILj128ELj1ELj16E21rocsparse_complex_numIdEEEvi20rocsparse_direction_NS_24const_host_device_scalarIT2_EEPKiS8_PKS5_SA_S6_PS5_21rocsparse_index_base_b
                                        ; -- End function
	.section	.AMDGPU.csdata,"",@progbits
; Kernel info:
; codeLenInByte = 2128
; NumSgprs: 20
; NumVgprs: 38
; ScratchSize: 0
; MemoryBound: 0
; FloatMode: 240
; IeeeMode: 1
; LDSByteSize: 2048 bytes/workgroup (compile time only)
; SGPRBlocks: 2
; VGPRBlocks: 4
; NumSGPRsForWavesPerEU: 20
; NumVGPRsForWavesPerEU: 38
; Occupancy: 16
; WaveLimiterHint : 1
; COMPUTE_PGM_RSRC2:SCRATCH_EN: 0
; COMPUTE_PGM_RSRC2:USER_SGPR: 15
; COMPUTE_PGM_RSRC2:TRAP_HANDLER: 0
; COMPUTE_PGM_RSRC2:TGID_X_EN: 1
; COMPUTE_PGM_RSRC2:TGID_Y_EN: 0
; COMPUTE_PGM_RSRC2:TGID_Z_EN: 0
; COMPUTE_PGM_RSRC2:TIDIG_COMP_CNT: 2
	.section	.text._ZN9rocsparseL19gebsrmvn_2xn_kernelILj128ELj1ELj32E21rocsparse_complex_numIdEEEvi20rocsparse_direction_NS_24const_host_device_scalarIT2_EEPKiS8_PKS5_SA_S6_PS5_21rocsparse_index_base_b,"axG",@progbits,_ZN9rocsparseL19gebsrmvn_2xn_kernelILj128ELj1ELj32E21rocsparse_complex_numIdEEEvi20rocsparse_direction_NS_24const_host_device_scalarIT2_EEPKiS8_PKS5_SA_S6_PS5_21rocsparse_index_base_b,comdat
	.globl	_ZN9rocsparseL19gebsrmvn_2xn_kernelILj128ELj1ELj32E21rocsparse_complex_numIdEEEvi20rocsparse_direction_NS_24const_host_device_scalarIT2_EEPKiS8_PKS5_SA_S6_PS5_21rocsparse_index_base_b ; -- Begin function _ZN9rocsparseL19gebsrmvn_2xn_kernelILj128ELj1ELj32E21rocsparse_complex_numIdEEEvi20rocsparse_direction_NS_24const_host_device_scalarIT2_EEPKiS8_PKS5_SA_S6_PS5_21rocsparse_index_base_b
	.p2align	8
	.type	_ZN9rocsparseL19gebsrmvn_2xn_kernelILj128ELj1ELj32E21rocsparse_complex_numIdEEEvi20rocsparse_direction_NS_24const_host_device_scalarIT2_EEPKiS8_PKS5_SA_S6_PS5_21rocsparse_index_base_b,@function
_ZN9rocsparseL19gebsrmvn_2xn_kernelILj128ELj1ELj32E21rocsparse_complex_numIdEEEvi20rocsparse_direction_NS_24const_host_device_scalarIT2_EEPKiS8_PKS5_SA_S6_PS5_21rocsparse_index_base_b: ; @_ZN9rocsparseL19gebsrmvn_2xn_kernelILj128ELj1ELj32E21rocsparse_complex_numIdEEEvi20rocsparse_direction_NS_24const_host_device_scalarIT2_EEPKiS8_PKS5_SA_S6_PS5_21rocsparse_index_base_b
; %bb.0:
	s_load_b64 s[12:13], s[2:3], 0x50
	s_load_b64 s[16:17], s[0:1], 0x4
	s_load_b128 s[8:11], s[2:3], 0x8
	v_bfe_u32 v1, v0, 10, 10
	s_mov_b64 s[0:1], src_shared_base
	s_load_b128 s[4:7], s[2:3], 0x38
	v_and_b32_e32 v10, 0x3ff, v0
	v_bfe_u32 v0, v0, 20, 10
	s_waitcnt lgkmcnt(0)
	s_bitcmp1_b32 s13, 0
	v_mul_u32_u24_e32 v1, s17, v1
	s_cselect_b32 s0, -1, 0
	s_delay_alu instid0(SALU_CYCLE_1)
	s_and_b32 vcc_lo, s0, exec_lo
	s_cselect_b32 s13, s1, s9
	s_lshr_b32 s14, s16, 16
	v_dual_mov_b32 v2, s4 :: v_dual_mov_b32 v3, s5
	s_mul_i32 s14, s14, s17
	v_mov_b32_e32 v6, s13
	v_mad_u32_u24 v1, s14, v10, v1
	s_delay_alu instid0(VALU_DEP_1) | instskip(SKIP_1) | instid1(VALU_DEP_2)
	v_add_lshl_u32 v4, v1, v0, 3
	v_dual_mov_b32 v0, s8 :: v_dual_mov_b32 v1, s9
	v_add_nc_u32_e32 v5, 0x400, v4
	ds_store_2addr_stride64_b64 v4, v[2:3], v[0:1] offset1:2
	v_dual_mov_b32 v2, s10 :: v_dual_mov_b32 v3, s11
	v_cndmask_b32_e64 v5, s8, v5, s0
	s_xor_b32 s10, s0, -1
	flat_load_b64 v[0:1], v[5:6]
	s_cbranch_vccnz .LBB231_2
; %bb.1:
	v_dual_mov_b32 v2, s8 :: v_dual_mov_b32 v3, s9
	flat_load_b64 v[2:3], v[2:3] offset:8
.LBB231_2:
	s_and_b32 s8, s0, exec_lo
	s_cselect_b32 s1, s1, s5
	v_cndmask_b32_e64 v4, s4, v4, s0
	v_dual_mov_b32 v5, s1 :: v_dual_mov_b32 v6, s6
	v_mov_b32_e32 v7, s7
	s_and_not1_b32 vcc_lo, exec_lo, s10
	flat_load_b64 v[4:5], v[4:5]
	s_cbranch_vccnz .LBB231_4
; %bb.3:
	v_dual_mov_b32 v7, s5 :: v_dual_mov_b32 v6, s4
	flat_load_b64 v[6:7], v[6:7] offset:8
.LBB231_4:
	s_waitcnt vmcnt(1) lgkmcnt(1)
	v_cmp_eq_f64_e32 vcc_lo, 0, v[0:1]
	v_cmp_eq_f64_e64 s0, 0, v[2:3]
	s_delay_alu instid0(VALU_DEP_1)
	s_and_b32 s4, vcc_lo, s0
	s_mov_b32 s0, -1
	s_and_saveexec_b32 s1, s4
	s_cbranch_execz .LBB231_6
; %bb.5:
	s_waitcnt vmcnt(0) lgkmcnt(0)
	v_cmp_neq_f64_e32 vcc_lo, 1.0, v[4:5]
	v_cmp_neq_f64_e64 s0, 0, v[6:7]
	s_delay_alu instid0(VALU_DEP_1) | instskip(NEXT) | instid1(SALU_CYCLE_1)
	s_or_b32 s0, vcc_lo, s0
	s_or_not1_b32 s0, s0, exec_lo
.LBB231_6:
	s_or_b32 exec_lo, exec_lo, s1
	s_and_saveexec_b32 s1, s0
	s_cbranch_execz .LBB231_25
; %bb.7:
	s_load_b64 s[0:1], s[2:3], 0x0
	v_lshrrev_b32_e32 v8, 5, v10
	s_delay_alu instid0(VALU_DEP_1) | instskip(SKIP_1) | instid1(VALU_DEP_1)
	v_lshl_or_b32 v8, s15, 2, v8
	s_waitcnt lgkmcnt(0)
	v_cmp_gt_i32_e32 vcc_lo, s0, v8
	s_and_b32 exec_lo, exec_lo, vcc_lo
	s_cbranch_execz .LBB231_25
; %bb.8:
	s_load_b256 s[4:11], s[2:3], 0x18
	v_ashrrev_i32_e32 v9, 31, v8
	v_and_b32_e32 v25, 31, v10
	s_cmp_lg_u32 s1, 0
	s_delay_alu instid0(VALU_DEP_2) | instskip(SKIP_1) | instid1(VALU_DEP_1)
	v_lshlrev_b64 v[11:12], 2, v[8:9]
	s_waitcnt lgkmcnt(0)
	v_add_co_u32 v11, vcc_lo, s4, v11
	s_delay_alu instid0(VALU_DEP_2) | instskip(SKIP_4) | instid1(VALU_DEP_2)
	v_add_co_ci_u32_e32 v12, vcc_lo, s5, v12, vcc_lo
	global_load_b64 v[11:12], v[11:12], off
	s_waitcnt vmcnt(0)
	v_subrev_nc_u32_e32 v9, s12, v11
	v_subrev_nc_u32_e32 v22, s12, v12
	v_add_nc_u32_e32 v17, v9, v25
	s_delay_alu instid0(VALU_DEP_1)
	v_cmp_lt_i32_e64 s0, v17, v22
	s_cbranch_scc0 .LBB231_14
; %bb.9:
	v_mov_b32_e32 v9, 0
	v_mov_b32_e32 v10, 0
	s_delay_alu instid0(VALU_DEP_1)
	v_dual_mov_b32 v16, v10 :: v_dual_mov_b32 v15, v9
	v_dual_mov_b32 v14, v10 :: v_dual_mov_b32 v13, v9
	;; [unrolled: 1-line block ×3, first 2 shown]
	s_and_saveexec_b32 s1, s0
	s_cbranch_execz .LBB231_13
; %bb.10:
	v_dual_mov_b32 v9, 0 :: v_dual_lshlrev_b32 v18, 1, v17
	v_dual_mov_b32 v10, 0 :: v_dual_mov_b32 v19, 0
	v_mov_b32_e32 v20, v17
	s_mov_b32 s4, 0
	s_delay_alu instid0(VALU_DEP_2)
	v_dual_mov_b32 v16, v10 :: v_dual_mov_b32 v15, v9
	v_dual_mov_b32 v14, v10 :: v_dual_mov_b32 v13, v9
	;; [unrolled: 1-line block ×3, first 2 shown]
	s_set_inst_prefetch_distance 0x1
	.p2align	6
.LBB231_11:                             ; =>This Inner Loop Header: Depth=1
	v_ashrrev_i32_e32 v21, 31, v20
	v_mov_b32_e32 v31, v19
	s_delay_alu instid0(VALU_DEP_2) | instskip(SKIP_1) | instid1(VALU_DEP_2)
	v_lshlrev_b64 v[23:24], 2, v[20:21]
	v_add_nc_u32_e32 v20, 32, v20
	v_add_co_u32 v23, vcc_lo, s6, v23
	s_delay_alu instid0(VALU_DEP_3) | instskip(SKIP_3) | instid1(VALU_DEP_2)
	v_add_co_ci_u32_e32 v24, vcc_lo, s7, v24, vcc_lo
	global_load_b32 v21, v[23:24], off
	v_lshlrev_b64 v[23:24], 4, v[18:19]
	v_add_nc_u32_e32 v18, 64, v18
	v_add_co_u32 v23, vcc_lo, s8, v23
	s_delay_alu instid0(VALU_DEP_3) | instskip(SKIP_3) | instid1(VALU_DEP_1)
	v_add_co_ci_u32_e32 v24, vcc_lo, s9, v24, vcc_lo
	global_load_b128 v[26:29], v[23:24], off offset:16
	s_waitcnt vmcnt(1)
	v_subrev_nc_u32_e32 v30, s12, v21
	v_lshlrev_b64 v[30:31], 4, v[30:31]
	s_delay_alu instid0(VALU_DEP_1) | instskip(NEXT) | instid1(VALU_DEP_2)
	v_add_co_u32 v34, vcc_lo, s10, v30
	v_add_co_ci_u32_e32 v35, vcc_lo, s11, v31, vcc_lo
	v_cmp_ge_i32_e32 vcc_lo, v20, v22
	global_load_b128 v[30:33], v[23:24], off
	global_load_b128 v[34:37], v[34:35], off
	s_or_b32 s4, vcc_lo, s4
	s_waitcnt vmcnt(0)
	v_fma_f64 v[15:16], v[30:31], v[34:35], v[15:16]
	v_fma_f64 v[9:10], v[32:33], v[34:35], v[9:10]
	;; [unrolled: 1-line block ×4, first 2 shown]
	s_delay_alu instid0(VALU_DEP_4) | instskip(NEXT) | instid1(VALU_DEP_4)
	v_fma_f64 v[15:16], -v[32:33], v[36:37], v[15:16]
	v_fma_f64 v[9:10], v[30:31], v[36:37], v[9:10]
	s_delay_alu instid0(VALU_DEP_4) | instskip(NEXT) | instid1(VALU_DEP_4)
	v_fma_f64 v[13:14], -v[28:29], v[36:37], v[13:14]
	v_fma_f64 v[11:12], v[26:27], v[36:37], v[11:12]
	s_and_not1_b32 exec_lo, exec_lo, s4
	s_cbranch_execnz .LBB231_11
; %bb.12:
	s_set_inst_prefetch_distance 0x2
	s_or_b32 exec_lo, exec_lo, s4
.LBB231_13:
	s_delay_alu instid0(SALU_CYCLE_1)
	s_or_b32 exec_lo, exec_lo, s1
	s_cbranch_execz .LBB231_15
	s_branch .LBB231_20
.LBB231_14:
                                        ; implicit-def: $vgpr9_vgpr10
                                        ; implicit-def: $vgpr15_vgpr16
                                        ; implicit-def: $vgpr13_vgpr14
                                        ; implicit-def: $vgpr11_vgpr12
.LBB231_15:
	v_mov_b32_e32 v9, 0
	v_mov_b32_e32 v10, 0
	s_delay_alu instid0(VALU_DEP_1)
	v_dual_mov_b32 v16, v10 :: v_dual_mov_b32 v15, v9
	v_dual_mov_b32 v14, v10 :: v_dual_mov_b32 v13, v9
	;; [unrolled: 1-line block ×3, first 2 shown]
	s_and_saveexec_b32 s1, s0
	s_cbranch_execz .LBB231_19
; %bb.16:
	v_dual_mov_b32 v9, 0 :: v_dual_mov_b32 v20, 0
	v_dual_mov_b32 v10, 0 :: v_dual_lshlrev_b32 v19, 1, v17
	s_mov_b32 s0, 0
	s_delay_alu instid0(VALU_DEP_1)
	v_dual_mov_b32 v16, v10 :: v_dual_mov_b32 v15, v9
	v_dual_mov_b32 v14, v10 :: v_dual_mov_b32 v13, v9
	v_dual_mov_b32 v12, v10 :: v_dual_mov_b32 v11, v9
	s_set_inst_prefetch_distance 0x1
	.p2align	6
.LBB231_17:                             ; =>This Inner Loop Header: Depth=1
	v_ashrrev_i32_e32 v18, 31, v17
	v_mov_b32_e32 v31, v20
	s_delay_alu instid0(VALU_DEP_2) | instskip(SKIP_1) | instid1(VALU_DEP_2)
	v_lshlrev_b64 v[23:24], 2, v[17:18]
	v_add_nc_u32_e32 v17, 32, v17
	v_add_co_u32 v23, vcc_lo, s6, v23
	s_delay_alu instid0(VALU_DEP_3) | instskip(SKIP_3) | instid1(VALU_DEP_2)
	v_add_co_ci_u32_e32 v24, vcc_lo, s7, v24, vcc_lo
	global_load_b32 v18, v[23:24], off
	v_lshlrev_b64 v[23:24], 4, v[19:20]
	v_add_nc_u32_e32 v19, 64, v19
	v_add_co_u32 v23, vcc_lo, s8, v23
	s_delay_alu instid0(VALU_DEP_3) | instskip(SKIP_3) | instid1(VALU_DEP_1)
	v_add_co_ci_u32_e32 v24, vcc_lo, s9, v24, vcc_lo
	global_load_b128 v[26:29], v[23:24], off offset:16
	s_waitcnt vmcnt(1)
	v_subrev_nc_u32_e32 v30, s12, v18
	v_lshlrev_b64 v[30:31], 4, v[30:31]
	s_delay_alu instid0(VALU_DEP_1) | instskip(NEXT) | instid1(VALU_DEP_2)
	v_add_co_u32 v34, vcc_lo, s10, v30
	v_add_co_ci_u32_e32 v35, vcc_lo, s11, v31, vcc_lo
	v_cmp_ge_i32_e32 vcc_lo, v17, v22
	global_load_b128 v[30:33], v[23:24], off
	global_load_b128 v[34:37], v[34:35], off
	s_or_b32 s0, vcc_lo, s0
	s_waitcnt vmcnt(0)
	v_fma_f64 v[15:16], v[30:31], v[34:35], v[15:16]
	v_fma_f64 v[9:10], v[32:33], v[34:35], v[9:10]
	;; [unrolled: 1-line block ×4, first 2 shown]
	s_delay_alu instid0(VALU_DEP_4) | instskip(NEXT) | instid1(VALU_DEP_4)
	v_fma_f64 v[15:16], -v[32:33], v[36:37], v[15:16]
	v_fma_f64 v[9:10], v[30:31], v[36:37], v[9:10]
	s_delay_alu instid0(VALU_DEP_4) | instskip(NEXT) | instid1(VALU_DEP_4)
	v_fma_f64 v[13:14], -v[28:29], v[36:37], v[13:14]
	v_fma_f64 v[11:12], v[26:27], v[36:37], v[11:12]
	s_and_not1_b32 exec_lo, exec_lo, s0
	s_cbranch_execnz .LBB231_17
; %bb.18:
	s_set_inst_prefetch_distance 0x2
	s_or_b32 exec_lo, exec_lo, s0
.LBB231_19:
	s_delay_alu instid0(SALU_CYCLE_1)
	s_or_b32 exec_lo, exec_lo, s1
.LBB231_20:
	v_mbcnt_lo_u32_b32 v26, -1, 0
	s_delay_alu instid0(VALU_DEP_1) | instskip(NEXT) | instid1(VALU_DEP_1)
	v_xor_b32_e32 v17, 16, v26
	v_cmp_gt_i32_e32 vcc_lo, 32, v17
	v_cndmask_b32_e32 v17, v26, v17, vcc_lo
	s_delay_alu instid0(VALU_DEP_1)
	v_lshlrev_b32_e32 v24, 2, v17
	ds_bpermute_b32 v17, v24, v15
	ds_bpermute_b32 v18, v24, v16
	;; [unrolled: 1-line block ×8, first 2 shown]
	s_waitcnt lgkmcnt(6)
	v_add_f64 v[15:16], v[15:16], v[17:18]
	v_xor_b32_e32 v17, 8, v26
	s_waitcnt lgkmcnt(4)
	v_add_f64 v[9:10], v[9:10], v[19:20]
	s_waitcnt lgkmcnt(2)
	v_add_f64 v[13:14], v[13:14], v[21:22]
	;; [unrolled: 2-line block ×3, first 2 shown]
	v_cmp_gt_i32_e32 vcc_lo, 32, v17
	v_cndmask_b32_e32 v17, v26, v17, vcc_lo
	s_delay_alu instid0(VALU_DEP_1)
	v_lshlrev_b32_e32 v24, 2, v17
	ds_bpermute_b32 v17, v24, v15
	ds_bpermute_b32 v18, v24, v16
	;; [unrolled: 1-line block ×8, first 2 shown]
	s_waitcnt lgkmcnt(6)
	v_add_f64 v[15:16], v[15:16], v[17:18]
	v_xor_b32_e32 v17, 4, v26
	s_waitcnt lgkmcnt(4)
	v_add_f64 v[9:10], v[9:10], v[19:20]
	s_waitcnt lgkmcnt(2)
	v_add_f64 v[13:14], v[13:14], v[21:22]
	;; [unrolled: 2-line block ×3, first 2 shown]
	v_cmp_gt_i32_e32 vcc_lo, 32, v17
	v_cndmask_b32_e32 v17, v26, v17, vcc_lo
	s_delay_alu instid0(VALU_DEP_1)
	v_lshlrev_b32_e32 v24, 2, v17
	ds_bpermute_b32 v17, v24, v15
	ds_bpermute_b32 v18, v24, v16
	;; [unrolled: 1-line block ×8, first 2 shown]
	s_waitcnt lgkmcnt(6)
	v_add_f64 v[15:16], v[15:16], v[17:18]
	s_waitcnt lgkmcnt(4)
	v_add_f64 v[17:18], v[9:10], v[19:20]
	v_xor_b32_e32 v9, 2, v26
	s_waitcnt lgkmcnt(2)
	v_add_f64 v[13:14], v[13:14], v[21:22]
	s_waitcnt lgkmcnt(0)
	v_add_f64 v[19:20], v[11:12], v[23:24]
	v_cmp_gt_i32_e32 vcc_lo, 32, v9
	v_cndmask_b32_e32 v9, v26, v9, vcc_lo
	s_delay_alu instid0(VALU_DEP_1)
	v_lshlrev_b32_e32 v24, 2, v9
	ds_bpermute_b32 v9, v24, v15
	ds_bpermute_b32 v10, v24, v16
	;; [unrolled: 1-line block ×8, first 2 shown]
	s_waitcnt lgkmcnt(6)
	v_add_f64 v[9:10], v[15:16], v[9:10]
	s_waitcnt lgkmcnt(4)
	v_add_f64 v[15:16], v[17:18], v[11:12]
	v_xor_b32_e32 v17, 1, v26
	s_waitcnt lgkmcnt(2)
	v_add_f64 v[11:12], v[13:14], v[21:22]
	s_waitcnt lgkmcnt(0)
	v_add_f64 v[13:14], v[19:20], v[23:24]
	v_cmp_gt_i32_e32 vcc_lo, 32, v17
	v_cndmask_b32_e32 v17, v26, v17, vcc_lo
	v_cmp_eq_u32_e32 vcc_lo, 31, v25
	s_delay_alu instid0(VALU_DEP_2)
	v_lshlrev_b32_e32 v20, 2, v17
	ds_bpermute_b32 v23, v20, v9
	ds_bpermute_b32 v24, v20, v10
	;; [unrolled: 1-line block ×8, first 2 shown]
	s_and_b32 exec_lo, exec_lo, vcc_lo
	s_cbranch_execz .LBB231_25
; %bb.21:
	v_cmp_eq_f64_e32 vcc_lo, 0, v[4:5]
	v_cmp_eq_f64_e64 s0, 0, v[6:7]
	s_waitcnt lgkmcnt(6)
	v_add_f64 v[9:10], v[9:10], v[23:24]
	s_waitcnt lgkmcnt(4)
	v_add_f64 v[15:16], v[15:16], v[21:22]
	;; [unrolled: 2-line block ×4, first 2 shown]
	s_load_b64 s[2:3], s[2:3], 0x48
	s_and_b32 s0, vcc_lo, s0
	s_delay_alu instid0(SALU_CYCLE_1) | instskip(NEXT) | instid1(SALU_CYCLE_1)
	s_and_saveexec_b32 s1, s0
	s_xor_b32 s0, exec_lo, s1
	s_cbranch_execz .LBB231_23
; %bb.22:
	s_delay_alu instid0(VALU_DEP_3) | instskip(SKIP_1) | instid1(VALU_DEP_3)
	v_mul_f64 v[4:5], v[15:16], -v[2:3]
	v_mul_f64 v[6:7], v[0:1], v[15:16]
	v_mul_f64 v[15:16], v[13:14], -v[2:3]
	v_mul_f64 v[13:14], v[0:1], v[13:14]
	v_lshlrev_b32_e32 v8, 1, v8
	v_fma_f64 v[4:5], v[0:1], v[9:10], v[4:5]
	v_fma_f64 v[6:7], v[2:3], v[9:10], v[6:7]
	;; [unrolled: 1-line block ×4, first 2 shown]
	v_ashrrev_i32_e32 v9, 31, v8
                                        ; implicit-def: $vgpr15_vgpr16
                                        ; implicit-def: $vgpr11_vgpr12
                                        ; implicit-def: $vgpr13_vgpr14
	s_delay_alu instid0(VALU_DEP_1) | instskip(SKIP_1) | instid1(VALU_DEP_1)
	v_lshlrev_b64 v[8:9], 4, v[8:9]
	s_waitcnt lgkmcnt(0)
	v_add_co_u32 v8, vcc_lo, s2, v8
	s_delay_alu instid0(VALU_DEP_2)
	v_add_co_ci_u32_e32 v9, vcc_lo, s3, v9, vcc_lo
	s_clause 0x1
	global_store_b128 v[8:9], v[4:7], off
	global_store_b128 v[8:9], v[0:3], off offset:16
                                        ; implicit-def: $vgpr0_vgpr1
                                        ; implicit-def: $vgpr2_vgpr3
                                        ; implicit-def: $vgpr4_vgpr5
                                        ; implicit-def: $vgpr6_vgpr7
                                        ; implicit-def: $vgpr8
                                        ; implicit-def: $vgpr9_vgpr10
.LBB231_23:
	s_and_not1_saveexec_b32 s0, s0
	s_cbranch_execz .LBB231_25
; %bb.24:
	v_lshlrev_b32_e32 v17, 1, v8
	s_delay_alu instid0(VALU_DEP_4) | instskip(SKIP_1) | instid1(VALU_DEP_4)
	v_mul_f64 v[27:28], v[15:16], -v[2:3]
	v_mul_f64 v[15:16], v[0:1], v[15:16]
	v_mul_f64 v[29:30], v[13:14], -v[2:3]
	v_mul_f64 v[13:14], v[0:1], v[13:14]
	v_ashrrev_i32_e32 v18, 31, v17
	s_delay_alu instid0(VALU_DEP_1) | instskip(SKIP_1) | instid1(VALU_DEP_1)
	v_lshlrev_b64 v[17:18], 4, v[17:18]
	s_waitcnt lgkmcnt(0)
	v_add_co_u32 v25, vcc_lo, s2, v17
	s_delay_alu instid0(VALU_DEP_2)
	v_add_co_ci_u32_e32 v26, vcc_lo, s3, v18, vcc_lo
	s_clause 0x1
	global_load_b128 v[17:20], v[25:26], off
	global_load_b128 v[21:24], v[25:26], off offset:16
	v_fma_f64 v[27:28], v[0:1], v[9:10], v[27:28]
	v_fma_f64 v[8:9], v[2:3], v[9:10], v[15:16]
	;; [unrolled: 1-line block ×4, first 2 shown]
	s_waitcnt vmcnt(1)
	s_delay_alu instid0(VALU_DEP_4) | instskip(NEXT) | instid1(VALU_DEP_4)
	v_fma_f64 v[10:11], v[4:5], v[17:18], v[27:28]
	v_fma_f64 v[8:9], v[6:7], v[17:18], v[8:9]
	s_waitcnt vmcnt(0)
	s_delay_alu instid0(VALU_DEP_4) | instskip(NEXT) | instid1(VALU_DEP_4)
	v_fma_f64 v[12:13], v[4:5], v[21:22], v[0:1]
	v_fma_f64 v[14:15], v[6:7], v[21:22], v[2:3]
	s_delay_alu instid0(VALU_DEP_4) | instskip(NEXT) | instid1(VALU_DEP_4)
	v_fma_f64 v[0:1], -v[6:7], v[19:20], v[10:11]
	v_fma_f64 v[2:3], v[4:5], v[19:20], v[8:9]
	s_delay_alu instid0(VALU_DEP_4) | instskip(NEXT) | instid1(VALU_DEP_4)
	v_fma_f64 v[6:7], -v[6:7], v[23:24], v[12:13]
	v_fma_f64 v[8:9], v[4:5], v[23:24], v[14:15]
	s_clause 0x1
	global_store_b128 v[25:26], v[0:3], off
	global_store_b128 v[25:26], v[6:9], off offset:16
.LBB231_25:
	s_nop 0
	s_sendmsg sendmsg(MSG_DEALLOC_VGPRS)
	s_endpgm
	.section	.rodata,"a",@progbits
	.p2align	6, 0x0
	.amdhsa_kernel _ZN9rocsparseL19gebsrmvn_2xn_kernelILj128ELj1ELj32E21rocsparse_complex_numIdEEEvi20rocsparse_direction_NS_24const_host_device_scalarIT2_EEPKiS8_PKS5_SA_S6_PS5_21rocsparse_index_base_b
		.amdhsa_group_segment_fixed_size 2048
		.amdhsa_private_segment_fixed_size 0
		.amdhsa_kernarg_size 88
		.amdhsa_user_sgpr_count 15
		.amdhsa_user_sgpr_dispatch_ptr 1
		.amdhsa_user_sgpr_queue_ptr 0
		.amdhsa_user_sgpr_kernarg_segment_ptr 1
		.amdhsa_user_sgpr_dispatch_id 0
		.amdhsa_user_sgpr_private_segment_size 0
		.amdhsa_wavefront_size32 1
		.amdhsa_uses_dynamic_stack 0
		.amdhsa_enable_private_segment 0
		.amdhsa_system_sgpr_workgroup_id_x 1
		.amdhsa_system_sgpr_workgroup_id_y 0
		.amdhsa_system_sgpr_workgroup_id_z 0
		.amdhsa_system_sgpr_workgroup_info 0
		.amdhsa_system_vgpr_workitem_id 2
		.amdhsa_next_free_vgpr 38
		.amdhsa_next_free_sgpr 18
		.amdhsa_reserve_vcc 1
		.amdhsa_float_round_mode_32 0
		.amdhsa_float_round_mode_16_64 0
		.amdhsa_float_denorm_mode_32 3
		.amdhsa_float_denorm_mode_16_64 3
		.amdhsa_dx10_clamp 1
		.amdhsa_ieee_mode 1
		.amdhsa_fp16_overflow 0
		.amdhsa_workgroup_processor_mode 1
		.amdhsa_memory_ordered 1
		.amdhsa_forward_progress 0
		.amdhsa_shared_vgpr_count 0
		.amdhsa_exception_fp_ieee_invalid_op 0
		.amdhsa_exception_fp_denorm_src 0
		.amdhsa_exception_fp_ieee_div_zero 0
		.amdhsa_exception_fp_ieee_overflow 0
		.amdhsa_exception_fp_ieee_underflow 0
		.amdhsa_exception_fp_ieee_inexact 0
		.amdhsa_exception_int_div_zero 0
	.end_amdhsa_kernel
	.section	.text._ZN9rocsparseL19gebsrmvn_2xn_kernelILj128ELj1ELj32E21rocsparse_complex_numIdEEEvi20rocsparse_direction_NS_24const_host_device_scalarIT2_EEPKiS8_PKS5_SA_S6_PS5_21rocsparse_index_base_b,"axG",@progbits,_ZN9rocsparseL19gebsrmvn_2xn_kernelILj128ELj1ELj32E21rocsparse_complex_numIdEEEvi20rocsparse_direction_NS_24const_host_device_scalarIT2_EEPKiS8_PKS5_SA_S6_PS5_21rocsparse_index_base_b,comdat
.Lfunc_end231:
	.size	_ZN9rocsparseL19gebsrmvn_2xn_kernelILj128ELj1ELj32E21rocsparse_complex_numIdEEEvi20rocsparse_direction_NS_24const_host_device_scalarIT2_EEPKiS8_PKS5_SA_S6_PS5_21rocsparse_index_base_b, .Lfunc_end231-_ZN9rocsparseL19gebsrmvn_2xn_kernelILj128ELj1ELj32E21rocsparse_complex_numIdEEEvi20rocsparse_direction_NS_24const_host_device_scalarIT2_EEPKiS8_PKS5_SA_S6_PS5_21rocsparse_index_base_b
                                        ; -- End function
	.section	.AMDGPU.csdata,"",@progbits
; Kernel info:
; codeLenInByte = 2260
; NumSgprs: 20
; NumVgprs: 38
; ScratchSize: 0
; MemoryBound: 0
; FloatMode: 240
; IeeeMode: 1
; LDSByteSize: 2048 bytes/workgroup (compile time only)
; SGPRBlocks: 2
; VGPRBlocks: 4
; NumSGPRsForWavesPerEU: 20
; NumVGPRsForWavesPerEU: 38
; Occupancy: 16
; WaveLimiterHint : 1
; COMPUTE_PGM_RSRC2:SCRATCH_EN: 0
; COMPUTE_PGM_RSRC2:USER_SGPR: 15
; COMPUTE_PGM_RSRC2:TRAP_HANDLER: 0
; COMPUTE_PGM_RSRC2:TGID_X_EN: 1
; COMPUTE_PGM_RSRC2:TGID_Y_EN: 0
; COMPUTE_PGM_RSRC2:TGID_Z_EN: 0
; COMPUTE_PGM_RSRC2:TIDIG_COMP_CNT: 2
	.section	.text._ZN9rocsparseL19gebsrmvn_2xn_kernelILj128ELj1ELj64E21rocsparse_complex_numIdEEEvi20rocsparse_direction_NS_24const_host_device_scalarIT2_EEPKiS8_PKS5_SA_S6_PS5_21rocsparse_index_base_b,"axG",@progbits,_ZN9rocsparseL19gebsrmvn_2xn_kernelILj128ELj1ELj64E21rocsparse_complex_numIdEEEvi20rocsparse_direction_NS_24const_host_device_scalarIT2_EEPKiS8_PKS5_SA_S6_PS5_21rocsparse_index_base_b,comdat
	.globl	_ZN9rocsparseL19gebsrmvn_2xn_kernelILj128ELj1ELj64E21rocsparse_complex_numIdEEEvi20rocsparse_direction_NS_24const_host_device_scalarIT2_EEPKiS8_PKS5_SA_S6_PS5_21rocsparse_index_base_b ; -- Begin function _ZN9rocsparseL19gebsrmvn_2xn_kernelILj128ELj1ELj64E21rocsparse_complex_numIdEEEvi20rocsparse_direction_NS_24const_host_device_scalarIT2_EEPKiS8_PKS5_SA_S6_PS5_21rocsparse_index_base_b
	.p2align	8
	.type	_ZN9rocsparseL19gebsrmvn_2xn_kernelILj128ELj1ELj64E21rocsparse_complex_numIdEEEvi20rocsparse_direction_NS_24const_host_device_scalarIT2_EEPKiS8_PKS5_SA_S6_PS5_21rocsparse_index_base_b,@function
_ZN9rocsparseL19gebsrmvn_2xn_kernelILj128ELj1ELj64E21rocsparse_complex_numIdEEEvi20rocsparse_direction_NS_24const_host_device_scalarIT2_EEPKiS8_PKS5_SA_S6_PS5_21rocsparse_index_base_b: ; @_ZN9rocsparseL19gebsrmvn_2xn_kernelILj128ELj1ELj64E21rocsparse_complex_numIdEEEvi20rocsparse_direction_NS_24const_host_device_scalarIT2_EEPKiS8_PKS5_SA_S6_PS5_21rocsparse_index_base_b
; %bb.0:
	s_load_b64 s[12:13], s[2:3], 0x50
	s_load_b64 s[16:17], s[0:1], 0x4
	s_load_b128 s[8:11], s[2:3], 0x8
	v_bfe_u32 v1, v0, 10, 10
	s_mov_b64 s[0:1], src_shared_base
	s_load_b128 s[4:7], s[2:3], 0x38
	v_and_b32_e32 v10, 0x3ff, v0
	v_bfe_u32 v0, v0, 20, 10
	s_waitcnt lgkmcnt(0)
	s_bitcmp1_b32 s13, 0
	v_mul_u32_u24_e32 v1, s17, v1
	s_cselect_b32 s0, -1, 0
	s_delay_alu instid0(SALU_CYCLE_1)
	s_and_b32 vcc_lo, s0, exec_lo
	s_cselect_b32 s13, s1, s9
	s_lshr_b32 s14, s16, 16
	v_dual_mov_b32 v2, s4 :: v_dual_mov_b32 v3, s5
	s_mul_i32 s14, s14, s17
	v_mov_b32_e32 v6, s13
	v_mad_u32_u24 v1, s14, v10, v1
	s_delay_alu instid0(VALU_DEP_1) | instskip(SKIP_1) | instid1(VALU_DEP_2)
	v_add_lshl_u32 v4, v1, v0, 3
	v_dual_mov_b32 v0, s8 :: v_dual_mov_b32 v1, s9
	v_add_nc_u32_e32 v5, 0x400, v4
	ds_store_2addr_stride64_b64 v4, v[2:3], v[0:1] offset1:2
	v_dual_mov_b32 v2, s10 :: v_dual_mov_b32 v3, s11
	v_cndmask_b32_e64 v5, s8, v5, s0
	s_xor_b32 s10, s0, -1
	flat_load_b64 v[0:1], v[5:6]
	s_cbranch_vccnz .LBB232_2
; %bb.1:
	v_dual_mov_b32 v2, s8 :: v_dual_mov_b32 v3, s9
	flat_load_b64 v[2:3], v[2:3] offset:8
.LBB232_2:
	s_and_b32 s8, s0, exec_lo
	s_cselect_b32 s1, s1, s5
	v_cndmask_b32_e64 v4, s4, v4, s0
	v_dual_mov_b32 v5, s1 :: v_dual_mov_b32 v6, s6
	v_mov_b32_e32 v7, s7
	s_and_not1_b32 vcc_lo, exec_lo, s10
	flat_load_b64 v[4:5], v[4:5]
	s_cbranch_vccnz .LBB232_4
; %bb.3:
	v_dual_mov_b32 v7, s5 :: v_dual_mov_b32 v6, s4
	flat_load_b64 v[6:7], v[6:7] offset:8
.LBB232_4:
	s_waitcnt vmcnt(1) lgkmcnt(1)
	v_cmp_eq_f64_e32 vcc_lo, 0, v[0:1]
	v_cmp_eq_f64_e64 s0, 0, v[2:3]
	s_delay_alu instid0(VALU_DEP_1)
	s_and_b32 s4, vcc_lo, s0
	s_mov_b32 s0, -1
	s_and_saveexec_b32 s1, s4
	s_cbranch_execz .LBB232_6
; %bb.5:
	s_waitcnt vmcnt(0) lgkmcnt(0)
	v_cmp_neq_f64_e32 vcc_lo, 1.0, v[4:5]
	v_cmp_neq_f64_e64 s0, 0, v[6:7]
	s_delay_alu instid0(VALU_DEP_1) | instskip(NEXT) | instid1(SALU_CYCLE_1)
	s_or_b32 s0, vcc_lo, s0
	s_or_not1_b32 s0, s0, exec_lo
.LBB232_6:
	s_or_b32 exec_lo, exec_lo, s1
	s_and_saveexec_b32 s1, s0
	s_cbranch_execz .LBB232_25
; %bb.7:
	s_load_b64 s[0:1], s[2:3], 0x0
	v_lshrrev_b32_e32 v8, 6, v10
	s_delay_alu instid0(VALU_DEP_1) | instskip(SKIP_1) | instid1(VALU_DEP_1)
	v_lshl_or_b32 v8, s15, 1, v8
	s_waitcnt lgkmcnt(0)
	v_cmp_gt_i32_e32 vcc_lo, s0, v8
	s_and_b32 exec_lo, exec_lo, vcc_lo
	s_cbranch_execz .LBB232_25
; %bb.8:
	s_load_b256 s[4:11], s[2:3], 0x18
	v_ashrrev_i32_e32 v9, 31, v8
	v_and_b32_e32 v25, 63, v10
	s_cmp_lg_u32 s1, 0
	s_delay_alu instid0(VALU_DEP_2) | instskip(SKIP_1) | instid1(VALU_DEP_1)
	v_lshlrev_b64 v[11:12], 2, v[8:9]
	s_waitcnt lgkmcnt(0)
	v_add_co_u32 v11, vcc_lo, s4, v11
	s_delay_alu instid0(VALU_DEP_2) | instskip(SKIP_4) | instid1(VALU_DEP_2)
	v_add_co_ci_u32_e32 v12, vcc_lo, s5, v12, vcc_lo
	global_load_b64 v[11:12], v[11:12], off
	s_waitcnt vmcnt(0)
	v_subrev_nc_u32_e32 v9, s12, v11
	v_subrev_nc_u32_e32 v22, s12, v12
	v_add_nc_u32_e32 v17, v9, v25
	s_delay_alu instid0(VALU_DEP_1)
	v_cmp_lt_i32_e64 s0, v17, v22
	s_cbranch_scc0 .LBB232_14
; %bb.9:
	v_mov_b32_e32 v9, 0
	v_mov_b32_e32 v10, 0
	s_delay_alu instid0(VALU_DEP_1)
	v_dual_mov_b32 v16, v10 :: v_dual_mov_b32 v15, v9
	v_dual_mov_b32 v14, v10 :: v_dual_mov_b32 v13, v9
	;; [unrolled: 1-line block ×3, first 2 shown]
	s_and_saveexec_b32 s1, s0
	s_cbranch_execz .LBB232_13
; %bb.10:
	v_dual_mov_b32 v9, 0 :: v_dual_lshlrev_b32 v18, 1, v17
	v_dual_mov_b32 v10, 0 :: v_dual_mov_b32 v19, 0
	v_mov_b32_e32 v20, v17
	s_mov_b32 s4, 0
	s_delay_alu instid0(VALU_DEP_2)
	v_dual_mov_b32 v16, v10 :: v_dual_mov_b32 v15, v9
	v_dual_mov_b32 v14, v10 :: v_dual_mov_b32 v13, v9
	;; [unrolled: 1-line block ×3, first 2 shown]
.LBB232_11:                             ; =>This Inner Loop Header: Depth=1
	v_ashrrev_i32_e32 v21, 31, v20
	v_mov_b32_e32 v31, v19
	s_delay_alu instid0(VALU_DEP_2) | instskip(SKIP_1) | instid1(VALU_DEP_2)
	v_lshlrev_b64 v[23:24], 2, v[20:21]
	v_add_nc_u32_e32 v20, 64, v20
	v_add_co_u32 v23, vcc_lo, s6, v23
	s_delay_alu instid0(VALU_DEP_3) | instskip(SKIP_3) | instid1(VALU_DEP_2)
	v_add_co_ci_u32_e32 v24, vcc_lo, s7, v24, vcc_lo
	global_load_b32 v21, v[23:24], off
	v_lshlrev_b64 v[23:24], 4, v[18:19]
	v_add_nc_u32_e32 v18, 0x80, v18
	v_add_co_u32 v23, vcc_lo, s8, v23
	s_delay_alu instid0(VALU_DEP_3) | instskip(SKIP_3) | instid1(VALU_DEP_1)
	v_add_co_ci_u32_e32 v24, vcc_lo, s9, v24, vcc_lo
	global_load_b128 v[26:29], v[23:24], off offset:16
	s_waitcnt vmcnt(1)
	v_subrev_nc_u32_e32 v30, s12, v21
	v_lshlrev_b64 v[30:31], 4, v[30:31]
	s_delay_alu instid0(VALU_DEP_1) | instskip(NEXT) | instid1(VALU_DEP_2)
	v_add_co_u32 v34, vcc_lo, s10, v30
	v_add_co_ci_u32_e32 v35, vcc_lo, s11, v31, vcc_lo
	v_cmp_ge_i32_e32 vcc_lo, v20, v22
	global_load_b128 v[30:33], v[23:24], off
	global_load_b128 v[34:37], v[34:35], off
	s_or_b32 s4, vcc_lo, s4
	s_waitcnt vmcnt(0)
	v_fma_f64 v[15:16], v[30:31], v[34:35], v[15:16]
	v_fma_f64 v[9:10], v[32:33], v[34:35], v[9:10]
	;; [unrolled: 1-line block ×4, first 2 shown]
	s_delay_alu instid0(VALU_DEP_4) | instskip(NEXT) | instid1(VALU_DEP_4)
	v_fma_f64 v[15:16], -v[32:33], v[36:37], v[15:16]
	v_fma_f64 v[9:10], v[30:31], v[36:37], v[9:10]
	s_delay_alu instid0(VALU_DEP_4) | instskip(NEXT) | instid1(VALU_DEP_4)
	v_fma_f64 v[13:14], -v[28:29], v[36:37], v[13:14]
	v_fma_f64 v[11:12], v[26:27], v[36:37], v[11:12]
	s_and_not1_b32 exec_lo, exec_lo, s4
	s_cbranch_execnz .LBB232_11
; %bb.12:
	s_or_b32 exec_lo, exec_lo, s4
.LBB232_13:
	s_delay_alu instid0(SALU_CYCLE_1)
	s_or_b32 exec_lo, exec_lo, s1
	s_cbranch_execz .LBB232_15
	s_branch .LBB232_20
.LBB232_14:
                                        ; implicit-def: $vgpr9_vgpr10
                                        ; implicit-def: $vgpr15_vgpr16
                                        ; implicit-def: $vgpr13_vgpr14
                                        ; implicit-def: $vgpr11_vgpr12
.LBB232_15:
	v_mov_b32_e32 v9, 0
	v_mov_b32_e32 v10, 0
	s_delay_alu instid0(VALU_DEP_1)
	v_dual_mov_b32 v16, v10 :: v_dual_mov_b32 v15, v9
	v_dual_mov_b32 v14, v10 :: v_dual_mov_b32 v13, v9
	;; [unrolled: 1-line block ×3, first 2 shown]
	s_and_saveexec_b32 s1, s0
	s_cbranch_execz .LBB232_19
; %bb.16:
	v_dual_mov_b32 v9, 0 :: v_dual_mov_b32 v20, 0
	v_dual_mov_b32 v10, 0 :: v_dual_lshlrev_b32 v19, 1, v17
	s_mov_b32 s0, 0
	s_delay_alu instid0(VALU_DEP_1)
	v_dual_mov_b32 v16, v10 :: v_dual_mov_b32 v15, v9
	v_dual_mov_b32 v14, v10 :: v_dual_mov_b32 v13, v9
	;; [unrolled: 1-line block ×3, first 2 shown]
.LBB232_17:                             ; =>This Inner Loop Header: Depth=1
	v_ashrrev_i32_e32 v18, 31, v17
	v_mov_b32_e32 v31, v20
	s_delay_alu instid0(VALU_DEP_2) | instskip(SKIP_1) | instid1(VALU_DEP_2)
	v_lshlrev_b64 v[23:24], 2, v[17:18]
	v_add_nc_u32_e32 v17, 64, v17
	v_add_co_u32 v23, vcc_lo, s6, v23
	s_delay_alu instid0(VALU_DEP_3) | instskip(SKIP_3) | instid1(VALU_DEP_2)
	v_add_co_ci_u32_e32 v24, vcc_lo, s7, v24, vcc_lo
	global_load_b32 v18, v[23:24], off
	v_lshlrev_b64 v[23:24], 4, v[19:20]
	v_add_nc_u32_e32 v19, 0x80, v19
	v_add_co_u32 v23, vcc_lo, s8, v23
	s_delay_alu instid0(VALU_DEP_3) | instskip(SKIP_3) | instid1(VALU_DEP_1)
	v_add_co_ci_u32_e32 v24, vcc_lo, s9, v24, vcc_lo
	global_load_b128 v[26:29], v[23:24], off offset:16
	s_waitcnt vmcnt(1)
	v_subrev_nc_u32_e32 v30, s12, v18
	v_lshlrev_b64 v[30:31], 4, v[30:31]
	s_delay_alu instid0(VALU_DEP_1) | instskip(NEXT) | instid1(VALU_DEP_2)
	v_add_co_u32 v34, vcc_lo, s10, v30
	v_add_co_ci_u32_e32 v35, vcc_lo, s11, v31, vcc_lo
	v_cmp_ge_i32_e32 vcc_lo, v17, v22
	global_load_b128 v[30:33], v[23:24], off
	global_load_b128 v[34:37], v[34:35], off
	s_or_b32 s0, vcc_lo, s0
	s_waitcnt vmcnt(0)
	v_fma_f64 v[15:16], v[30:31], v[34:35], v[15:16]
	v_fma_f64 v[9:10], v[32:33], v[34:35], v[9:10]
	;; [unrolled: 1-line block ×4, first 2 shown]
	s_delay_alu instid0(VALU_DEP_4) | instskip(NEXT) | instid1(VALU_DEP_4)
	v_fma_f64 v[15:16], -v[32:33], v[36:37], v[15:16]
	v_fma_f64 v[9:10], v[30:31], v[36:37], v[9:10]
	s_delay_alu instid0(VALU_DEP_4) | instskip(NEXT) | instid1(VALU_DEP_4)
	v_fma_f64 v[13:14], -v[28:29], v[36:37], v[13:14]
	v_fma_f64 v[11:12], v[26:27], v[36:37], v[11:12]
	s_and_not1_b32 exec_lo, exec_lo, s0
	s_cbranch_execnz .LBB232_17
; %bb.18:
	s_or_b32 exec_lo, exec_lo, s0
.LBB232_19:
	s_delay_alu instid0(SALU_CYCLE_1)
	s_or_b32 exec_lo, exec_lo, s1
.LBB232_20:
	v_mbcnt_lo_u32_b32 v26, -1, 0
	s_delay_alu instid0(VALU_DEP_1) | instskip(NEXT) | instid1(VALU_DEP_1)
	v_or_b32_e32 v17, 32, v26
	v_cmp_gt_i32_e32 vcc_lo, 32, v17
	v_cndmask_b32_e32 v17, v26, v17, vcc_lo
	s_delay_alu instid0(VALU_DEP_1)
	v_lshlrev_b32_e32 v24, 2, v17
	ds_bpermute_b32 v17, v24, v15
	ds_bpermute_b32 v18, v24, v16
	ds_bpermute_b32 v19, v24, v9
	ds_bpermute_b32 v20, v24, v10
	ds_bpermute_b32 v21, v24, v13
	ds_bpermute_b32 v22, v24, v14
	ds_bpermute_b32 v23, v24, v11
	ds_bpermute_b32 v24, v24, v12
	s_waitcnt lgkmcnt(6)
	v_add_f64 v[15:16], v[15:16], v[17:18]
	v_xor_b32_e32 v17, 16, v26
	s_waitcnt lgkmcnt(4)
	v_add_f64 v[9:10], v[9:10], v[19:20]
	s_waitcnt lgkmcnt(2)
	v_add_f64 v[13:14], v[13:14], v[21:22]
	s_waitcnt lgkmcnt(0)
	v_add_f64 v[11:12], v[11:12], v[23:24]
	v_cmp_gt_i32_e32 vcc_lo, 32, v17
	v_cndmask_b32_e32 v17, v26, v17, vcc_lo
	s_delay_alu instid0(VALU_DEP_1)
	v_lshlrev_b32_e32 v24, 2, v17
	ds_bpermute_b32 v17, v24, v15
	ds_bpermute_b32 v18, v24, v16
	ds_bpermute_b32 v19, v24, v9
	ds_bpermute_b32 v20, v24, v10
	ds_bpermute_b32 v21, v24, v13
	ds_bpermute_b32 v22, v24, v14
	ds_bpermute_b32 v23, v24, v11
	ds_bpermute_b32 v24, v24, v12
	s_waitcnt lgkmcnt(6)
	v_add_f64 v[15:16], v[15:16], v[17:18]
	v_xor_b32_e32 v17, 8, v26
	s_waitcnt lgkmcnt(4)
	v_add_f64 v[9:10], v[9:10], v[19:20]
	s_waitcnt lgkmcnt(2)
	v_add_f64 v[13:14], v[13:14], v[21:22]
	s_waitcnt lgkmcnt(0)
	v_add_f64 v[11:12], v[11:12], v[23:24]
	v_cmp_gt_i32_e32 vcc_lo, 32, v17
	v_cndmask_b32_e32 v17, v26, v17, vcc_lo
	s_delay_alu instid0(VALU_DEP_1)
	v_lshlrev_b32_e32 v24, 2, v17
	ds_bpermute_b32 v17, v24, v15
	ds_bpermute_b32 v18, v24, v16
	ds_bpermute_b32 v19, v24, v9
	ds_bpermute_b32 v20, v24, v10
	ds_bpermute_b32 v21, v24, v13
	ds_bpermute_b32 v22, v24, v14
	ds_bpermute_b32 v23, v24, v11
	ds_bpermute_b32 v24, v24, v12
	s_waitcnt lgkmcnt(6)
	v_add_f64 v[15:16], v[15:16], v[17:18]
	v_xor_b32_e32 v17, 4, v26
	s_waitcnt lgkmcnt(4)
	v_add_f64 v[9:10], v[9:10], v[19:20]
	s_waitcnt lgkmcnt(2)
	v_add_f64 v[13:14], v[13:14], v[21:22]
	s_waitcnt lgkmcnt(0)
	v_add_f64 v[11:12], v[11:12], v[23:24]
	v_cmp_gt_i32_e32 vcc_lo, 32, v17
	v_cndmask_b32_e32 v17, v26, v17, vcc_lo
	s_delay_alu instid0(VALU_DEP_1)
	v_lshlrev_b32_e32 v24, 2, v17
	ds_bpermute_b32 v17, v24, v15
	ds_bpermute_b32 v18, v24, v16
	;; [unrolled: 1-line block ×8, first 2 shown]
	s_waitcnt lgkmcnt(6)
	v_add_f64 v[15:16], v[15:16], v[17:18]
	s_waitcnt lgkmcnt(4)
	v_add_f64 v[17:18], v[9:10], v[19:20]
	v_xor_b32_e32 v9, 2, v26
	s_waitcnt lgkmcnt(2)
	v_add_f64 v[13:14], v[13:14], v[21:22]
	s_waitcnt lgkmcnt(0)
	v_add_f64 v[19:20], v[11:12], v[23:24]
	v_cmp_gt_i32_e32 vcc_lo, 32, v9
	v_cndmask_b32_e32 v9, v26, v9, vcc_lo
	s_delay_alu instid0(VALU_DEP_1)
	v_lshlrev_b32_e32 v24, 2, v9
	ds_bpermute_b32 v9, v24, v15
	ds_bpermute_b32 v10, v24, v16
	;; [unrolled: 1-line block ×8, first 2 shown]
	s_waitcnt lgkmcnt(6)
	v_add_f64 v[9:10], v[15:16], v[9:10]
	s_waitcnt lgkmcnt(4)
	v_add_f64 v[15:16], v[17:18], v[11:12]
	v_xor_b32_e32 v17, 1, v26
	s_waitcnt lgkmcnt(2)
	v_add_f64 v[11:12], v[13:14], v[21:22]
	s_waitcnt lgkmcnt(0)
	v_add_f64 v[13:14], v[19:20], v[23:24]
	v_cmp_gt_i32_e32 vcc_lo, 32, v17
	v_cndmask_b32_e32 v17, v26, v17, vcc_lo
	v_cmp_eq_u32_e32 vcc_lo, 63, v25
	s_delay_alu instid0(VALU_DEP_2)
	v_lshlrev_b32_e32 v20, 2, v17
	ds_bpermute_b32 v23, v20, v9
	ds_bpermute_b32 v24, v20, v10
	;; [unrolled: 1-line block ×8, first 2 shown]
	s_and_b32 exec_lo, exec_lo, vcc_lo
	s_cbranch_execz .LBB232_25
; %bb.21:
	v_cmp_eq_f64_e32 vcc_lo, 0, v[4:5]
	v_cmp_eq_f64_e64 s0, 0, v[6:7]
	s_waitcnt lgkmcnt(6)
	v_add_f64 v[9:10], v[9:10], v[23:24]
	s_waitcnt lgkmcnt(4)
	v_add_f64 v[15:16], v[15:16], v[21:22]
	;; [unrolled: 2-line block ×4, first 2 shown]
	s_load_b64 s[2:3], s[2:3], 0x48
	s_and_b32 s0, vcc_lo, s0
	s_delay_alu instid0(SALU_CYCLE_1) | instskip(NEXT) | instid1(SALU_CYCLE_1)
	s_and_saveexec_b32 s1, s0
	s_xor_b32 s0, exec_lo, s1
	s_cbranch_execz .LBB232_23
; %bb.22:
	s_delay_alu instid0(VALU_DEP_3) | instskip(SKIP_1) | instid1(VALU_DEP_3)
	v_mul_f64 v[4:5], v[15:16], -v[2:3]
	v_mul_f64 v[6:7], v[0:1], v[15:16]
	v_mul_f64 v[15:16], v[13:14], -v[2:3]
	v_mul_f64 v[13:14], v[0:1], v[13:14]
	v_lshlrev_b32_e32 v8, 1, v8
	v_fma_f64 v[4:5], v[0:1], v[9:10], v[4:5]
	v_fma_f64 v[6:7], v[2:3], v[9:10], v[6:7]
	;; [unrolled: 1-line block ×4, first 2 shown]
	v_ashrrev_i32_e32 v9, 31, v8
                                        ; implicit-def: $vgpr15_vgpr16
                                        ; implicit-def: $vgpr11_vgpr12
                                        ; implicit-def: $vgpr13_vgpr14
	s_delay_alu instid0(VALU_DEP_1) | instskip(SKIP_1) | instid1(VALU_DEP_1)
	v_lshlrev_b64 v[8:9], 4, v[8:9]
	s_waitcnt lgkmcnt(0)
	v_add_co_u32 v8, vcc_lo, s2, v8
	s_delay_alu instid0(VALU_DEP_2)
	v_add_co_ci_u32_e32 v9, vcc_lo, s3, v9, vcc_lo
	s_clause 0x1
	global_store_b128 v[8:9], v[4:7], off
	global_store_b128 v[8:9], v[0:3], off offset:16
                                        ; implicit-def: $vgpr0_vgpr1
                                        ; implicit-def: $vgpr2_vgpr3
                                        ; implicit-def: $vgpr4_vgpr5
                                        ; implicit-def: $vgpr6_vgpr7
                                        ; implicit-def: $vgpr8
                                        ; implicit-def: $vgpr9_vgpr10
.LBB232_23:
	s_and_not1_saveexec_b32 s0, s0
	s_cbranch_execz .LBB232_25
; %bb.24:
	v_lshlrev_b32_e32 v17, 1, v8
	s_delay_alu instid0(VALU_DEP_4) | instskip(SKIP_1) | instid1(VALU_DEP_4)
	v_mul_f64 v[27:28], v[15:16], -v[2:3]
	v_mul_f64 v[15:16], v[0:1], v[15:16]
	v_mul_f64 v[29:30], v[13:14], -v[2:3]
	v_mul_f64 v[13:14], v[0:1], v[13:14]
	v_ashrrev_i32_e32 v18, 31, v17
	s_delay_alu instid0(VALU_DEP_1) | instskip(SKIP_1) | instid1(VALU_DEP_1)
	v_lshlrev_b64 v[17:18], 4, v[17:18]
	s_waitcnt lgkmcnt(0)
	v_add_co_u32 v25, vcc_lo, s2, v17
	s_delay_alu instid0(VALU_DEP_2)
	v_add_co_ci_u32_e32 v26, vcc_lo, s3, v18, vcc_lo
	s_clause 0x1
	global_load_b128 v[17:20], v[25:26], off
	global_load_b128 v[21:24], v[25:26], off offset:16
	v_fma_f64 v[27:28], v[0:1], v[9:10], v[27:28]
	v_fma_f64 v[8:9], v[2:3], v[9:10], v[15:16]
	;; [unrolled: 1-line block ×4, first 2 shown]
	s_waitcnt vmcnt(1)
	s_delay_alu instid0(VALU_DEP_4) | instskip(NEXT) | instid1(VALU_DEP_4)
	v_fma_f64 v[10:11], v[4:5], v[17:18], v[27:28]
	v_fma_f64 v[8:9], v[6:7], v[17:18], v[8:9]
	s_waitcnt vmcnt(0)
	s_delay_alu instid0(VALU_DEP_4) | instskip(NEXT) | instid1(VALU_DEP_4)
	v_fma_f64 v[12:13], v[4:5], v[21:22], v[0:1]
	v_fma_f64 v[14:15], v[6:7], v[21:22], v[2:3]
	s_delay_alu instid0(VALU_DEP_4) | instskip(NEXT) | instid1(VALU_DEP_4)
	v_fma_f64 v[0:1], -v[6:7], v[19:20], v[10:11]
	v_fma_f64 v[2:3], v[4:5], v[19:20], v[8:9]
	s_delay_alu instid0(VALU_DEP_4) | instskip(NEXT) | instid1(VALU_DEP_4)
	v_fma_f64 v[6:7], -v[6:7], v[23:24], v[12:13]
	v_fma_f64 v[8:9], v[4:5], v[23:24], v[14:15]
	s_clause 0x1
	global_store_b128 v[25:26], v[0:3], off
	global_store_b128 v[25:26], v[6:9], off offset:16
.LBB232_25:
	s_nop 0
	s_sendmsg sendmsg(MSG_DEALLOC_VGPRS)
	s_endpgm
	.section	.rodata,"a",@progbits
	.p2align	6, 0x0
	.amdhsa_kernel _ZN9rocsparseL19gebsrmvn_2xn_kernelILj128ELj1ELj64E21rocsparse_complex_numIdEEEvi20rocsparse_direction_NS_24const_host_device_scalarIT2_EEPKiS8_PKS5_SA_S6_PS5_21rocsparse_index_base_b
		.amdhsa_group_segment_fixed_size 2048
		.amdhsa_private_segment_fixed_size 0
		.amdhsa_kernarg_size 88
		.amdhsa_user_sgpr_count 15
		.amdhsa_user_sgpr_dispatch_ptr 1
		.amdhsa_user_sgpr_queue_ptr 0
		.amdhsa_user_sgpr_kernarg_segment_ptr 1
		.amdhsa_user_sgpr_dispatch_id 0
		.amdhsa_user_sgpr_private_segment_size 0
		.amdhsa_wavefront_size32 1
		.amdhsa_uses_dynamic_stack 0
		.amdhsa_enable_private_segment 0
		.amdhsa_system_sgpr_workgroup_id_x 1
		.amdhsa_system_sgpr_workgroup_id_y 0
		.amdhsa_system_sgpr_workgroup_id_z 0
		.amdhsa_system_sgpr_workgroup_info 0
		.amdhsa_system_vgpr_workitem_id 2
		.amdhsa_next_free_vgpr 38
		.amdhsa_next_free_sgpr 18
		.amdhsa_reserve_vcc 1
		.amdhsa_float_round_mode_32 0
		.amdhsa_float_round_mode_16_64 0
		.amdhsa_float_denorm_mode_32 3
		.amdhsa_float_denorm_mode_16_64 3
		.amdhsa_dx10_clamp 1
		.amdhsa_ieee_mode 1
		.amdhsa_fp16_overflow 0
		.amdhsa_workgroup_processor_mode 1
		.amdhsa_memory_ordered 1
		.amdhsa_forward_progress 0
		.amdhsa_shared_vgpr_count 0
		.amdhsa_exception_fp_ieee_invalid_op 0
		.amdhsa_exception_fp_denorm_src 0
		.amdhsa_exception_fp_ieee_div_zero 0
		.amdhsa_exception_fp_ieee_overflow 0
		.amdhsa_exception_fp_ieee_underflow 0
		.amdhsa_exception_fp_ieee_inexact 0
		.amdhsa_exception_int_div_zero 0
	.end_amdhsa_kernel
	.section	.text._ZN9rocsparseL19gebsrmvn_2xn_kernelILj128ELj1ELj64E21rocsparse_complex_numIdEEEvi20rocsparse_direction_NS_24const_host_device_scalarIT2_EEPKiS8_PKS5_SA_S6_PS5_21rocsparse_index_base_b,"axG",@progbits,_ZN9rocsparseL19gebsrmvn_2xn_kernelILj128ELj1ELj64E21rocsparse_complex_numIdEEEvi20rocsparse_direction_NS_24const_host_device_scalarIT2_EEPKiS8_PKS5_SA_S6_PS5_21rocsparse_index_base_b,comdat
.Lfunc_end232:
	.size	_ZN9rocsparseL19gebsrmvn_2xn_kernelILj128ELj1ELj64E21rocsparse_complex_numIdEEEvi20rocsparse_direction_NS_24const_host_device_scalarIT2_EEPKiS8_PKS5_SA_S6_PS5_21rocsparse_index_base_b, .Lfunc_end232-_ZN9rocsparseL19gebsrmvn_2xn_kernelILj128ELj1ELj64E21rocsparse_complex_numIdEEEvi20rocsparse_direction_NS_24const_host_device_scalarIT2_EEPKiS8_PKS5_SA_S6_PS5_21rocsparse_index_base_b
                                        ; -- End function
	.section	.AMDGPU.csdata,"",@progbits
; Kernel info:
; codeLenInByte = 2384
; NumSgprs: 20
; NumVgprs: 38
; ScratchSize: 0
; MemoryBound: 0
; FloatMode: 240
; IeeeMode: 1
; LDSByteSize: 2048 bytes/workgroup (compile time only)
; SGPRBlocks: 2
; VGPRBlocks: 4
; NumSGPRsForWavesPerEU: 20
; NumVGPRsForWavesPerEU: 38
; Occupancy: 16
; WaveLimiterHint : 1
; COMPUTE_PGM_RSRC2:SCRATCH_EN: 0
; COMPUTE_PGM_RSRC2:USER_SGPR: 15
; COMPUTE_PGM_RSRC2:TRAP_HANDLER: 0
; COMPUTE_PGM_RSRC2:TGID_X_EN: 1
; COMPUTE_PGM_RSRC2:TGID_Y_EN: 0
; COMPUTE_PGM_RSRC2:TGID_Z_EN: 0
; COMPUTE_PGM_RSRC2:TIDIG_COMP_CNT: 2
	.section	.text._ZN9rocsparseL19gebsrmvn_2xn_kernelILj128ELj3ELj4E21rocsparse_complex_numIdEEEvi20rocsparse_direction_NS_24const_host_device_scalarIT2_EEPKiS8_PKS5_SA_S6_PS5_21rocsparse_index_base_b,"axG",@progbits,_ZN9rocsparseL19gebsrmvn_2xn_kernelILj128ELj3ELj4E21rocsparse_complex_numIdEEEvi20rocsparse_direction_NS_24const_host_device_scalarIT2_EEPKiS8_PKS5_SA_S6_PS5_21rocsparse_index_base_b,comdat
	.globl	_ZN9rocsparseL19gebsrmvn_2xn_kernelILj128ELj3ELj4E21rocsparse_complex_numIdEEEvi20rocsparse_direction_NS_24const_host_device_scalarIT2_EEPKiS8_PKS5_SA_S6_PS5_21rocsparse_index_base_b ; -- Begin function _ZN9rocsparseL19gebsrmvn_2xn_kernelILj128ELj3ELj4E21rocsparse_complex_numIdEEEvi20rocsparse_direction_NS_24const_host_device_scalarIT2_EEPKiS8_PKS5_SA_S6_PS5_21rocsparse_index_base_b
	.p2align	8
	.type	_ZN9rocsparseL19gebsrmvn_2xn_kernelILj128ELj3ELj4E21rocsparse_complex_numIdEEEvi20rocsparse_direction_NS_24const_host_device_scalarIT2_EEPKiS8_PKS5_SA_S6_PS5_21rocsparse_index_base_b,@function
_ZN9rocsparseL19gebsrmvn_2xn_kernelILj128ELj3ELj4E21rocsparse_complex_numIdEEEvi20rocsparse_direction_NS_24const_host_device_scalarIT2_EEPKiS8_PKS5_SA_S6_PS5_21rocsparse_index_base_b: ; @_ZN9rocsparseL19gebsrmvn_2xn_kernelILj128ELj3ELj4E21rocsparse_complex_numIdEEEvi20rocsparse_direction_NS_24const_host_device_scalarIT2_EEPKiS8_PKS5_SA_S6_PS5_21rocsparse_index_base_b
; %bb.0:
	s_load_b64 s[12:13], s[2:3], 0x50
	s_load_b64 s[16:17], s[0:1], 0x4
	s_load_b128 s[8:11], s[2:3], 0x8
	v_bfe_u32 v1, v0, 10, 10
	s_mov_b64 s[0:1], src_shared_base
	s_load_b128 s[4:7], s[2:3], 0x38
	v_and_b32_e32 v10, 0x3ff, v0
	v_bfe_u32 v0, v0, 20, 10
	s_waitcnt lgkmcnt(0)
	s_bitcmp1_b32 s13, 0
	v_mul_u32_u24_e32 v1, s17, v1
	s_cselect_b32 s0, -1, 0
	s_delay_alu instid0(SALU_CYCLE_1)
	s_and_b32 vcc_lo, s0, exec_lo
	s_cselect_b32 s13, s1, s9
	s_lshr_b32 s14, s16, 16
	v_dual_mov_b32 v2, s4 :: v_dual_mov_b32 v3, s5
	s_mul_i32 s14, s14, s17
	v_mov_b32_e32 v6, s13
	v_mad_u32_u24 v1, s14, v10, v1
	s_delay_alu instid0(VALU_DEP_1) | instskip(SKIP_1) | instid1(VALU_DEP_2)
	v_add_lshl_u32 v4, v1, v0, 3
	v_dual_mov_b32 v0, s8 :: v_dual_mov_b32 v1, s9
	v_add_nc_u32_e32 v5, 0x400, v4
	ds_store_2addr_stride64_b64 v4, v[2:3], v[0:1] offset1:2
	v_dual_mov_b32 v2, s10 :: v_dual_mov_b32 v3, s11
	v_cndmask_b32_e64 v5, s8, v5, s0
	s_xor_b32 s10, s0, -1
	flat_load_b64 v[0:1], v[5:6]
	s_cbranch_vccnz .LBB233_2
; %bb.1:
	v_dual_mov_b32 v2, s8 :: v_dual_mov_b32 v3, s9
	flat_load_b64 v[2:3], v[2:3] offset:8
.LBB233_2:
	s_and_b32 s8, s0, exec_lo
	s_cselect_b32 s1, s1, s5
	v_cndmask_b32_e64 v4, s4, v4, s0
	v_dual_mov_b32 v5, s1 :: v_dual_mov_b32 v6, s6
	v_mov_b32_e32 v7, s7
	s_and_not1_b32 vcc_lo, exec_lo, s10
	flat_load_b64 v[4:5], v[4:5]
	s_cbranch_vccnz .LBB233_4
; %bb.3:
	v_dual_mov_b32 v7, s5 :: v_dual_mov_b32 v6, s4
	flat_load_b64 v[6:7], v[6:7] offset:8
.LBB233_4:
	s_waitcnt vmcnt(1) lgkmcnt(1)
	v_cmp_eq_f64_e32 vcc_lo, 0, v[0:1]
	v_cmp_eq_f64_e64 s0, 0, v[2:3]
	s_delay_alu instid0(VALU_DEP_1)
	s_and_b32 s4, vcc_lo, s0
	s_mov_b32 s0, -1
	s_and_saveexec_b32 s1, s4
	s_cbranch_execz .LBB233_6
; %bb.5:
	s_waitcnt vmcnt(0) lgkmcnt(0)
	v_cmp_neq_f64_e32 vcc_lo, 1.0, v[4:5]
	v_cmp_neq_f64_e64 s0, 0, v[6:7]
	s_delay_alu instid0(VALU_DEP_1) | instskip(NEXT) | instid1(SALU_CYCLE_1)
	s_or_b32 s0, vcc_lo, s0
	s_or_not1_b32 s0, s0, exec_lo
.LBB233_6:
	s_or_b32 exec_lo, exec_lo, s1
	s_and_saveexec_b32 s1, s0
	s_cbranch_execz .LBB233_25
; %bb.7:
	s_load_b64 s[0:1], s[2:3], 0x0
	v_lshrrev_b32_e32 v8, 2, v10
	s_delay_alu instid0(VALU_DEP_1) | instskip(SKIP_1) | instid1(VALU_DEP_1)
	v_lshl_or_b32 v8, s15, 5, v8
	s_waitcnt lgkmcnt(0)
	v_cmp_gt_i32_e32 vcc_lo, s0, v8
	s_and_b32 exec_lo, exec_lo, vcc_lo
	s_cbranch_execz .LBB233_25
; %bb.8:
	s_load_b256 s[4:11], s[2:3], 0x18
	v_ashrrev_i32_e32 v9, 31, v8
	v_and_b32_e32 v25, 3, v10
	s_cmp_lg_u32 s1, 0
	s_delay_alu instid0(VALU_DEP_2) | instskip(SKIP_1) | instid1(VALU_DEP_1)
	v_lshlrev_b64 v[11:12], 2, v[8:9]
	s_waitcnt lgkmcnt(0)
	v_add_co_u32 v11, vcc_lo, s4, v11
	s_delay_alu instid0(VALU_DEP_2) | instskip(SKIP_4) | instid1(VALU_DEP_2)
	v_add_co_ci_u32_e32 v12, vcc_lo, s5, v12, vcc_lo
	global_load_b64 v[11:12], v[11:12], off
	s_waitcnt vmcnt(0)
	v_subrev_nc_u32_e32 v9, s12, v11
	v_subrev_nc_u32_e32 v23, s12, v12
	v_add_nc_u32_e32 v9, v9, v25
	s_delay_alu instid0(VALU_DEP_1)
	v_cmp_lt_i32_e64 s0, v9, v23
	s_cbranch_scc0 .LBB233_14
; %bb.9:
	v_mov_b32_e32 v11, 0
	v_mov_b32_e32 v12, 0
	s_delay_alu instid0(VALU_DEP_1)
	v_dual_mov_b32 v14, v12 :: v_dual_mov_b32 v13, v11
	v_dual_mov_b32 v16, v12 :: v_dual_mov_b32 v15, v11
	;; [unrolled: 1-line block ×3, first 2 shown]
	s_and_saveexec_b32 s1, s0
	s_cbranch_execz .LBB233_13
; %bb.10:
	v_dual_mov_b32 v11, 0 :: v_dual_mov_b32 v20, 0
	v_dual_mov_b32 v12, 0 :: v_dual_mov_b32 v21, v9
	v_mul_lo_u32 v19, v9, 6
	s_mov_b32 s4, 0
	s_delay_alu instid0(VALU_DEP_2)
	v_dual_mov_b32 v14, v12 :: v_dual_mov_b32 v13, v11
	v_dual_mov_b32 v16, v12 :: v_dual_mov_b32 v15, v11
	;; [unrolled: 1-line block ×3, first 2 shown]
.LBB233_11:                             ; =>This Inner Loop Header: Depth=1
	v_ashrrev_i32_e32 v22, 31, v21
	v_dual_mov_b32 v55, v20 :: v_dual_add_nc_u32 v38, 2, v19
	v_dual_mov_b32 v43, v20 :: v_dual_add_nc_u32 v50, 4, v19
	s_delay_alu instid0(VALU_DEP_3) | instskip(SKIP_1) | instid1(VALU_DEP_2)
	v_lshlrev_b64 v[26:27], 2, v[21:22]
	v_add_nc_u32_e32 v21, 4, v21
	v_add_co_u32 v26, vcc_lo, s6, v26
	s_delay_alu instid0(VALU_DEP_3) | instskip(SKIP_3) | instid1(VALU_DEP_2)
	v_add_co_ci_u32_e32 v27, vcc_lo, s7, v27, vcc_lo
	global_load_b32 v10, v[26:27], off
	v_lshlrev_b64 v[26:27], 4, v[19:20]
	v_add_nc_u32_e32 v19, 24, v19
	v_add_co_u32 v30, vcc_lo, s8, v26
	s_delay_alu instid0(VALU_DEP_3) | instskip(SKIP_3) | instid1(VALU_DEP_1)
	v_add_co_ci_u32_e32 v31, vcc_lo, s9, v27, vcc_lo
	global_load_b128 v[26:29], v[30:31], off offset:16
	s_waitcnt vmcnt(1)
	v_subrev_nc_u32_e32 v10, s12, v10
	v_lshl_add_u32 v54, v10, 1, v10
	v_mov_b32_e32 v39, v20
	v_mov_b32_e32 v51, v20
	s_delay_alu instid0(VALU_DEP_3) | instskip(SKIP_4) | instid1(VALU_DEP_4)
	v_lshlrev_b64 v[32:33], 4, v[54:55]
	v_add_nc_u32_e32 v42, 1, v54
	v_add_nc_u32_e32 v54, 2, v54
	v_lshlrev_b64 v[38:39], 4, v[38:39]
	v_lshlrev_b64 v[50:51], 4, v[50:51]
	;; [unrolled: 1-line block ×3, first 2 shown]
	v_add_co_u32 v34, vcc_lo, s10, v32
	v_add_co_ci_u32_e32 v35, vcc_lo, s11, v33, vcc_lo
	v_add_co_u32 v44, vcc_lo, s8, v38
	global_load_b128 v[30:33], v[30:31], off
	global_load_b128 v[34:37], v[34:35], off
	v_add_co_ci_u32_e32 v45, vcc_lo, s9, v39, vcc_lo
	v_add_co_u32 v46, vcc_lo, s10, v42
	v_add_co_ci_u32_e32 v47, vcc_lo, s11, v43, vcc_lo
	s_clause 0x1
	global_load_b128 v[38:41], v[44:45], off offset:16
	global_load_b128 v[42:45], v[44:45], off
	global_load_b128 v[46:49], v[46:47], off
	v_lshlrev_b64 v[54:55], 4, v[54:55]
	v_add_co_u32 v56, vcc_lo, s8, v50
	v_add_co_ci_u32_e32 v57, vcc_lo, s9, v51, vcc_lo
	s_delay_alu instid0(VALU_DEP_3) | instskip(NEXT) | instid1(VALU_DEP_4)
	v_add_co_u32 v58, vcc_lo, s10, v54
	v_add_co_ci_u32_e32 v59, vcc_lo, s11, v55, vcc_lo
	s_clause 0x1
	global_load_b128 v[50:53], v[56:57], off offset:16
	global_load_b128 v[54:57], v[56:57], off
	global_load_b128 v[58:61], v[58:59], off
	v_cmp_ge_i32_e32 vcc_lo, v21, v23
	s_or_b32 s4, vcc_lo, s4
	s_waitcnt vmcnt(6)
	v_fma_f64 v[13:14], v[30:31], v[34:35], v[13:14]
	v_fma_f64 v[10:11], v[32:33], v[34:35], v[11:12]
	;; [unrolled: 1-line block ×4, first 2 shown]
	s_delay_alu instid0(VALU_DEP_4) | instskip(NEXT) | instid1(VALU_DEP_4)
	v_fma_f64 v[12:13], -v[32:33], v[36:37], v[13:14]
	v_fma_f64 v[10:11], v[30:31], v[36:37], v[10:11]
	s_delay_alu instid0(VALU_DEP_4) | instskip(NEXT) | instid1(VALU_DEP_4)
	v_fma_f64 v[14:15], -v[28:29], v[36:37], v[15:16]
	v_fma_f64 v[16:17], v[26:27], v[36:37], v[17:18]
	s_waitcnt vmcnt(3)
	s_delay_alu instid0(VALU_DEP_4) | instskip(NEXT) | instid1(VALU_DEP_4)
	v_fma_f64 v[12:13], v[42:43], v[46:47], v[12:13]
	v_fma_f64 v[10:11], v[44:45], v[46:47], v[10:11]
	s_delay_alu instid0(VALU_DEP_4) | instskip(NEXT) | instid1(VALU_DEP_4)
	v_fma_f64 v[14:15], v[38:39], v[46:47], v[14:15]
	v_fma_f64 v[16:17], v[40:41], v[46:47], v[16:17]
	s_delay_alu instid0(VALU_DEP_4) | instskip(NEXT) | instid1(VALU_DEP_4)
	v_fma_f64 v[12:13], -v[44:45], v[48:49], v[12:13]
	v_fma_f64 v[10:11], v[42:43], v[48:49], v[10:11]
	s_delay_alu instid0(VALU_DEP_4) | instskip(NEXT) | instid1(VALU_DEP_4)
	v_fma_f64 v[14:15], -v[40:41], v[48:49], v[14:15]
	v_fma_f64 v[16:17], v[38:39], v[48:49], v[16:17]
	s_waitcnt vmcnt(0)
	s_delay_alu instid0(VALU_DEP_4) | instskip(NEXT) | instid1(VALU_DEP_4)
	v_fma_f64 v[12:13], v[54:55], v[58:59], v[12:13]
	v_fma_f64 v[10:11], v[56:57], v[58:59], v[10:11]
	s_delay_alu instid0(VALU_DEP_4) | instskip(NEXT) | instid1(VALU_DEP_4)
	v_fma_f64 v[26:27], v[50:51], v[58:59], v[14:15]
	v_fma_f64 v[17:18], v[52:53], v[58:59], v[16:17]
	s_delay_alu instid0(VALU_DEP_4) | instskip(NEXT) | instid1(VALU_DEP_4)
	v_fma_f64 v[13:14], -v[56:57], v[60:61], v[12:13]
	v_fma_f64 v[11:12], v[54:55], v[60:61], v[10:11]
	s_delay_alu instid0(VALU_DEP_4) | instskip(NEXT) | instid1(VALU_DEP_4)
	v_fma_f64 v[15:16], -v[52:53], v[60:61], v[26:27]
	v_fma_f64 v[17:18], v[50:51], v[60:61], v[17:18]
	s_and_not1_b32 exec_lo, exec_lo, s4
	s_cbranch_execnz .LBB233_11
; %bb.12:
	s_or_b32 exec_lo, exec_lo, s4
.LBB233_13:
	s_delay_alu instid0(SALU_CYCLE_1)
	s_or_b32 exec_lo, exec_lo, s1
	s_cbranch_execz .LBB233_15
	s_branch .LBB233_20
.LBB233_14:
                                        ; implicit-def: $vgpr11_vgpr12
                                        ; implicit-def: $vgpr13_vgpr14
                                        ; implicit-def: $vgpr15_vgpr16
                                        ; implicit-def: $vgpr17_vgpr18
.LBB233_15:
	v_mov_b32_e32 v11, 0
	v_mov_b32_e32 v12, 0
	s_delay_alu instid0(VALU_DEP_1)
	v_dual_mov_b32 v14, v12 :: v_dual_mov_b32 v13, v11
	v_dual_mov_b32 v16, v12 :: v_dual_mov_b32 v15, v11
	;; [unrolled: 1-line block ×3, first 2 shown]
	s_and_saveexec_b32 s1, s0
	s_cbranch_execz .LBB233_19
; %bb.16:
	v_mov_b32_e32 v11, 0
	v_dual_mov_b32 v12, 0 :: v_dual_mov_b32 v21, 0
	v_mad_u64_u32 v[19:20], null, v9, 6, 5
	s_mov_b32 s0, 0
	s_delay_alu instid0(VALU_DEP_2)
	v_dual_mov_b32 v14, v12 :: v_dual_mov_b32 v13, v11
	v_dual_mov_b32 v16, v12 :: v_dual_mov_b32 v15, v11
	;; [unrolled: 1-line block ×3, first 2 shown]
.LBB233_17:                             ; =>This Inner Loop Header: Depth=1
	v_ashrrev_i32_e32 v10, 31, v9
	v_dual_mov_b32 v55, v21 :: v_dual_add_nc_u32 v20, -5, v19
	s_delay_alu instid0(VALU_DEP_2) | instskip(NEXT) | instid1(VALU_DEP_2)
	v_lshlrev_b64 v[26:27], 2, v[9:10]
	v_lshlrev_b64 v[28:29], 4, v[20:21]
	v_add_nc_u32_e32 v9, 4, v9
	s_delay_alu instid0(VALU_DEP_3) | instskip(NEXT) | instid1(VALU_DEP_4)
	v_add_co_u32 v26, vcc_lo, s6, v26
	v_add_co_ci_u32_e32 v27, vcc_lo, s7, v27, vcc_lo
	s_delay_alu instid0(VALU_DEP_4) | instskip(SKIP_3) | instid1(VALU_DEP_1)
	v_add_co_u32 v30, vcc_lo, s8, v28
	v_add_co_ci_u32_e32 v31, vcc_lo, s9, v29, vcc_lo
	global_load_b32 v10, v[26:27], off
	v_dual_mov_b32 v27, v21 :: v_dual_add_nc_u32 v26, -2, v19
	v_lshlrev_b64 v[26:27], 4, v[26:27]
	s_delay_alu instid0(VALU_DEP_1) | instskip(NEXT) | instid1(VALU_DEP_2)
	v_add_co_u32 v34, vcc_lo, s8, v26
	v_add_co_ci_u32_e32 v35, vcc_lo, s9, v27, vcc_lo
	s_clause 0x1
	global_load_b128 v[26:29], v[30:31], off offset:16
	global_load_b128 v[30:33], v[30:31], off
	s_waitcnt vmcnt(2)
	v_subrev_nc_u32_e32 v10, s12, v10
	s_delay_alu instid0(VALU_DEP_1) | instskip(NEXT) | instid1(VALU_DEP_1)
	v_lshl_add_u32 v54, v10, 1, v10
	v_lshlrev_b64 v[36:37], 4, v[54:55]
	v_add_nc_u32_e32 v20, 1, v54
	s_delay_alu instid0(VALU_DEP_2) | instskip(NEXT) | instid1(VALU_DEP_3)
	v_add_co_u32 v38, vcc_lo, s10, v36
	v_add_co_ci_u32_e32 v39, vcc_lo, s11, v37, vcc_lo
	s_delay_alu instid0(VALU_DEP_3) | instskip(SKIP_4) | instid1(VALU_DEP_2)
	v_lshlrev_b64 v[42:43], 4, v[20:21]
	global_load_b128 v[34:37], v[34:35], off
	global_load_b128 v[38:41], v[38:39], off
	v_add_nc_u32_e32 v20, -1, v19
	v_add_co_u32 v42, vcc_lo, s10, v42
	v_lshlrev_b64 v[44:45], 4, v[20:21]
	v_add_co_ci_u32_e32 v43, vcc_lo, s11, v43, vcc_lo
	v_mov_b32_e32 v20, v21
	s_delay_alu instid0(VALU_DEP_3) | instskip(NEXT) | instid1(VALU_DEP_4)
	v_add_co_u32 v46, vcc_lo, s8, v44
	v_add_co_ci_u32_e32 v47, vcc_lo, s9, v45, vcc_lo
	global_load_b128 v[42:45], v[42:43], off
	global_load_b128 v[46:49], v[46:47], off
	v_lshlrev_b64 v[50:51], 4, v[19:20]
	v_add_nc_u32_e32 v20, -3, v19
	v_add_nc_u32_e32 v19, 24, v19
	s_delay_alu instid0(VALU_DEP_2) | instskip(SKIP_3) | instid1(VALU_DEP_3)
	v_lshlrev_b64 v[55:56], 4, v[20:21]
	v_add_nc_u32_e32 v20, 2, v54
	v_add_co_u32 v50, vcc_lo, s8, v50
	v_add_co_ci_u32_e32 v51, vcc_lo, s9, v51, vcc_lo
	v_lshlrev_b64 v[57:58], 4, v[20:21]
	v_add_co_u32 v54, vcc_lo, s8, v55
	v_add_co_ci_u32_e32 v55, vcc_lo, s9, v56, vcc_lo
	global_load_b128 v[50:53], v[50:51], off
	v_add_co_u32 v59, vcc_lo, s10, v57
	v_add_co_ci_u32_e32 v60, vcc_lo, s11, v58, vcc_lo
	global_load_b128 v[54:57], v[54:55], off
	global_load_b128 v[58:61], v[59:60], off
	v_cmp_ge_i32_e32 vcc_lo, v9, v23
	s_or_b32 s0, vcc_lo, s0
	s_waitcnt vmcnt(5)
	v_fma_f64 v[13:14], v[30:31], v[38:39], v[13:14]
	v_fma_f64 v[10:11], v[32:33], v[38:39], v[11:12]
	;; [unrolled: 1-line block ×4, first 2 shown]
	s_delay_alu instid0(VALU_DEP_4) | instskip(NEXT) | instid1(VALU_DEP_4)
	v_fma_f64 v[12:13], -v[32:33], v[40:41], v[13:14]
	v_fma_f64 v[10:11], v[30:31], v[40:41], v[10:11]
	s_delay_alu instid0(VALU_DEP_4) | instskip(NEXT) | instid1(VALU_DEP_4)
	v_fma_f64 v[14:15], -v[36:37], v[40:41], v[15:16]
	v_fma_f64 v[16:17], v[34:35], v[40:41], v[17:18]
	s_waitcnt vmcnt(4)
	s_delay_alu instid0(VALU_DEP_4) | instskip(NEXT) | instid1(VALU_DEP_4)
	v_fma_f64 v[12:13], v[26:27], v[42:43], v[12:13]
	v_fma_f64 v[10:11], v[28:29], v[42:43], v[10:11]
	s_waitcnt vmcnt(3)
	s_delay_alu instid0(VALU_DEP_4) | instskip(NEXT) | instid1(VALU_DEP_4)
	v_fma_f64 v[14:15], v[46:47], v[42:43], v[14:15]
	v_fma_f64 v[16:17], v[48:49], v[42:43], v[16:17]
	s_delay_alu instid0(VALU_DEP_4) | instskip(NEXT) | instid1(VALU_DEP_4)
	v_fma_f64 v[12:13], -v[28:29], v[44:45], v[12:13]
	v_fma_f64 v[10:11], v[26:27], v[44:45], v[10:11]
	s_delay_alu instid0(VALU_DEP_4) | instskip(NEXT) | instid1(VALU_DEP_4)
	v_fma_f64 v[14:15], -v[48:49], v[44:45], v[14:15]
	v_fma_f64 v[16:17], v[46:47], v[44:45], v[16:17]
	s_waitcnt vmcnt(0)
	s_delay_alu instid0(VALU_DEP_4) | instskip(NEXT) | instid1(VALU_DEP_4)
	v_fma_f64 v[12:13], v[54:55], v[58:59], v[12:13]
	v_fma_f64 v[10:11], v[56:57], v[58:59], v[10:11]
	s_delay_alu instid0(VALU_DEP_4) | instskip(NEXT) | instid1(VALU_DEP_4)
	v_fma_f64 v[26:27], v[50:51], v[58:59], v[14:15]
	v_fma_f64 v[17:18], v[52:53], v[58:59], v[16:17]
	s_delay_alu instid0(VALU_DEP_4) | instskip(NEXT) | instid1(VALU_DEP_4)
	v_fma_f64 v[13:14], -v[56:57], v[60:61], v[12:13]
	v_fma_f64 v[11:12], v[54:55], v[60:61], v[10:11]
	s_delay_alu instid0(VALU_DEP_4) | instskip(NEXT) | instid1(VALU_DEP_4)
	v_fma_f64 v[15:16], -v[52:53], v[60:61], v[26:27]
	v_fma_f64 v[17:18], v[50:51], v[60:61], v[17:18]
	s_and_not1_b32 exec_lo, exec_lo, s0
	s_cbranch_execnz .LBB233_17
; %bb.18:
	s_or_b32 exec_lo, exec_lo, s0
.LBB233_19:
	s_delay_alu instid0(SALU_CYCLE_1)
	s_or_b32 exec_lo, exec_lo, s1
.LBB233_20:
	v_mbcnt_lo_u32_b32 v26, -1, 0
	s_delay_alu instid0(VALU_DEP_1) | instskip(NEXT) | instid1(VALU_DEP_1)
	v_xor_b32_e32 v9, 2, v26
	v_cmp_gt_i32_e32 vcc_lo, 32, v9
	v_cndmask_b32_e32 v9, v26, v9, vcc_lo
	s_delay_alu instid0(VALU_DEP_1)
	v_lshlrev_b32_e32 v24, 2, v9
	ds_bpermute_b32 v19, v24, v11
	ds_bpermute_b32 v20, v24, v12
	;; [unrolled: 1-line block ×4, first 2 shown]
	s_waitcnt lgkmcnt(2)
	v_add_f64 v[19:20], v[11:12], v[19:20]
	s_waitcnt lgkmcnt(0)
	v_add_f64 v[11:12], v[15:16], v[21:22]
	v_xor_b32_e32 v15, 1, v26
	s_delay_alu instid0(VALU_DEP_1)
	v_cmp_gt_i32_e32 vcc_lo, 32, v15
	v_cndmask_b32_e32 v15, v26, v15, vcc_lo
	ds_bpermute_b32 v9, v24, v13
	ds_bpermute_b32 v10, v24, v14
	;; [unrolled: 1-line block ×4, first 2 shown]
	v_lshlrev_b32_e32 v22, 2, v15
	v_cmp_eq_u32_e32 vcc_lo, 3, v25
	s_waitcnt lgkmcnt(2)
	v_add_f64 v[9:10], v[13:14], v[9:10]
	s_waitcnt lgkmcnt(0)
	v_add_f64 v[13:14], v[17:18], v[23:24]
	ds_bpermute_b32 v15, v22, v19
	ds_bpermute_b32 v16, v22, v20
	;; [unrolled: 1-line block ×8, first 2 shown]
	s_and_b32 exec_lo, exec_lo, vcc_lo
	s_cbranch_execz .LBB233_25
; %bb.21:
	v_cmp_eq_f64_e32 vcc_lo, 0, v[4:5]
	v_cmp_eq_f64_e64 s0, 0, v[6:7]
	s_waitcnt lgkmcnt(2)
	v_add_f64 v[9:10], v[9:10], v[23:24]
	v_add_f64 v[15:16], v[19:20], v[15:16]
	;; [unrolled: 1-line block ×3, first 2 shown]
	s_waitcnt lgkmcnt(0)
	v_add_f64 v[13:14], v[13:14], v[21:22]
	s_load_b64 s[2:3], s[2:3], 0x48
	s_and_b32 s0, vcc_lo, s0
	s_delay_alu instid0(SALU_CYCLE_1) | instskip(NEXT) | instid1(SALU_CYCLE_1)
	s_and_saveexec_b32 s1, s0
	s_xor_b32 s0, exec_lo, s1
	s_cbranch_execz .LBB233_23
; %bb.22:
	s_delay_alu instid0(VALU_DEP_3) | instskip(SKIP_1) | instid1(VALU_DEP_3)
	v_mul_f64 v[4:5], v[15:16], -v[2:3]
	v_mul_f64 v[6:7], v[0:1], v[15:16]
	v_mul_f64 v[15:16], v[13:14], -v[2:3]
	v_mul_f64 v[13:14], v[0:1], v[13:14]
	v_lshlrev_b32_e32 v8, 1, v8
	v_fma_f64 v[4:5], v[0:1], v[9:10], v[4:5]
	v_fma_f64 v[6:7], v[2:3], v[9:10], v[6:7]
	;; [unrolled: 1-line block ×4, first 2 shown]
	v_ashrrev_i32_e32 v9, 31, v8
                                        ; implicit-def: $vgpr15_vgpr16
                                        ; implicit-def: $vgpr11_vgpr12
                                        ; implicit-def: $vgpr13_vgpr14
	s_delay_alu instid0(VALU_DEP_1) | instskip(SKIP_1) | instid1(VALU_DEP_1)
	v_lshlrev_b64 v[8:9], 4, v[8:9]
	s_waitcnt lgkmcnt(0)
	v_add_co_u32 v8, vcc_lo, s2, v8
	s_delay_alu instid0(VALU_DEP_2)
	v_add_co_ci_u32_e32 v9, vcc_lo, s3, v9, vcc_lo
	s_clause 0x1
	global_store_b128 v[8:9], v[4:7], off
	global_store_b128 v[8:9], v[0:3], off offset:16
                                        ; implicit-def: $vgpr0_vgpr1
                                        ; implicit-def: $vgpr2_vgpr3
                                        ; implicit-def: $vgpr4_vgpr5
                                        ; implicit-def: $vgpr6_vgpr7
                                        ; implicit-def: $vgpr8
                                        ; implicit-def: $vgpr9_vgpr10
.LBB233_23:
	s_and_not1_saveexec_b32 s0, s0
	s_cbranch_execz .LBB233_25
; %bb.24:
	v_lshlrev_b32_e32 v17, 1, v8
	s_delay_alu instid0(VALU_DEP_4) | instskip(SKIP_1) | instid1(VALU_DEP_4)
	v_mul_f64 v[27:28], v[15:16], -v[2:3]
	v_mul_f64 v[15:16], v[0:1], v[15:16]
	v_mul_f64 v[29:30], v[13:14], -v[2:3]
	v_mul_f64 v[13:14], v[0:1], v[13:14]
	v_ashrrev_i32_e32 v18, 31, v17
	s_delay_alu instid0(VALU_DEP_1) | instskip(SKIP_1) | instid1(VALU_DEP_1)
	v_lshlrev_b64 v[17:18], 4, v[17:18]
	s_waitcnt lgkmcnt(0)
	v_add_co_u32 v25, vcc_lo, s2, v17
	s_delay_alu instid0(VALU_DEP_2)
	v_add_co_ci_u32_e32 v26, vcc_lo, s3, v18, vcc_lo
	s_clause 0x1
	global_load_b128 v[17:20], v[25:26], off
	global_load_b128 v[21:24], v[25:26], off offset:16
	v_fma_f64 v[27:28], v[0:1], v[9:10], v[27:28]
	v_fma_f64 v[8:9], v[2:3], v[9:10], v[15:16]
	;; [unrolled: 1-line block ×4, first 2 shown]
	s_waitcnt vmcnt(1)
	s_delay_alu instid0(VALU_DEP_4) | instskip(NEXT) | instid1(VALU_DEP_4)
	v_fma_f64 v[10:11], v[4:5], v[17:18], v[27:28]
	v_fma_f64 v[8:9], v[6:7], v[17:18], v[8:9]
	s_waitcnt vmcnt(0)
	s_delay_alu instid0(VALU_DEP_4) | instskip(NEXT) | instid1(VALU_DEP_4)
	v_fma_f64 v[12:13], v[4:5], v[21:22], v[0:1]
	v_fma_f64 v[14:15], v[6:7], v[21:22], v[2:3]
	s_delay_alu instid0(VALU_DEP_4) | instskip(NEXT) | instid1(VALU_DEP_4)
	v_fma_f64 v[0:1], -v[6:7], v[19:20], v[10:11]
	v_fma_f64 v[2:3], v[4:5], v[19:20], v[8:9]
	s_delay_alu instid0(VALU_DEP_4) | instskip(NEXT) | instid1(VALU_DEP_4)
	v_fma_f64 v[6:7], -v[6:7], v[23:24], v[12:13]
	v_fma_f64 v[8:9], v[4:5], v[23:24], v[14:15]
	s_clause 0x1
	global_store_b128 v[25:26], v[0:3], off
	global_store_b128 v[25:26], v[6:9], off offset:16
.LBB233_25:
	s_nop 0
	s_sendmsg sendmsg(MSG_DEALLOC_VGPRS)
	s_endpgm
	.section	.rodata,"a",@progbits
	.p2align	6, 0x0
	.amdhsa_kernel _ZN9rocsparseL19gebsrmvn_2xn_kernelILj128ELj3ELj4E21rocsparse_complex_numIdEEEvi20rocsparse_direction_NS_24const_host_device_scalarIT2_EEPKiS8_PKS5_SA_S6_PS5_21rocsparse_index_base_b
		.amdhsa_group_segment_fixed_size 2048
		.amdhsa_private_segment_fixed_size 0
		.amdhsa_kernarg_size 88
		.amdhsa_user_sgpr_count 15
		.amdhsa_user_sgpr_dispatch_ptr 1
		.amdhsa_user_sgpr_queue_ptr 0
		.amdhsa_user_sgpr_kernarg_segment_ptr 1
		.amdhsa_user_sgpr_dispatch_id 0
		.amdhsa_user_sgpr_private_segment_size 0
		.amdhsa_wavefront_size32 1
		.amdhsa_uses_dynamic_stack 0
		.amdhsa_enable_private_segment 0
		.amdhsa_system_sgpr_workgroup_id_x 1
		.amdhsa_system_sgpr_workgroup_id_y 0
		.amdhsa_system_sgpr_workgroup_id_z 0
		.amdhsa_system_sgpr_workgroup_info 0
		.amdhsa_system_vgpr_workitem_id 2
		.amdhsa_next_free_vgpr 62
		.amdhsa_next_free_sgpr 18
		.amdhsa_reserve_vcc 1
		.amdhsa_float_round_mode_32 0
		.amdhsa_float_round_mode_16_64 0
		.amdhsa_float_denorm_mode_32 3
		.amdhsa_float_denorm_mode_16_64 3
		.amdhsa_dx10_clamp 1
		.amdhsa_ieee_mode 1
		.amdhsa_fp16_overflow 0
		.amdhsa_workgroup_processor_mode 1
		.amdhsa_memory_ordered 1
		.amdhsa_forward_progress 0
		.amdhsa_shared_vgpr_count 0
		.amdhsa_exception_fp_ieee_invalid_op 0
		.amdhsa_exception_fp_denorm_src 0
		.amdhsa_exception_fp_ieee_div_zero 0
		.amdhsa_exception_fp_ieee_overflow 0
		.amdhsa_exception_fp_ieee_underflow 0
		.amdhsa_exception_fp_ieee_inexact 0
		.amdhsa_exception_int_div_zero 0
	.end_amdhsa_kernel
	.section	.text._ZN9rocsparseL19gebsrmvn_2xn_kernelILj128ELj3ELj4E21rocsparse_complex_numIdEEEvi20rocsparse_direction_NS_24const_host_device_scalarIT2_EEPKiS8_PKS5_SA_S6_PS5_21rocsparse_index_base_b,"axG",@progbits,_ZN9rocsparseL19gebsrmvn_2xn_kernelILj128ELj3ELj4E21rocsparse_complex_numIdEEEvi20rocsparse_direction_NS_24const_host_device_scalarIT2_EEPKiS8_PKS5_SA_S6_PS5_21rocsparse_index_base_b,comdat
.Lfunc_end233:
	.size	_ZN9rocsparseL19gebsrmvn_2xn_kernelILj128ELj3ELj4E21rocsparse_complex_numIdEEEvi20rocsparse_direction_NS_24const_host_device_scalarIT2_EEPKiS8_PKS5_SA_S6_PS5_21rocsparse_index_base_b, .Lfunc_end233-_ZN9rocsparseL19gebsrmvn_2xn_kernelILj128ELj3ELj4E21rocsparse_complex_numIdEEEvi20rocsparse_direction_NS_24const_host_device_scalarIT2_EEPKiS8_PKS5_SA_S6_PS5_21rocsparse_index_base_b
                                        ; -- End function
	.section	.AMDGPU.csdata,"",@progbits
; Kernel info:
; codeLenInByte = 2596
; NumSgprs: 20
; NumVgprs: 62
; ScratchSize: 0
; MemoryBound: 0
; FloatMode: 240
; IeeeMode: 1
; LDSByteSize: 2048 bytes/workgroup (compile time only)
; SGPRBlocks: 2
; VGPRBlocks: 7
; NumSGPRsForWavesPerEU: 20
; NumVGPRsForWavesPerEU: 62
; Occupancy: 16
; WaveLimiterHint : 1
; COMPUTE_PGM_RSRC2:SCRATCH_EN: 0
; COMPUTE_PGM_RSRC2:USER_SGPR: 15
; COMPUTE_PGM_RSRC2:TRAP_HANDLER: 0
; COMPUTE_PGM_RSRC2:TGID_X_EN: 1
; COMPUTE_PGM_RSRC2:TGID_Y_EN: 0
; COMPUTE_PGM_RSRC2:TGID_Z_EN: 0
; COMPUTE_PGM_RSRC2:TIDIG_COMP_CNT: 2
	.section	.text._ZN9rocsparseL19gebsrmvn_2xn_kernelILj128ELj3ELj8E21rocsparse_complex_numIdEEEvi20rocsparse_direction_NS_24const_host_device_scalarIT2_EEPKiS8_PKS5_SA_S6_PS5_21rocsparse_index_base_b,"axG",@progbits,_ZN9rocsparseL19gebsrmvn_2xn_kernelILj128ELj3ELj8E21rocsparse_complex_numIdEEEvi20rocsparse_direction_NS_24const_host_device_scalarIT2_EEPKiS8_PKS5_SA_S6_PS5_21rocsparse_index_base_b,comdat
	.globl	_ZN9rocsparseL19gebsrmvn_2xn_kernelILj128ELj3ELj8E21rocsparse_complex_numIdEEEvi20rocsparse_direction_NS_24const_host_device_scalarIT2_EEPKiS8_PKS5_SA_S6_PS5_21rocsparse_index_base_b ; -- Begin function _ZN9rocsparseL19gebsrmvn_2xn_kernelILj128ELj3ELj8E21rocsparse_complex_numIdEEEvi20rocsparse_direction_NS_24const_host_device_scalarIT2_EEPKiS8_PKS5_SA_S6_PS5_21rocsparse_index_base_b
	.p2align	8
	.type	_ZN9rocsparseL19gebsrmvn_2xn_kernelILj128ELj3ELj8E21rocsparse_complex_numIdEEEvi20rocsparse_direction_NS_24const_host_device_scalarIT2_EEPKiS8_PKS5_SA_S6_PS5_21rocsparse_index_base_b,@function
_ZN9rocsparseL19gebsrmvn_2xn_kernelILj128ELj3ELj8E21rocsparse_complex_numIdEEEvi20rocsparse_direction_NS_24const_host_device_scalarIT2_EEPKiS8_PKS5_SA_S6_PS5_21rocsparse_index_base_b: ; @_ZN9rocsparseL19gebsrmvn_2xn_kernelILj128ELj3ELj8E21rocsparse_complex_numIdEEEvi20rocsparse_direction_NS_24const_host_device_scalarIT2_EEPKiS8_PKS5_SA_S6_PS5_21rocsparse_index_base_b
; %bb.0:
	s_load_b64 s[12:13], s[2:3], 0x50
	s_load_b64 s[16:17], s[0:1], 0x4
	s_load_b128 s[8:11], s[2:3], 0x8
	v_bfe_u32 v1, v0, 10, 10
	s_mov_b64 s[0:1], src_shared_base
	s_load_b128 s[4:7], s[2:3], 0x38
	v_and_b32_e32 v10, 0x3ff, v0
	v_bfe_u32 v0, v0, 20, 10
	s_waitcnt lgkmcnt(0)
	s_bitcmp1_b32 s13, 0
	v_mul_u32_u24_e32 v1, s17, v1
	s_cselect_b32 s0, -1, 0
	s_delay_alu instid0(SALU_CYCLE_1)
	s_and_b32 vcc_lo, s0, exec_lo
	s_cselect_b32 s13, s1, s9
	s_lshr_b32 s14, s16, 16
	v_dual_mov_b32 v2, s4 :: v_dual_mov_b32 v3, s5
	s_mul_i32 s14, s14, s17
	v_mov_b32_e32 v6, s13
	v_mad_u32_u24 v1, s14, v10, v1
	s_delay_alu instid0(VALU_DEP_1) | instskip(SKIP_1) | instid1(VALU_DEP_2)
	v_add_lshl_u32 v4, v1, v0, 3
	v_dual_mov_b32 v0, s8 :: v_dual_mov_b32 v1, s9
	v_add_nc_u32_e32 v5, 0x400, v4
	ds_store_2addr_stride64_b64 v4, v[2:3], v[0:1] offset1:2
	v_dual_mov_b32 v2, s10 :: v_dual_mov_b32 v3, s11
	v_cndmask_b32_e64 v5, s8, v5, s0
	s_xor_b32 s10, s0, -1
	flat_load_b64 v[0:1], v[5:6]
	s_cbranch_vccnz .LBB234_2
; %bb.1:
	v_dual_mov_b32 v2, s8 :: v_dual_mov_b32 v3, s9
	flat_load_b64 v[2:3], v[2:3] offset:8
.LBB234_2:
	s_and_b32 s8, s0, exec_lo
	s_cselect_b32 s1, s1, s5
	v_cndmask_b32_e64 v4, s4, v4, s0
	v_dual_mov_b32 v5, s1 :: v_dual_mov_b32 v6, s6
	v_mov_b32_e32 v7, s7
	s_and_not1_b32 vcc_lo, exec_lo, s10
	flat_load_b64 v[4:5], v[4:5]
	s_cbranch_vccnz .LBB234_4
; %bb.3:
	v_dual_mov_b32 v7, s5 :: v_dual_mov_b32 v6, s4
	flat_load_b64 v[6:7], v[6:7] offset:8
.LBB234_4:
	s_waitcnt vmcnt(1) lgkmcnt(1)
	v_cmp_eq_f64_e32 vcc_lo, 0, v[0:1]
	v_cmp_eq_f64_e64 s0, 0, v[2:3]
	s_delay_alu instid0(VALU_DEP_1)
	s_and_b32 s4, vcc_lo, s0
	s_mov_b32 s0, -1
	s_and_saveexec_b32 s1, s4
	s_cbranch_execz .LBB234_6
; %bb.5:
	s_waitcnt vmcnt(0) lgkmcnt(0)
	v_cmp_neq_f64_e32 vcc_lo, 1.0, v[4:5]
	v_cmp_neq_f64_e64 s0, 0, v[6:7]
	s_delay_alu instid0(VALU_DEP_1) | instskip(NEXT) | instid1(SALU_CYCLE_1)
	s_or_b32 s0, vcc_lo, s0
	s_or_not1_b32 s0, s0, exec_lo
.LBB234_6:
	s_or_b32 exec_lo, exec_lo, s1
	s_and_saveexec_b32 s1, s0
	s_cbranch_execz .LBB234_25
; %bb.7:
	s_load_b64 s[0:1], s[2:3], 0x0
	v_lshrrev_b32_e32 v8, 3, v10
	s_delay_alu instid0(VALU_DEP_1) | instskip(SKIP_1) | instid1(VALU_DEP_1)
	v_lshl_or_b32 v8, s15, 4, v8
	s_waitcnt lgkmcnt(0)
	v_cmp_gt_i32_e32 vcc_lo, s0, v8
	s_and_b32 exec_lo, exec_lo, vcc_lo
	s_cbranch_execz .LBB234_25
; %bb.8:
	s_load_b256 s[4:11], s[2:3], 0x18
	v_ashrrev_i32_e32 v9, 31, v8
	v_and_b32_e32 v25, 7, v10
	s_cmp_lg_u32 s1, 0
	s_delay_alu instid0(VALU_DEP_2) | instskip(SKIP_1) | instid1(VALU_DEP_1)
	v_lshlrev_b64 v[11:12], 2, v[8:9]
	s_waitcnt lgkmcnt(0)
	v_add_co_u32 v11, vcc_lo, s4, v11
	s_delay_alu instid0(VALU_DEP_2) | instskip(SKIP_4) | instid1(VALU_DEP_2)
	v_add_co_ci_u32_e32 v12, vcc_lo, s5, v12, vcc_lo
	global_load_b64 v[11:12], v[11:12], off
	s_waitcnt vmcnt(0)
	v_subrev_nc_u32_e32 v9, s12, v11
	v_subrev_nc_u32_e32 v23, s12, v12
	v_add_nc_u32_e32 v9, v9, v25
	s_delay_alu instid0(VALU_DEP_1)
	v_cmp_lt_i32_e64 s0, v9, v23
	s_cbranch_scc0 .LBB234_14
; %bb.9:
	v_mov_b32_e32 v11, 0
	v_mov_b32_e32 v12, 0
	s_delay_alu instid0(VALU_DEP_1)
	v_dual_mov_b32 v14, v12 :: v_dual_mov_b32 v13, v11
	v_dual_mov_b32 v16, v12 :: v_dual_mov_b32 v15, v11
	;; [unrolled: 1-line block ×3, first 2 shown]
	s_and_saveexec_b32 s1, s0
	s_cbranch_execz .LBB234_13
; %bb.10:
	v_dual_mov_b32 v11, 0 :: v_dual_mov_b32 v20, 0
	v_dual_mov_b32 v12, 0 :: v_dual_mov_b32 v21, v9
	v_mul_lo_u32 v19, v9, 6
	s_mov_b32 s4, 0
	s_delay_alu instid0(VALU_DEP_2)
	v_dual_mov_b32 v14, v12 :: v_dual_mov_b32 v13, v11
	v_dual_mov_b32 v16, v12 :: v_dual_mov_b32 v15, v11
	;; [unrolled: 1-line block ×3, first 2 shown]
.LBB234_11:                             ; =>This Inner Loop Header: Depth=1
	v_ashrrev_i32_e32 v22, 31, v21
	v_dual_mov_b32 v55, v20 :: v_dual_add_nc_u32 v38, 2, v19
	v_dual_mov_b32 v43, v20 :: v_dual_add_nc_u32 v50, 4, v19
	s_delay_alu instid0(VALU_DEP_3) | instskip(SKIP_1) | instid1(VALU_DEP_2)
	v_lshlrev_b64 v[26:27], 2, v[21:22]
	v_add_nc_u32_e32 v21, 8, v21
	v_add_co_u32 v26, vcc_lo, s6, v26
	s_delay_alu instid0(VALU_DEP_3) | instskip(SKIP_3) | instid1(VALU_DEP_2)
	v_add_co_ci_u32_e32 v27, vcc_lo, s7, v27, vcc_lo
	global_load_b32 v10, v[26:27], off
	v_lshlrev_b64 v[26:27], 4, v[19:20]
	v_add_nc_u32_e32 v19, 48, v19
	v_add_co_u32 v30, vcc_lo, s8, v26
	s_delay_alu instid0(VALU_DEP_3) | instskip(SKIP_3) | instid1(VALU_DEP_1)
	v_add_co_ci_u32_e32 v31, vcc_lo, s9, v27, vcc_lo
	global_load_b128 v[26:29], v[30:31], off offset:16
	s_waitcnt vmcnt(1)
	v_subrev_nc_u32_e32 v10, s12, v10
	v_lshl_add_u32 v54, v10, 1, v10
	v_mov_b32_e32 v39, v20
	v_mov_b32_e32 v51, v20
	s_delay_alu instid0(VALU_DEP_3) | instskip(SKIP_4) | instid1(VALU_DEP_4)
	v_lshlrev_b64 v[32:33], 4, v[54:55]
	v_add_nc_u32_e32 v42, 1, v54
	v_add_nc_u32_e32 v54, 2, v54
	v_lshlrev_b64 v[38:39], 4, v[38:39]
	v_lshlrev_b64 v[50:51], 4, v[50:51]
	;; [unrolled: 1-line block ×3, first 2 shown]
	v_add_co_u32 v34, vcc_lo, s10, v32
	v_add_co_ci_u32_e32 v35, vcc_lo, s11, v33, vcc_lo
	v_add_co_u32 v44, vcc_lo, s8, v38
	global_load_b128 v[30:33], v[30:31], off
	global_load_b128 v[34:37], v[34:35], off
	v_add_co_ci_u32_e32 v45, vcc_lo, s9, v39, vcc_lo
	v_add_co_u32 v46, vcc_lo, s10, v42
	v_add_co_ci_u32_e32 v47, vcc_lo, s11, v43, vcc_lo
	s_clause 0x1
	global_load_b128 v[38:41], v[44:45], off offset:16
	global_load_b128 v[42:45], v[44:45], off
	global_load_b128 v[46:49], v[46:47], off
	v_lshlrev_b64 v[54:55], 4, v[54:55]
	v_add_co_u32 v56, vcc_lo, s8, v50
	v_add_co_ci_u32_e32 v57, vcc_lo, s9, v51, vcc_lo
	s_delay_alu instid0(VALU_DEP_3) | instskip(NEXT) | instid1(VALU_DEP_4)
	v_add_co_u32 v58, vcc_lo, s10, v54
	v_add_co_ci_u32_e32 v59, vcc_lo, s11, v55, vcc_lo
	s_clause 0x1
	global_load_b128 v[50:53], v[56:57], off offset:16
	global_load_b128 v[54:57], v[56:57], off
	global_load_b128 v[58:61], v[58:59], off
	v_cmp_ge_i32_e32 vcc_lo, v21, v23
	s_or_b32 s4, vcc_lo, s4
	s_waitcnt vmcnt(6)
	v_fma_f64 v[13:14], v[30:31], v[34:35], v[13:14]
	v_fma_f64 v[10:11], v[32:33], v[34:35], v[11:12]
	;; [unrolled: 1-line block ×4, first 2 shown]
	s_delay_alu instid0(VALU_DEP_4) | instskip(NEXT) | instid1(VALU_DEP_4)
	v_fma_f64 v[12:13], -v[32:33], v[36:37], v[13:14]
	v_fma_f64 v[10:11], v[30:31], v[36:37], v[10:11]
	s_delay_alu instid0(VALU_DEP_4) | instskip(NEXT) | instid1(VALU_DEP_4)
	v_fma_f64 v[14:15], -v[28:29], v[36:37], v[15:16]
	v_fma_f64 v[16:17], v[26:27], v[36:37], v[17:18]
	s_waitcnt vmcnt(3)
	s_delay_alu instid0(VALU_DEP_4) | instskip(NEXT) | instid1(VALU_DEP_4)
	v_fma_f64 v[12:13], v[42:43], v[46:47], v[12:13]
	v_fma_f64 v[10:11], v[44:45], v[46:47], v[10:11]
	s_delay_alu instid0(VALU_DEP_4) | instskip(NEXT) | instid1(VALU_DEP_4)
	v_fma_f64 v[14:15], v[38:39], v[46:47], v[14:15]
	v_fma_f64 v[16:17], v[40:41], v[46:47], v[16:17]
	s_delay_alu instid0(VALU_DEP_4) | instskip(NEXT) | instid1(VALU_DEP_4)
	v_fma_f64 v[12:13], -v[44:45], v[48:49], v[12:13]
	v_fma_f64 v[10:11], v[42:43], v[48:49], v[10:11]
	s_delay_alu instid0(VALU_DEP_4) | instskip(NEXT) | instid1(VALU_DEP_4)
	v_fma_f64 v[14:15], -v[40:41], v[48:49], v[14:15]
	v_fma_f64 v[16:17], v[38:39], v[48:49], v[16:17]
	s_waitcnt vmcnt(0)
	s_delay_alu instid0(VALU_DEP_4) | instskip(NEXT) | instid1(VALU_DEP_4)
	v_fma_f64 v[12:13], v[54:55], v[58:59], v[12:13]
	v_fma_f64 v[10:11], v[56:57], v[58:59], v[10:11]
	s_delay_alu instid0(VALU_DEP_4) | instskip(NEXT) | instid1(VALU_DEP_4)
	v_fma_f64 v[26:27], v[50:51], v[58:59], v[14:15]
	v_fma_f64 v[17:18], v[52:53], v[58:59], v[16:17]
	s_delay_alu instid0(VALU_DEP_4) | instskip(NEXT) | instid1(VALU_DEP_4)
	v_fma_f64 v[13:14], -v[56:57], v[60:61], v[12:13]
	v_fma_f64 v[11:12], v[54:55], v[60:61], v[10:11]
	s_delay_alu instid0(VALU_DEP_4) | instskip(NEXT) | instid1(VALU_DEP_4)
	v_fma_f64 v[15:16], -v[52:53], v[60:61], v[26:27]
	v_fma_f64 v[17:18], v[50:51], v[60:61], v[17:18]
	s_and_not1_b32 exec_lo, exec_lo, s4
	s_cbranch_execnz .LBB234_11
; %bb.12:
	s_or_b32 exec_lo, exec_lo, s4
.LBB234_13:
	s_delay_alu instid0(SALU_CYCLE_1)
	s_or_b32 exec_lo, exec_lo, s1
	s_cbranch_execz .LBB234_15
	s_branch .LBB234_20
.LBB234_14:
                                        ; implicit-def: $vgpr11_vgpr12
                                        ; implicit-def: $vgpr13_vgpr14
                                        ; implicit-def: $vgpr15_vgpr16
                                        ; implicit-def: $vgpr17_vgpr18
.LBB234_15:
	v_mov_b32_e32 v11, 0
	v_mov_b32_e32 v12, 0
	s_delay_alu instid0(VALU_DEP_1)
	v_dual_mov_b32 v14, v12 :: v_dual_mov_b32 v13, v11
	v_dual_mov_b32 v16, v12 :: v_dual_mov_b32 v15, v11
	;; [unrolled: 1-line block ×3, first 2 shown]
	s_and_saveexec_b32 s1, s0
	s_cbranch_execz .LBB234_19
; %bb.16:
	v_mov_b32_e32 v11, 0
	v_dual_mov_b32 v12, 0 :: v_dual_mov_b32 v21, 0
	v_mad_u64_u32 v[19:20], null, v9, 6, 5
	s_mov_b32 s0, 0
	s_delay_alu instid0(VALU_DEP_2)
	v_dual_mov_b32 v14, v12 :: v_dual_mov_b32 v13, v11
	v_dual_mov_b32 v16, v12 :: v_dual_mov_b32 v15, v11
	;; [unrolled: 1-line block ×3, first 2 shown]
.LBB234_17:                             ; =>This Inner Loop Header: Depth=1
	v_ashrrev_i32_e32 v10, 31, v9
	v_dual_mov_b32 v55, v21 :: v_dual_add_nc_u32 v20, -5, v19
	s_delay_alu instid0(VALU_DEP_2) | instskip(NEXT) | instid1(VALU_DEP_2)
	v_lshlrev_b64 v[26:27], 2, v[9:10]
	v_lshlrev_b64 v[28:29], 4, v[20:21]
	v_add_nc_u32_e32 v9, 8, v9
	s_delay_alu instid0(VALU_DEP_3) | instskip(NEXT) | instid1(VALU_DEP_4)
	v_add_co_u32 v26, vcc_lo, s6, v26
	v_add_co_ci_u32_e32 v27, vcc_lo, s7, v27, vcc_lo
	s_delay_alu instid0(VALU_DEP_4) | instskip(SKIP_3) | instid1(VALU_DEP_1)
	v_add_co_u32 v30, vcc_lo, s8, v28
	v_add_co_ci_u32_e32 v31, vcc_lo, s9, v29, vcc_lo
	global_load_b32 v10, v[26:27], off
	v_dual_mov_b32 v27, v21 :: v_dual_add_nc_u32 v26, -2, v19
	v_lshlrev_b64 v[26:27], 4, v[26:27]
	s_delay_alu instid0(VALU_DEP_1) | instskip(NEXT) | instid1(VALU_DEP_2)
	v_add_co_u32 v34, vcc_lo, s8, v26
	v_add_co_ci_u32_e32 v35, vcc_lo, s9, v27, vcc_lo
	s_clause 0x1
	global_load_b128 v[26:29], v[30:31], off offset:16
	global_load_b128 v[30:33], v[30:31], off
	s_waitcnt vmcnt(2)
	v_subrev_nc_u32_e32 v10, s12, v10
	s_delay_alu instid0(VALU_DEP_1) | instskip(NEXT) | instid1(VALU_DEP_1)
	v_lshl_add_u32 v54, v10, 1, v10
	v_lshlrev_b64 v[36:37], 4, v[54:55]
	v_add_nc_u32_e32 v20, 1, v54
	s_delay_alu instid0(VALU_DEP_2) | instskip(NEXT) | instid1(VALU_DEP_3)
	v_add_co_u32 v38, vcc_lo, s10, v36
	v_add_co_ci_u32_e32 v39, vcc_lo, s11, v37, vcc_lo
	s_delay_alu instid0(VALU_DEP_3) | instskip(SKIP_4) | instid1(VALU_DEP_2)
	v_lshlrev_b64 v[42:43], 4, v[20:21]
	global_load_b128 v[34:37], v[34:35], off
	global_load_b128 v[38:41], v[38:39], off
	v_add_nc_u32_e32 v20, -1, v19
	v_add_co_u32 v42, vcc_lo, s10, v42
	v_lshlrev_b64 v[44:45], 4, v[20:21]
	v_add_co_ci_u32_e32 v43, vcc_lo, s11, v43, vcc_lo
	v_mov_b32_e32 v20, v21
	s_delay_alu instid0(VALU_DEP_3) | instskip(NEXT) | instid1(VALU_DEP_4)
	v_add_co_u32 v46, vcc_lo, s8, v44
	v_add_co_ci_u32_e32 v47, vcc_lo, s9, v45, vcc_lo
	global_load_b128 v[42:45], v[42:43], off
	global_load_b128 v[46:49], v[46:47], off
	v_lshlrev_b64 v[50:51], 4, v[19:20]
	v_add_nc_u32_e32 v20, -3, v19
	v_add_nc_u32_e32 v19, 48, v19
	s_delay_alu instid0(VALU_DEP_2) | instskip(SKIP_3) | instid1(VALU_DEP_3)
	v_lshlrev_b64 v[55:56], 4, v[20:21]
	v_add_nc_u32_e32 v20, 2, v54
	v_add_co_u32 v50, vcc_lo, s8, v50
	v_add_co_ci_u32_e32 v51, vcc_lo, s9, v51, vcc_lo
	v_lshlrev_b64 v[57:58], 4, v[20:21]
	v_add_co_u32 v54, vcc_lo, s8, v55
	v_add_co_ci_u32_e32 v55, vcc_lo, s9, v56, vcc_lo
	global_load_b128 v[50:53], v[50:51], off
	v_add_co_u32 v59, vcc_lo, s10, v57
	v_add_co_ci_u32_e32 v60, vcc_lo, s11, v58, vcc_lo
	global_load_b128 v[54:57], v[54:55], off
	global_load_b128 v[58:61], v[59:60], off
	v_cmp_ge_i32_e32 vcc_lo, v9, v23
	s_or_b32 s0, vcc_lo, s0
	s_waitcnt vmcnt(5)
	v_fma_f64 v[13:14], v[30:31], v[38:39], v[13:14]
	v_fma_f64 v[10:11], v[32:33], v[38:39], v[11:12]
	;; [unrolled: 1-line block ×4, first 2 shown]
	s_delay_alu instid0(VALU_DEP_4) | instskip(NEXT) | instid1(VALU_DEP_4)
	v_fma_f64 v[12:13], -v[32:33], v[40:41], v[13:14]
	v_fma_f64 v[10:11], v[30:31], v[40:41], v[10:11]
	s_delay_alu instid0(VALU_DEP_4) | instskip(NEXT) | instid1(VALU_DEP_4)
	v_fma_f64 v[14:15], -v[36:37], v[40:41], v[15:16]
	v_fma_f64 v[16:17], v[34:35], v[40:41], v[17:18]
	s_waitcnt vmcnt(4)
	s_delay_alu instid0(VALU_DEP_4) | instskip(NEXT) | instid1(VALU_DEP_4)
	v_fma_f64 v[12:13], v[26:27], v[42:43], v[12:13]
	v_fma_f64 v[10:11], v[28:29], v[42:43], v[10:11]
	s_waitcnt vmcnt(3)
	s_delay_alu instid0(VALU_DEP_4) | instskip(NEXT) | instid1(VALU_DEP_4)
	v_fma_f64 v[14:15], v[46:47], v[42:43], v[14:15]
	v_fma_f64 v[16:17], v[48:49], v[42:43], v[16:17]
	s_delay_alu instid0(VALU_DEP_4) | instskip(NEXT) | instid1(VALU_DEP_4)
	v_fma_f64 v[12:13], -v[28:29], v[44:45], v[12:13]
	v_fma_f64 v[10:11], v[26:27], v[44:45], v[10:11]
	s_delay_alu instid0(VALU_DEP_4) | instskip(NEXT) | instid1(VALU_DEP_4)
	v_fma_f64 v[14:15], -v[48:49], v[44:45], v[14:15]
	v_fma_f64 v[16:17], v[46:47], v[44:45], v[16:17]
	s_waitcnt vmcnt(0)
	s_delay_alu instid0(VALU_DEP_4) | instskip(NEXT) | instid1(VALU_DEP_4)
	v_fma_f64 v[12:13], v[54:55], v[58:59], v[12:13]
	v_fma_f64 v[10:11], v[56:57], v[58:59], v[10:11]
	s_delay_alu instid0(VALU_DEP_4) | instskip(NEXT) | instid1(VALU_DEP_4)
	v_fma_f64 v[26:27], v[50:51], v[58:59], v[14:15]
	v_fma_f64 v[17:18], v[52:53], v[58:59], v[16:17]
	s_delay_alu instid0(VALU_DEP_4) | instskip(NEXT) | instid1(VALU_DEP_4)
	v_fma_f64 v[13:14], -v[56:57], v[60:61], v[12:13]
	v_fma_f64 v[11:12], v[54:55], v[60:61], v[10:11]
	s_delay_alu instid0(VALU_DEP_4) | instskip(NEXT) | instid1(VALU_DEP_4)
	v_fma_f64 v[15:16], -v[52:53], v[60:61], v[26:27]
	v_fma_f64 v[17:18], v[50:51], v[60:61], v[17:18]
	s_and_not1_b32 exec_lo, exec_lo, s0
	s_cbranch_execnz .LBB234_17
; %bb.18:
	s_or_b32 exec_lo, exec_lo, s0
.LBB234_19:
	s_delay_alu instid0(SALU_CYCLE_1)
	s_or_b32 exec_lo, exec_lo, s1
.LBB234_20:
	v_mbcnt_lo_u32_b32 v26, -1, 0
	s_delay_alu instid0(VALU_DEP_1) | instskip(NEXT) | instid1(VALU_DEP_1)
	v_xor_b32_e32 v9, 4, v26
	v_cmp_gt_i32_e32 vcc_lo, 32, v9
	v_cndmask_b32_e32 v9, v26, v9, vcc_lo
	s_delay_alu instid0(VALU_DEP_1)
	v_lshlrev_b32_e32 v24, 2, v9
	ds_bpermute_b32 v9, v24, v13
	ds_bpermute_b32 v10, v24, v14
	;; [unrolled: 1-line block ×4, first 2 shown]
	s_waitcnt lgkmcnt(2)
	v_add_f64 v[9:10], v[13:14], v[9:10]
	s_waitcnt lgkmcnt(0)
	v_add_f64 v[13:14], v[15:16], v[21:22]
	v_xor_b32_e32 v15, 2, v26
	s_delay_alu instid0(VALU_DEP_1)
	v_cmp_gt_i32_e32 vcc_lo, 32, v15
	v_cndmask_b32_e32 v15, v26, v15, vcc_lo
	ds_bpermute_b32 v19, v24, v11
	ds_bpermute_b32 v20, v24, v12
	;; [unrolled: 1-line block ×4, first 2 shown]
	s_waitcnt lgkmcnt(2)
	v_add_f64 v[11:12], v[11:12], v[19:20]
	s_waitcnt lgkmcnt(0)
	v_add_f64 v[17:18], v[17:18], v[23:24]
	v_lshlrev_b32_e32 v24, 2, v15
	ds_bpermute_b32 v15, v24, v9
	ds_bpermute_b32 v16, v24, v10
	;; [unrolled: 1-line block ×4, first 2 shown]
	s_waitcnt lgkmcnt(2)
	v_add_f64 v[9:10], v[9:10], v[15:16]
	ds_bpermute_b32 v19, v24, v11
	ds_bpermute_b32 v20, v24, v12
	;; [unrolled: 1-line block ×4, first 2 shown]
	s_waitcnt lgkmcnt(2)
	v_add_f64 v[15:16], v[11:12], v[19:20]
	v_add_f64 v[11:12], v[13:14], v[21:22]
	s_waitcnt lgkmcnt(0)
	v_add_f64 v[13:14], v[17:18], v[23:24]
	v_xor_b32_e32 v17, 1, v26
	s_delay_alu instid0(VALU_DEP_1) | instskip(SKIP_2) | instid1(VALU_DEP_2)
	v_cmp_gt_i32_e32 vcc_lo, 32, v17
	v_cndmask_b32_e32 v17, v26, v17, vcc_lo
	v_cmp_eq_u32_e32 vcc_lo, 7, v25
	v_lshlrev_b32_e32 v20, 2, v17
	ds_bpermute_b32 v23, v20, v9
	ds_bpermute_b32 v24, v20, v10
	ds_bpermute_b32 v21, v20, v15
	ds_bpermute_b32 v22, v20, v16
	ds_bpermute_b32 v17, v20, v11
	ds_bpermute_b32 v18, v20, v12
	ds_bpermute_b32 v19, v20, v13
	ds_bpermute_b32 v20, v20, v14
	s_and_b32 exec_lo, exec_lo, vcc_lo
	s_cbranch_execz .LBB234_25
; %bb.21:
	v_cmp_eq_f64_e32 vcc_lo, 0, v[4:5]
	v_cmp_eq_f64_e64 s0, 0, v[6:7]
	s_waitcnt lgkmcnt(6)
	v_add_f64 v[9:10], v[9:10], v[23:24]
	s_waitcnt lgkmcnt(4)
	v_add_f64 v[15:16], v[15:16], v[21:22]
	;; [unrolled: 2-line block ×4, first 2 shown]
	s_load_b64 s[2:3], s[2:3], 0x48
	s_and_b32 s0, vcc_lo, s0
	s_delay_alu instid0(SALU_CYCLE_1) | instskip(NEXT) | instid1(SALU_CYCLE_1)
	s_and_saveexec_b32 s1, s0
	s_xor_b32 s0, exec_lo, s1
	s_cbranch_execz .LBB234_23
; %bb.22:
	s_delay_alu instid0(VALU_DEP_3) | instskip(SKIP_1) | instid1(VALU_DEP_3)
	v_mul_f64 v[4:5], v[15:16], -v[2:3]
	v_mul_f64 v[6:7], v[0:1], v[15:16]
	v_mul_f64 v[15:16], v[13:14], -v[2:3]
	v_mul_f64 v[13:14], v[0:1], v[13:14]
	v_lshlrev_b32_e32 v8, 1, v8
	v_fma_f64 v[4:5], v[0:1], v[9:10], v[4:5]
	v_fma_f64 v[6:7], v[2:3], v[9:10], v[6:7]
	;; [unrolled: 1-line block ×4, first 2 shown]
	v_ashrrev_i32_e32 v9, 31, v8
                                        ; implicit-def: $vgpr15_vgpr16
                                        ; implicit-def: $vgpr11_vgpr12
                                        ; implicit-def: $vgpr13_vgpr14
	s_delay_alu instid0(VALU_DEP_1) | instskip(SKIP_1) | instid1(VALU_DEP_1)
	v_lshlrev_b64 v[8:9], 4, v[8:9]
	s_waitcnt lgkmcnt(0)
	v_add_co_u32 v8, vcc_lo, s2, v8
	s_delay_alu instid0(VALU_DEP_2)
	v_add_co_ci_u32_e32 v9, vcc_lo, s3, v9, vcc_lo
	s_clause 0x1
	global_store_b128 v[8:9], v[4:7], off
	global_store_b128 v[8:9], v[0:3], off offset:16
                                        ; implicit-def: $vgpr0_vgpr1
                                        ; implicit-def: $vgpr2_vgpr3
                                        ; implicit-def: $vgpr4_vgpr5
                                        ; implicit-def: $vgpr6_vgpr7
                                        ; implicit-def: $vgpr8
                                        ; implicit-def: $vgpr9_vgpr10
.LBB234_23:
	s_and_not1_saveexec_b32 s0, s0
	s_cbranch_execz .LBB234_25
; %bb.24:
	v_lshlrev_b32_e32 v17, 1, v8
	s_delay_alu instid0(VALU_DEP_4) | instskip(SKIP_1) | instid1(VALU_DEP_4)
	v_mul_f64 v[27:28], v[15:16], -v[2:3]
	v_mul_f64 v[15:16], v[0:1], v[15:16]
	v_mul_f64 v[29:30], v[13:14], -v[2:3]
	v_mul_f64 v[13:14], v[0:1], v[13:14]
	v_ashrrev_i32_e32 v18, 31, v17
	s_delay_alu instid0(VALU_DEP_1) | instskip(SKIP_1) | instid1(VALU_DEP_1)
	v_lshlrev_b64 v[17:18], 4, v[17:18]
	s_waitcnt lgkmcnt(0)
	v_add_co_u32 v25, vcc_lo, s2, v17
	s_delay_alu instid0(VALU_DEP_2)
	v_add_co_ci_u32_e32 v26, vcc_lo, s3, v18, vcc_lo
	s_clause 0x1
	global_load_b128 v[17:20], v[25:26], off
	global_load_b128 v[21:24], v[25:26], off offset:16
	v_fma_f64 v[27:28], v[0:1], v[9:10], v[27:28]
	v_fma_f64 v[8:9], v[2:3], v[9:10], v[15:16]
	;; [unrolled: 1-line block ×4, first 2 shown]
	s_waitcnt vmcnt(1)
	s_delay_alu instid0(VALU_DEP_4) | instskip(NEXT) | instid1(VALU_DEP_4)
	v_fma_f64 v[10:11], v[4:5], v[17:18], v[27:28]
	v_fma_f64 v[8:9], v[6:7], v[17:18], v[8:9]
	s_waitcnt vmcnt(0)
	s_delay_alu instid0(VALU_DEP_4) | instskip(NEXT) | instid1(VALU_DEP_4)
	v_fma_f64 v[12:13], v[4:5], v[21:22], v[0:1]
	v_fma_f64 v[14:15], v[6:7], v[21:22], v[2:3]
	s_delay_alu instid0(VALU_DEP_4) | instskip(NEXT) | instid1(VALU_DEP_4)
	v_fma_f64 v[0:1], -v[6:7], v[19:20], v[10:11]
	v_fma_f64 v[2:3], v[4:5], v[19:20], v[8:9]
	s_delay_alu instid0(VALU_DEP_4) | instskip(NEXT) | instid1(VALU_DEP_4)
	v_fma_f64 v[6:7], -v[6:7], v[23:24], v[12:13]
	v_fma_f64 v[8:9], v[4:5], v[23:24], v[14:15]
	s_clause 0x1
	global_store_b128 v[25:26], v[0:3], off
	global_store_b128 v[25:26], v[6:9], off offset:16
.LBB234_25:
	s_nop 0
	s_sendmsg sendmsg(MSG_DEALLOC_VGPRS)
	s_endpgm
	.section	.rodata,"a",@progbits
	.p2align	6, 0x0
	.amdhsa_kernel _ZN9rocsparseL19gebsrmvn_2xn_kernelILj128ELj3ELj8E21rocsparse_complex_numIdEEEvi20rocsparse_direction_NS_24const_host_device_scalarIT2_EEPKiS8_PKS5_SA_S6_PS5_21rocsparse_index_base_b
		.amdhsa_group_segment_fixed_size 2048
		.amdhsa_private_segment_fixed_size 0
		.amdhsa_kernarg_size 88
		.amdhsa_user_sgpr_count 15
		.amdhsa_user_sgpr_dispatch_ptr 1
		.amdhsa_user_sgpr_queue_ptr 0
		.amdhsa_user_sgpr_kernarg_segment_ptr 1
		.amdhsa_user_sgpr_dispatch_id 0
		.amdhsa_user_sgpr_private_segment_size 0
		.amdhsa_wavefront_size32 1
		.amdhsa_uses_dynamic_stack 0
		.amdhsa_enable_private_segment 0
		.amdhsa_system_sgpr_workgroup_id_x 1
		.amdhsa_system_sgpr_workgroup_id_y 0
		.amdhsa_system_sgpr_workgroup_id_z 0
		.amdhsa_system_sgpr_workgroup_info 0
		.amdhsa_system_vgpr_workitem_id 2
		.amdhsa_next_free_vgpr 62
		.amdhsa_next_free_sgpr 18
		.amdhsa_reserve_vcc 1
		.amdhsa_float_round_mode_32 0
		.amdhsa_float_round_mode_16_64 0
		.amdhsa_float_denorm_mode_32 3
		.amdhsa_float_denorm_mode_16_64 3
		.amdhsa_dx10_clamp 1
		.amdhsa_ieee_mode 1
		.amdhsa_fp16_overflow 0
		.amdhsa_workgroup_processor_mode 1
		.amdhsa_memory_ordered 1
		.amdhsa_forward_progress 0
		.amdhsa_shared_vgpr_count 0
		.amdhsa_exception_fp_ieee_invalid_op 0
		.amdhsa_exception_fp_denorm_src 0
		.amdhsa_exception_fp_ieee_div_zero 0
		.amdhsa_exception_fp_ieee_overflow 0
		.amdhsa_exception_fp_ieee_underflow 0
		.amdhsa_exception_fp_ieee_inexact 0
		.amdhsa_exception_int_div_zero 0
	.end_amdhsa_kernel
	.section	.text._ZN9rocsparseL19gebsrmvn_2xn_kernelILj128ELj3ELj8E21rocsparse_complex_numIdEEEvi20rocsparse_direction_NS_24const_host_device_scalarIT2_EEPKiS8_PKS5_SA_S6_PS5_21rocsparse_index_base_b,"axG",@progbits,_ZN9rocsparseL19gebsrmvn_2xn_kernelILj128ELj3ELj8E21rocsparse_complex_numIdEEEvi20rocsparse_direction_NS_24const_host_device_scalarIT2_EEPKiS8_PKS5_SA_S6_PS5_21rocsparse_index_base_b,comdat
.Lfunc_end234:
	.size	_ZN9rocsparseL19gebsrmvn_2xn_kernelILj128ELj3ELj8E21rocsparse_complex_numIdEEEvi20rocsparse_direction_NS_24const_host_device_scalarIT2_EEPKiS8_PKS5_SA_S6_PS5_21rocsparse_index_base_b, .Lfunc_end234-_ZN9rocsparseL19gebsrmvn_2xn_kernelILj128ELj3ELj8E21rocsparse_complex_numIdEEEvi20rocsparse_direction_NS_24const_host_device_scalarIT2_EEPKiS8_PKS5_SA_S6_PS5_21rocsparse_index_base_b
                                        ; -- End function
	.section	.AMDGPU.csdata,"",@progbits
; Kernel info:
; codeLenInByte = 2732
; NumSgprs: 20
; NumVgprs: 62
; ScratchSize: 0
; MemoryBound: 0
; FloatMode: 240
; IeeeMode: 1
; LDSByteSize: 2048 bytes/workgroup (compile time only)
; SGPRBlocks: 2
; VGPRBlocks: 7
; NumSGPRsForWavesPerEU: 20
; NumVGPRsForWavesPerEU: 62
; Occupancy: 16
; WaveLimiterHint : 1
; COMPUTE_PGM_RSRC2:SCRATCH_EN: 0
; COMPUTE_PGM_RSRC2:USER_SGPR: 15
; COMPUTE_PGM_RSRC2:TRAP_HANDLER: 0
; COMPUTE_PGM_RSRC2:TGID_X_EN: 1
; COMPUTE_PGM_RSRC2:TGID_Y_EN: 0
; COMPUTE_PGM_RSRC2:TGID_Z_EN: 0
; COMPUTE_PGM_RSRC2:TIDIG_COMP_CNT: 2
	.section	.text._ZN9rocsparseL19gebsrmvn_2xn_kernelILj128ELj3ELj16E21rocsparse_complex_numIdEEEvi20rocsparse_direction_NS_24const_host_device_scalarIT2_EEPKiS8_PKS5_SA_S6_PS5_21rocsparse_index_base_b,"axG",@progbits,_ZN9rocsparseL19gebsrmvn_2xn_kernelILj128ELj3ELj16E21rocsparse_complex_numIdEEEvi20rocsparse_direction_NS_24const_host_device_scalarIT2_EEPKiS8_PKS5_SA_S6_PS5_21rocsparse_index_base_b,comdat
	.globl	_ZN9rocsparseL19gebsrmvn_2xn_kernelILj128ELj3ELj16E21rocsparse_complex_numIdEEEvi20rocsparse_direction_NS_24const_host_device_scalarIT2_EEPKiS8_PKS5_SA_S6_PS5_21rocsparse_index_base_b ; -- Begin function _ZN9rocsparseL19gebsrmvn_2xn_kernelILj128ELj3ELj16E21rocsparse_complex_numIdEEEvi20rocsparse_direction_NS_24const_host_device_scalarIT2_EEPKiS8_PKS5_SA_S6_PS5_21rocsparse_index_base_b
	.p2align	8
	.type	_ZN9rocsparseL19gebsrmvn_2xn_kernelILj128ELj3ELj16E21rocsparse_complex_numIdEEEvi20rocsparse_direction_NS_24const_host_device_scalarIT2_EEPKiS8_PKS5_SA_S6_PS5_21rocsparse_index_base_b,@function
_ZN9rocsparseL19gebsrmvn_2xn_kernelILj128ELj3ELj16E21rocsparse_complex_numIdEEEvi20rocsparse_direction_NS_24const_host_device_scalarIT2_EEPKiS8_PKS5_SA_S6_PS5_21rocsparse_index_base_b: ; @_ZN9rocsparseL19gebsrmvn_2xn_kernelILj128ELj3ELj16E21rocsparse_complex_numIdEEEvi20rocsparse_direction_NS_24const_host_device_scalarIT2_EEPKiS8_PKS5_SA_S6_PS5_21rocsparse_index_base_b
; %bb.0:
	s_load_b64 s[12:13], s[2:3], 0x50
	s_load_b64 s[16:17], s[0:1], 0x4
	s_load_b128 s[8:11], s[2:3], 0x8
	v_bfe_u32 v1, v0, 10, 10
	s_mov_b64 s[0:1], src_shared_base
	s_load_b128 s[4:7], s[2:3], 0x38
	v_and_b32_e32 v10, 0x3ff, v0
	v_bfe_u32 v0, v0, 20, 10
	s_waitcnt lgkmcnt(0)
	s_bitcmp1_b32 s13, 0
	v_mul_u32_u24_e32 v1, s17, v1
	s_cselect_b32 s0, -1, 0
	s_delay_alu instid0(SALU_CYCLE_1)
	s_and_b32 vcc_lo, s0, exec_lo
	s_cselect_b32 s13, s1, s9
	s_lshr_b32 s14, s16, 16
	v_dual_mov_b32 v2, s4 :: v_dual_mov_b32 v3, s5
	s_mul_i32 s14, s14, s17
	v_mov_b32_e32 v6, s13
	v_mad_u32_u24 v1, s14, v10, v1
	s_delay_alu instid0(VALU_DEP_1) | instskip(SKIP_1) | instid1(VALU_DEP_2)
	v_add_lshl_u32 v4, v1, v0, 3
	v_dual_mov_b32 v0, s8 :: v_dual_mov_b32 v1, s9
	v_add_nc_u32_e32 v5, 0x400, v4
	ds_store_2addr_stride64_b64 v4, v[2:3], v[0:1] offset1:2
	v_dual_mov_b32 v2, s10 :: v_dual_mov_b32 v3, s11
	v_cndmask_b32_e64 v5, s8, v5, s0
	s_xor_b32 s10, s0, -1
	flat_load_b64 v[0:1], v[5:6]
	s_cbranch_vccnz .LBB235_2
; %bb.1:
	v_dual_mov_b32 v2, s8 :: v_dual_mov_b32 v3, s9
	flat_load_b64 v[2:3], v[2:3] offset:8
.LBB235_2:
	s_and_b32 s8, s0, exec_lo
	s_cselect_b32 s1, s1, s5
	v_cndmask_b32_e64 v4, s4, v4, s0
	v_dual_mov_b32 v5, s1 :: v_dual_mov_b32 v6, s6
	v_mov_b32_e32 v7, s7
	s_and_not1_b32 vcc_lo, exec_lo, s10
	flat_load_b64 v[4:5], v[4:5]
	s_cbranch_vccnz .LBB235_4
; %bb.3:
	v_dual_mov_b32 v7, s5 :: v_dual_mov_b32 v6, s4
	flat_load_b64 v[6:7], v[6:7] offset:8
.LBB235_4:
	s_waitcnt vmcnt(1) lgkmcnt(1)
	v_cmp_eq_f64_e32 vcc_lo, 0, v[0:1]
	v_cmp_eq_f64_e64 s0, 0, v[2:3]
	s_delay_alu instid0(VALU_DEP_1)
	s_and_b32 s4, vcc_lo, s0
	s_mov_b32 s0, -1
	s_and_saveexec_b32 s1, s4
	s_cbranch_execz .LBB235_6
; %bb.5:
	s_waitcnt vmcnt(0) lgkmcnt(0)
	v_cmp_neq_f64_e32 vcc_lo, 1.0, v[4:5]
	v_cmp_neq_f64_e64 s0, 0, v[6:7]
	s_delay_alu instid0(VALU_DEP_1) | instskip(NEXT) | instid1(SALU_CYCLE_1)
	s_or_b32 s0, vcc_lo, s0
	s_or_not1_b32 s0, s0, exec_lo
.LBB235_6:
	s_or_b32 exec_lo, exec_lo, s1
	s_and_saveexec_b32 s1, s0
	s_cbranch_execz .LBB235_25
; %bb.7:
	s_load_b64 s[0:1], s[2:3], 0x0
	v_lshrrev_b32_e32 v8, 4, v10
	s_delay_alu instid0(VALU_DEP_1) | instskip(SKIP_1) | instid1(VALU_DEP_1)
	v_lshl_or_b32 v8, s15, 3, v8
	s_waitcnt lgkmcnt(0)
	v_cmp_gt_i32_e32 vcc_lo, s0, v8
	s_and_b32 exec_lo, exec_lo, vcc_lo
	s_cbranch_execz .LBB235_25
; %bb.8:
	s_load_b256 s[4:11], s[2:3], 0x18
	v_ashrrev_i32_e32 v9, 31, v8
	v_and_b32_e32 v25, 15, v10
	s_cmp_lg_u32 s1, 0
	s_delay_alu instid0(VALU_DEP_2) | instskip(SKIP_1) | instid1(VALU_DEP_1)
	v_lshlrev_b64 v[11:12], 2, v[8:9]
	s_waitcnt lgkmcnt(0)
	v_add_co_u32 v11, vcc_lo, s4, v11
	s_delay_alu instid0(VALU_DEP_2) | instskip(SKIP_4) | instid1(VALU_DEP_2)
	v_add_co_ci_u32_e32 v12, vcc_lo, s5, v12, vcc_lo
	global_load_b64 v[11:12], v[11:12], off
	s_waitcnt vmcnt(0)
	v_subrev_nc_u32_e32 v9, s12, v11
	v_subrev_nc_u32_e32 v23, s12, v12
	v_add_nc_u32_e32 v11, v9, v25
	s_delay_alu instid0(VALU_DEP_1)
	v_cmp_lt_i32_e64 s0, v11, v23
	s_cbranch_scc0 .LBB235_14
; %bb.9:
	v_mov_b32_e32 v9, 0
	v_mov_b32_e32 v10, 0
	s_delay_alu instid0(VALU_DEP_1)
	v_dual_mov_b32 v14, v10 :: v_dual_mov_b32 v13, v9
	v_dual_mov_b32 v16, v10 :: v_dual_mov_b32 v15, v9
	;; [unrolled: 1-line block ×3, first 2 shown]
	s_and_saveexec_b32 s1, s0
	s_cbranch_execz .LBB235_13
; %bb.10:
	v_dual_mov_b32 v9, 0 :: v_dual_mov_b32 v20, 0
	v_dual_mov_b32 v10, 0 :: v_dual_mov_b32 v21, v11
	v_mul_lo_u32 v19, v11, 6
	s_mov_b32 s4, 0
	s_delay_alu instid0(VALU_DEP_2)
	v_dual_mov_b32 v14, v10 :: v_dual_mov_b32 v13, v9
	v_dual_mov_b32 v16, v10 :: v_dual_mov_b32 v15, v9
	;; [unrolled: 1-line block ×3, first 2 shown]
.LBB235_11:                             ; =>This Inner Loop Header: Depth=1
	v_ashrrev_i32_e32 v22, 31, v21
	v_dual_mov_b32 v55, v20 :: v_dual_add_nc_u32 v38, 2, v19
	v_dual_mov_b32 v43, v20 :: v_dual_add_nc_u32 v50, 4, v19
	s_delay_alu instid0(VALU_DEP_3) | instskip(SKIP_1) | instid1(VALU_DEP_2)
	v_lshlrev_b64 v[26:27], 2, v[21:22]
	v_add_nc_u32_e32 v21, 16, v21
	v_add_co_u32 v26, vcc_lo, s6, v26
	s_delay_alu instid0(VALU_DEP_3) | instskip(SKIP_3) | instid1(VALU_DEP_2)
	v_add_co_ci_u32_e32 v27, vcc_lo, s7, v27, vcc_lo
	global_load_b32 v12, v[26:27], off
	v_lshlrev_b64 v[26:27], 4, v[19:20]
	v_add_nc_u32_e32 v19, 0x60, v19
	v_add_co_u32 v30, vcc_lo, s8, v26
	s_delay_alu instid0(VALU_DEP_3) | instskip(SKIP_3) | instid1(VALU_DEP_1)
	v_add_co_ci_u32_e32 v31, vcc_lo, s9, v27, vcc_lo
	global_load_b128 v[26:29], v[30:31], off offset:16
	s_waitcnt vmcnt(1)
	v_subrev_nc_u32_e32 v12, s12, v12
	v_lshl_add_u32 v54, v12, 1, v12
	v_mov_b32_e32 v39, v20
	v_mov_b32_e32 v51, v20
	s_delay_alu instid0(VALU_DEP_3) | instskip(SKIP_4) | instid1(VALU_DEP_4)
	v_lshlrev_b64 v[32:33], 4, v[54:55]
	v_add_nc_u32_e32 v42, 1, v54
	v_add_nc_u32_e32 v54, 2, v54
	v_lshlrev_b64 v[38:39], 4, v[38:39]
	v_lshlrev_b64 v[50:51], 4, v[50:51]
	;; [unrolled: 1-line block ×3, first 2 shown]
	v_add_co_u32 v34, vcc_lo, s10, v32
	v_add_co_ci_u32_e32 v35, vcc_lo, s11, v33, vcc_lo
	v_add_co_u32 v44, vcc_lo, s8, v38
	global_load_b128 v[30:33], v[30:31], off
	global_load_b128 v[34:37], v[34:35], off
	v_add_co_ci_u32_e32 v45, vcc_lo, s9, v39, vcc_lo
	v_add_co_u32 v46, vcc_lo, s10, v42
	v_add_co_ci_u32_e32 v47, vcc_lo, s11, v43, vcc_lo
	s_clause 0x1
	global_load_b128 v[38:41], v[44:45], off offset:16
	global_load_b128 v[42:45], v[44:45], off
	global_load_b128 v[46:49], v[46:47], off
	v_lshlrev_b64 v[54:55], 4, v[54:55]
	v_add_co_u32 v56, vcc_lo, s8, v50
	v_add_co_ci_u32_e32 v57, vcc_lo, s9, v51, vcc_lo
	s_delay_alu instid0(VALU_DEP_3) | instskip(NEXT) | instid1(VALU_DEP_4)
	v_add_co_u32 v58, vcc_lo, s10, v54
	v_add_co_ci_u32_e32 v59, vcc_lo, s11, v55, vcc_lo
	s_clause 0x1
	global_load_b128 v[50:53], v[56:57], off offset:16
	global_load_b128 v[54:57], v[56:57], off
	global_load_b128 v[58:61], v[58:59], off
	v_cmp_ge_i32_e32 vcc_lo, v21, v23
	s_or_b32 s4, vcc_lo, s4
	s_waitcnt vmcnt(6)
	v_fma_f64 v[12:13], v[30:31], v[34:35], v[13:14]
	v_fma_f64 v[9:10], v[32:33], v[34:35], v[9:10]
	;; [unrolled: 1-line block ×4, first 2 shown]
	s_delay_alu instid0(VALU_DEP_4) | instskip(NEXT) | instid1(VALU_DEP_4)
	v_fma_f64 v[12:13], -v[32:33], v[36:37], v[12:13]
	v_fma_f64 v[9:10], v[30:31], v[36:37], v[9:10]
	s_delay_alu instid0(VALU_DEP_4) | instskip(NEXT) | instid1(VALU_DEP_4)
	v_fma_f64 v[14:15], -v[28:29], v[36:37], v[14:15]
	v_fma_f64 v[16:17], v[26:27], v[36:37], v[16:17]
	s_waitcnt vmcnt(3)
	s_delay_alu instid0(VALU_DEP_4) | instskip(NEXT) | instid1(VALU_DEP_4)
	v_fma_f64 v[12:13], v[42:43], v[46:47], v[12:13]
	v_fma_f64 v[9:10], v[44:45], v[46:47], v[9:10]
	s_delay_alu instid0(VALU_DEP_4) | instskip(NEXT) | instid1(VALU_DEP_4)
	v_fma_f64 v[14:15], v[38:39], v[46:47], v[14:15]
	v_fma_f64 v[16:17], v[40:41], v[46:47], v[16:17]
	s_delay_alu instid0(VALU_DEP_4) | instskip(NEXT) | instid1(VALU_DEP_4)
	v_fma_f64 v[12:13], -v[44:45], v[48:49], v[12:13]
	v_fma_f64 v[9:10], v[42:43], v[48:49], v[9:10]
	s_delay_alu instid0(VALU_DEP_4) | instskip(NEXT) | instid1(VALU_DEP_4)
	v_fma_f64 v[14:15], -v[40:41], v[48:49], v[14:15]
	v_fma_f64 v[16:17], v[38:39], v[48:49], v[16:17]
	s_waitcnt vmcnt(0)
	s_delay_alu instid0(VALU_DEP_4) | instskip(NEXT) | instid1(VALU_DEP_4)
	v_fma_f64 v[12:13], v[54:55], v[58:59], v[12:13]
	v_fma_f64 v[9:10], v[56:57], v[58:59], v[9:10]
	s_delay_alu instid0(VALU_DEP_4) | instskip(NEXT) | instid1(VALU_DEP_4)
	v_fma_f64 v[26:27], v[50:51], v[58:59], v[14:15]
	v_fma_f64 v[17:18], v[52:53], v[58:59], v[16:17]
	s_delay_alu instid0(VALU_DEP_4) | instskip(NEXT) | instid1(VALU_DEP_4)
	v_fma_f64 v[13:14], -v[56:57], v[60:61], v[12:13]
	v_fma_f64 v[9:10], v[54:55], v[60:61], v[9:10]
	s_delay_alu instid0(VALU_DEP_4) | instskip(NEXT) | instid1(VALU_DEP_4)
	v_fma_f64 v[15:16], -v[52:53], v[60:61], v[26:27]
	v_fma_f64 v[17:18], v[50:51], v[60:61], v[17:18]
	s_and_not1_b32 exec_lo, exec_lo, s4
	s_cbranch_execnz .LBB235_11
; %bb.12:
	s_or_b32 exec_lo, exec_lo, s4
.LBB235_13:
	s_delay_alu instid0(SALU_CYCLE_1)
	s_or_b32 exec_lo, exec_lo, s1
	s_cbranch_execz .LBB235_15
	s_branch .LBB235_20
.LBB235_14:
                                        ; implicit-def: $vgpr9_vgpr10
                                        ; implicit-def: $vgpr13_vgpr14
                                        ; implicit-def: $vgpr15_vgpr16
                                        ; implicit-def: $vgpr17_vgpr18
.LBB235_15:
	v_mov_b32_e32 v9, 0
	v_mov_b32_e32 v10, 0
	s_delay_alu instid0(VALU_DEP_1)
	v_dual_mov_b32 v14, v10 :: v_dual_mov_b32 v13, v9
	v_dual_mov_b32 v16, v10 :: v_dual_mov_b32 v15, v9
	;; [unrolled: 1-line block ×3, first 2 shown]
	s_and_saveexec_b32 s1, s0
	s_cbranch_execz .LBB235_19
; %bb.16:
	v_mov_b32_e32 v9, 0
	v_dual_mov_b32 v10, 0 :: v_dual_mov_b32 v21, 0
	v_mad_u64_u32 v[19:20], null, v11, 6, 5
	s_mov_b32 s0, 0
	s_delay_alu instid0(VALU_DEP_2)
	v_dual_mov_b32 v14, v10 :: v_dual_mov_b32 v13, v9
	v_dual_mov_b32 v16, v10 :: v_dual_mov_b32 v15, v9
	v_dual_mov_b32 v18, v10 :: v_dual_mov_b32 v17, v9
.LBB235_17:                             ; =>This Inner Loop Header: Depth=1
	v_ashrrev_i32_e32 v12, 31, v11
	v_dual_mov_b32 v55, v21 :: v_dual_add_nc_u32 v20, -5, v19
	s_delay_alu instid0(VALU_DEP_2) | instskip(NEXT) | instid1(VALU_DEP_2)
	v_lshlrev_b64 v[26:27], 2, v[11:12]
	v_lshlrev_b64 v[28:29], 4, v[20:21]
	v_add_nc_u32_e32 v11, 16, v11
	s_delay_alu instid0(VALU_DEP_3) | instskip(NEXT) | instid1(VALU_DEP_4)
	v_add_co_u32 v26, vcc_lo, s6, v26
	v_add_co_ci_u32_e32 v27, vcc_lo, s7, v27, vcc_lo
	s_delay_alu instid0(VALU_DEP_4) | instskip(SKIP_3) | instid1(VALU_DEP_1)
	v_add_co_u32 v30, vcc_lo, s8, v28
	v_add_co_ci_u32_e32 v31, vcc_lo, s9, v29, vcc_lo
	global_load_b32 v12, v[26:27], off
	v_dual_mov_b32 v27, v21 :: v_dual_add_nc_u32 v26, -2, v19
	v_lshlrev_b64 v[26:27], 4, v[26:27]
	s_delay_alu instid0(VALU_DEP_1) | instskip(NEXT) | instid1(VALU_DEP_2)
	v_add_co_u32 v34, vcc_lo, s8, v26
	v_add_co_ci_u32_e32 v35, vcc_lo, s9, v27, vcc_lo
	s_clause 0x1
	global_load_b128 v[26:29], v[30:31], off offset:16
	global_load_b128 v[30:33], v[30:31], off
	s_waitcnt vmcnt(2)
	v_subrev_nc_u32_e32 v12, s12, v12
	s_delay_alu instid0(VALU_DEP_1) | instskip(NEXT) | instid1(VALU_DEP_1)
	v_lshl_add_u32 v54, v12, 1, v12
	v_lshlrev_b64 v[36:37], 4, v[54:55]
	v_add_nc_u32_e32 v20, 1, v54
	s_delay_alu instid0(VALU_DEP_2) | instskip(NEXT) | instid1(VALU_DEP_3)
	v_add_co_u32 v38, vcc_lo, s10, v36
	v_add_co_ci_u32_e32 v39, vcc_lo, s11, v37, vcc_lo
	s_delay_alu instid0(VALU_DEP_3) | instskip(SKIP_4) | instid1(VALU_DEP_2)
	v_lshlrev_b64 v[42:43], 4, v[20:21]
	global_load_b128 v[34:37], v[34:35], off
	global_load_b128 v[38:41], v[38:39], off
	v_add_nc_u32_e32 v20, -1, v19
	v_add_co_u32 v42, vcc_lo, s10, v42
	v_lshlrev_b64 v[44:45], 4, v[20:21]
	v_add_co_ci_u32_e32 v43, vcc_lo, s11, v43, vcc_lo
	v_mov_b32_e32 v20, v21
	s_delay_alu instid0(VALU_DEP_3) | instskip(NEXT) | instid1(VALU_DEP_4)
	v_add_co_u32 v46, vcc_lo, s8, v44
	v_add_co_ci_u32_e32 v47, vcc_lo, s9, v45, vcc_lo
	global_load_b128 v[42:45], v[42:43], off
	global_load_b128 v[46:49], v[46:47], off
	v_lshlrev_b64 v[50:51], 4, v[19:20]
	v_add_nc_u32_e32 v20, -3, v19
	v_add_nc_u32_e32 v19, 0x60, v19
	s_delay_alu instid0(VALU_DEP_2) | instskip(SKIP_3) | instid1(VALU_DEP_3)
	v_lshlrev_b64 v[55:56], 4, v[20:21]
	v_add_nc_u32_e32 v20, 2, v54
	v_add_co_u32 v50, vcc_lo, s8, v50
	v_add_co_ci_u32_e32 v51, vcc_lo, s9, v51, vcc_lo
	v_lshlrev_b64 v[57:58], 4, v[20:21]
	v_add_co_u32 v54, vcc_lo, s8, v55
	v_add_co_ci_u32_e32 v55, vcc_lo, s9, v56, vcc_lo
	global_load_b128 v[50:53], v[50:51], off
	v_add_co_u32 v59, vcc_lo, s10, v57
	v_add_co_ci_u32_e32 v60, vcc_lo, s11, v58, vcc_lo
	global_load_b128 v[54:57], v[54:55], off
	global_load_b128 v[58:61], v[59:60], off
	v_cmp_ge_i32_e32 vcc_lo, v11, v23
	s_or_b32 s0, vcc_lo, s0
	s_waitcnt vmcnt(5)
	v_fma_f64 v[12:13], v[30:31], v[38:39], v[13:14]
	v_fma_f64 v[9:10], v[32:33], v[38:39], v[9:10]
	;; [unrolled: 1-line block ×4, first 2 shown]
	s_delay_alu instid0(VALU_DEP_4) | instskip(NEXT) | instid1(VALU_DEP_4)
	v_fma_f64 v[12:13], -v[32:33], v[40:41], v[12:13]
	v_fma_f64 v[9:10], v[30:31], v[40:41], v[9:10]
	s_delay_alu instid0(VALU_DEP_4) | instskip(NEXT) | instid1(VALU_DEP_4)
	v_fma_f64 v[14:15], -v[36:37], v[40:41], v[14:15]
	v_fma_f64 v[16:17], v[34:35], v[40:41], v[16:17]
	s_waitcnt vmcnt(4)
	s_delay_alu instid0(VALU_DEP_4) | instskip(NEXT) | instid1(VALU_DEP_4)
	v_fma_f64 v[12:13], v[26:27], v[42:43], v[12:13]
	v_fma_f64 v[9:10], v[28:29], v[42:43], v[9:10]
	s_waitcnt vmcnt(3)
	s_delay_alu instid0(VALU_DEP_4) | instskip(NEXT) | instid1(VALU_DEP_4)
	v_fma_f64 v[14:15], v[46:47], v[42:43], v[14:15]
	v_fma_f64 v[16:17], v[48:49], v[42:43], v[16:17]
	s_delay_alu instid0(VALU_DEP_4) | instskip(NEXT) | instid1(VALU_DEP_4)
	v_fma_f64 v[12:13], -v[28:29], v[44:45], v[12:13]
	v_fma_f64 v[9:10], v[26:27], v[44:45], v[9:10]
	s_delay_alu instid0(VALU_DEP_4) | instskip(NEXT) | instid1(VALU_DEP_4)
	v_fma_f64 v[14:15], -v[48:49], v[44:45], v[14:15]
	v_fma_f64 v[16:17], v[46:47], v[44:45], v[16:17]
	s_waitcnt vmcnt(0)
	s_delay_alu instid0(VALU_DEP_4) | instskip(NEXT) | instid1(VALU_DEP_4)
	v_fma_f64 v[12:13], v[54:55], v[58:59], v[12:13]
	v_fma_f64 v[9:10], v[56:57], v[58:59], v[9:10]
	s_delay_alu instid0(VALU_DEP_4) | instskip(NEXT) | instid1(VALU_DEP_4)
	v_fma_f64 v[26:27], v[50:51], v[58:59], v[14:15]
	v_fma_f64 v[17:18], v[52:53], v[58:59], v[16:17]
	s_delay_alu instid0(VALU_DEP_4) | instskip(NEXT) | instid1(VALU_DEP_4)
	v_fma_f64 v[13:14], -v[56:57], v[60:61], v[12:13]
	v_fma_f64 v[9:10], v[54:55], v[60:61], v[9:10]
	s_delay_alu instid0(VALU_DEP_4) | instskip(NEXT) | instid1(VALU_DEP_4)
	v_fma_f64 v[15:16], -v[52:53], v[60:61], v[26:27]
	v_fma_f64 v[17:18], v[50:51], v[60:61], v[17:18]
	s_and_not1_b32 exec_lo, exec_lo, s0
	s_cbranch_execnz .LBB235_17
; %bb.18:
	s_or_b32 exec_lo, exec_lo, s0
.LBB235_19:
	s_delay_alu instid0(SALU_CYCLE_1)
	s_or_b32 exec_lo, exec_lo, s1
.LBB235_20:
	v_mbcnt_lo_u32_b32 v26, -1, 0
	s_delay_alu instid0(VALU_DEP_1) | instskip(NEXT) | instid1(VALU_DEP_1)
	v_xor_b32_e32 v11, 8, v26
	v_cmp_gt_i32_e32 vcc_lo, 32, v11
	v_cndmask_b32_e32 v11, v26, v11, vcc_lo
	s_delay_alu instid0(VALU_DEP_1)
	v_lshlrev_b32_e32 v24, 2, v11
	ds_bpermute_b32 v11, v24, v13
	ds_bpermute_b32 v12, v24, v14
	;; [unrolled: 1-line block ×8, first 2 shown]
	s_waitcnt lgkmcnt(6)
	v_add_f64 v[11:12], v[13:14], v[11:12]
	s_waitcnt lgkmcnt(4)
	v_add_f64 v[9:10], v[9:10], v[19:20]
	;; [unrolled: 2-line block ×4, first 2 shown]
	v_xor_b32_e32 v17, 4, v26
	s_delay_alu instid0(VALU_DEP_1) | instskip(SKIP_1) | instid1(VALU_DEP_1)
	v_cmp_gt_i32_e32 vcc_lo, 32, v17
	v_cndmask_b32_e32 v17, v26, v17, vcc_lo
	v_lshlrev_b32_e32 v24, 2, v17
	ds_bpermute_b32 v17, v24, v11
	ds_bpermute_b32 v18, v24, v12
	ds_bpermute_b32 v19, v24, v9
	ds_bpermute_b32 v20, v24, v10
	ds_bpermute_b32 v21, v24, v13
	ds_bpermute_b32 v22, v24, v14
	ds_bpermute_b32 v23, v24, v15
	ds_bpermute_b32 v24, v24, v16
	s_waitcnt lgkmcnt(6)
	v_add_f64 v[11:12], v[11:12], v[17:18]
	s_waitcnt lgkmcnt(4)
	v_add_f64 v[17:18], v[9:10], v[19:20]
	v_xor_b32_e32 v9, 2, v26
	s_waitcnt lgkmcnt(2)
	v_add_f64 v[13:14], v[13:14], v[21:22]
	s_waitcnt lgkmcnt(0)
	v_add_f64 v[19:20], v[15:16], v[23:24]
	v_cmp_gt_i32_e32 vcc_lo, 32, v9
	v_cndmask_b32_e32 v9, v26, v9, vcc_lo
	s_delay_alu instid0(VALU_DEP_1)
	v_lshlrev_b32_e32 v24, 2, v9
	ds_bpermute_b32 v9, v24, v11
	ds_bpermute_b32 v10, v24, v12
	;; [unrolled: 1-line block ×8, first 2 shown]
	s_waitcnt lgkmcnt(6)
	v_add_f64 v[9:10], v[11:12], v[9:10]
	s_waitcnt lgkmcnt(4)
	v_add_f64 v[15:16], v[17:18], v[15:16]
	v_xor_b32_e32 v17, 1, v26
	s_waitcnt lgkmcnt(2)
	v_add_f64 v[11:12], v[13:14], v[21:22]
	s_waitcnt lgkmcnt(0)
	v_add_f64 v[13:14], v[19:20], v[23:24]
	v_cmp_gt_i32_e32 vcc_lo, 32, v17
	v_cndmask_b32_e32 v17, v26, v17, vcc_lo
	v_cmp_eq_u32_e32 vcc_lo, 15, v25
	s_delay_alu instid0(VALU_DEP_2)
	v_lshlrev_b32_e32 v20, 2, v17
	ds_bpermute_b32 v23, v20, v9
	ds_bpermute_b32 v24, v20, v10
	;; [unrolled: 1-line block ×8, first 2 shown]
	s_and_b32 exec_lo, exec_lo, vcc_lo
	s_cbranch_execz .LBB235_25
; %bb.21:
	v_cmp_eq_f64_e32 vcc_lo, 0, v[4:5]
	v_cmp_eq_f64_e64 s0, 0, v[6:7]
	s_waitcnt lgkmcnt(6)
	v_add_f64 v[9:10], v[9:10], v[23:24]
	s_waitcnt lgkmcnt(4)
	v_add_f64 v[15:16], v[15:16], v[21:22]
	;; [unrolled: 2-line block ×4, first 2 shown]
	s_load_b64 s[2:3], s[2:3], 0x48
	s_and_b32 s0, vcc_lo, s0
	s_delay_alu instid0(SALU_CYCLE_1) | instskip(NEXT) | instid1(SALU_CYCLE_1)
	s_and_saveexec_b32 s1, s0
	s_xor_b32 s0, exec_lo, s1
	s_cbranch_execz .LBB235_23
; %bb.22:
	s_delay_alu instid0(VALU_DEP_3) | instskip(SKIP_1) | instid1(VALU_DEP_3)
	v_mul_f64 v[4:5], v[15:16], -v[2:3]
	v_mul_f64 v[6:7], v[0:1], v[15:16]
	v_mul_f64 v[15:16], v[13:14], -v[2:3]
	v_mul_f64 v[13:14], v[0:1], v[13:14]
	v_lshlrev_b32_e32 v8, 1, v8
	v_fma_f64 v[4:5], v[0:1], v[9:10], v[4:5]
	v_fma_f64 v[6:7], v[2:3], v[9:10], v[6:7]
	;; [unrolled: 1-line block ×4, first 2 shown]
	v_ashrrev_i32_e32 v9, 31, v8
                                        ; implicit-def: $vgpr15_vgpr16
                                        ; implicit-def: $vgpr11_vgpr12
                                        ; implicit-def: $vgpr13_vgpr14
	s_delay_alu instid0(VALU_DEP_1) | instskip(SKIP_1) | instid1(VALU_DEP_1)
	v_lshlrev_b64 v[8:9], 4, v[8:9]
	s_waitcnt lgkmcnt(0)
	v_add_co_u32 v8, vcc_lo, s2, v8
	s_delay_alu instid0(VALU_DEP_2)
	v_add_co_ci_u32_e32 v9, vcc_lo, s3, v9, vcc_lo
	s_clause 0x1
	global_store_b128 v[8:9], v[4:7], off
	global_store_b128 v[8:9], v[0:3], off offset:16
                                        ; implicit-def: $vgpr0_vgpr1
                                        ; implicit-def: $vgpr2_vgpr3
                                        ; implicit-def: $vgpr4_vgpr5
                                        ; implicit-def: $vgpr6_vgpr7
                                        ; implicit-def: $vgpr8
                                        ; implicit-def: $vgpr9_vgpr10
.LBB235_23:
	s_and_not1_saveexec_b32 s0, s0
	s_cbranch_execz .LBB235_25
; %bb.24:
	v_lshlrev_b32_e32 v17, 1, v8
	s_delay_alu instid0(VALU_DEP_4) | instskip(SKIP_1) | instid1(VALU_DEP_4)
	v_mul_f64 v[27:28], v[15:16], -v[2:3]
	v_mul_f64 v[15:16], v[0:1], v[15:16]
	v_mul_f64 v[29:30], v[13:14], -v[2:3]
	v_mul_f64 v[13:14], v[0:1], v[13:14]
	v_ashrrev_i32_e32 v18, 31, v17
	s_delay_alu instid0(VALU_DEP_1) | instskip(SKIP_1) | instid1(VALU_DEP_1)
	v_lshlrev_b64 v[17:18], 4, v[17:18]
	s_waitcnt lgkmcnt(0)
	v_add_co_u32 v25, vcc_lo, s2, v17
	s_delay_alu instid0(VALU_DEP_2)
	v_add_co_ci_u32_e32 v26, vcc_lo, s3, v18, vcc_lo
	s_clause 0x1
	global_load_b128 v[17:20], v[25:26], off
	global_load_b128 v[21:24], v[25:26], off offset:16
	v_fma_f64 v[27:28], v[0:1], v[9:10], v[27:28]
	v_fma_f64 v[8:9], v[2:3], v[9:10], v[15:16]
	;; [unrolled: 1-line block ×4, first 2 shown]
	s_waitcnt vmcnt(1)
	s_delay_alu instid0(VALU_DEP_4) | instskip(NEXT) | instid1(VALU_DEP_4)
	v_fma_f64 v[10:11], v[4:5], v[17:18], v[27:28]
	v_fma_f64 v[8:9], v[6:7], v[17:18], v[8:9]
	s_waitcnt vmcnt(0)
	s_delay_alu instid0(VALU_DEP_4) | instskip(NEXT) | instid1(VALU_DEP_4)
	v_fma_f64 v[12:13], v[4:5], v[21:22], v[0:1]
	v_fma_f64 v[14:15], v[6:7], v[21:22], v[2:3]
	s_delay_alu instid0(VALU_DEP_4) | instskip(NEXT) | instid1(VALU_DEP_4)
	v_fma_f64 v[0:1], -v[6:7], v[19:20], v[10:11]
	v_fma_f64 v[2:3], v[4:5], v[19:20], v[8:9]
	s_delay_alu instid0(VALU_DEP_4) | instskip(NEXT) | instid1(VALU_DEP_4)
	v_fma_f64 v[6:7], -v[6:7], v[23:24], v[12:13]
	v_fma_f64 v[8:9], v[4:5], v[23:24], v[14:15]
	s_clause 0x1
	global_store_b128 v[25:26], v[0:3], off
	global_store_b128 v[25:26], v[6:9], off offset:16
.LBB235_25:
	s_nop 0
	s_sendmsg sendmsg(MSG_DEALLOC_VGPRS)
	s_endpgm
	.section	.rodata,"a",@progbits
	.p2align	6, 0x0
	.amdhsa_kernel _ZN9rocsparseL19gebsrmvn_2xn_kernelILj128ELj3ELj16E21rocsparse_complex_numIdEEEvi20rocsparse_direction_NS_24const_host_device_scalarIT2_EEPKiS8_PKS5_SA_S6_PS5_21rocsparse_index_base_b
		.amdhsa_group_segment_fixed_size 2048
		.amdhsa_private_segment_fixed_size 0
		.amdhsa_kernarg_size 88
		.amdhsa_user_sgpr_count 15
		.amdhsa_user_sgpr_dispatch_ptr 1
		.amdhsa_user_sgpr_queue_ptr 0
		.amdhsa_user_sgpr_kernarg_segment_ptr 1
		.amdhsa_user_sgpr_dispatch_id 0
		.amdhsa_user_sgpr_private_segment_size 0
		.amdhsa_wavefront_size32 1
		.amdhsa_uses_dynamic_stack 0
		.amdhsa_enable_private_segment 0
		.amdhsa_system_sgpr_workgroup_id_x 1
		.amdhsa_system_sgpr_workgroup_id_y 0
		.amdhsa_system_sgpr_workgroup_id_z 0
		.amdhsa_system_sgpr_workgroup_info 0
		.amdhsa_system_vgpr_workitem_id 2
		.amdhsa_next_free_vgpr 62
		.amdhsa_next_free_sgpr 18
		.amdhsa_reserve_vcc 1
		.amdhsa_float_round_mode_32 0
		.amdhsa_float_round_mode_16_64 0
		.amdhsa_float_denorm_mode_32 3
		.amdhsa_float_denorm_mode_16_64 3
		.amdhsa_dx10_clamp 1
		.amdhsa_ieee_mode 1
		.amdhsa_fp16_overflow 0
		.amdhsa_workgroup_processor_mode 1
		.amdhsa_memory_ordered 1
		.amdhsa_forward_progress 0
		.amdhsa_shared_vgpr_count 0
		.amdhsa_exception_fp_ieee_invalid_op 0
		.amdhsa_exception_fp_denorm_src 0
		.amdhsa_exception_fp_ieee_div_zero 0
		.amdhsa_exception_fp_ieee_overflow 0
		.amdhsa_exception_fp_ieee_underflow 0
		.amdhsa_exception_fp_ieee_inexact 0
		.amdhsa_exception_int_div_zero 0
	.end_amdhsa_kernel
	.section	.text._ZN9rocsparseL19gebsrmvn_2xn_kernelILj128ELj3ELj16E21rocsparse_complex_numIdEEEvi20rocsparse_direction_NS_24const_host_device_scalarIT2_EEPKiS8_PKS5_SA_S6_PS5_21rocsparse_index_base_b,"axG",@progbits,_ZN9rocsparseL19gebsrmvn_2xn_kernelILj128ELj3ELj16E21rocsparse_complex_numIdEEEvi20rocsparse_direction_NS_24const_host_device_scalarIT2_EEPKiS8_PKS5_SA_S6_PS5_21rocsparse_index_base_b,comdat
.Lfunc_end235:
	.size	_ZN9rocsparseL19gebsrmvn_2xn_kernelILj128ELj3ELj16E21rocsparse_complex_numIdEEEvi20rocsparse_direction_NS_24const_host_device_scalarIT2_EEPKiS8_PKS5_SA_S6_PS5_21rocsparse_index_base_b, .Lfunc_end235-_ZN9rocsparseL19gebsrmvn_2xn_kernelILj128ELj3ELj16E21rocsparse_complex_numIdEEEvi20rocsparse_direction_NS_24const_host_device_scalarIT2_EEPKiS8_PKS5_SA_S6_PS5_21rocsparse_index_base_b
                                        ; -- End function
	.section	.AMDGPU.csdata,"",@progbits
; Kernel info:
; codeLenInByte = 2876
; NumSgprs: 20
; NumVgprs: 62
; ScratchSize: 0
; MemoryBound: 0
; FloatMode: 240
; IeeeMode: 1
; LDSByteSize: 2048 bytes/workgroup (compile time only)
; SGPRBlocks: 2
; VGPRBlocks: 7
; NumSGPRsForWavesPerEU: 20
; NumVGPRsForWavesPerEU: 62
; Occupancy: 16
; WaveLimiterHint : 1
; COMPUTE_PGM_RSRC2:SCRATCH_EN: 0
; COMPUTE_PGM_RSRC2:USER_SGPR: 15
; COMPUTE_PGM_RSRC2:TRAP_HANDLER: 0
; COMPUTE_PGM_RSRC2:TGID_X_EN: 1
; COMPUTE_PGM_RSRC2:TGID_Y_EN: 0
; COMPUTE_PGM_RSRC2:TGID_Z_EN: 0
; COMPUTE_PGM_RSRC2:TIDIG_COMP_CNT: 2
	.section	.text._ZN9rocsparseL19gebsrmvn_2xn_kernelILj128ELj3ELj32E21rocsparse_complex_numIdEEEvi20rocsparse_direction_NS_24const_host_device_scalarIT2_EEPKiS8_PKS5_SA_S6_PS5_21rocsparse_index_base_b,"axG",@progbits,_ZN9rocsparseL19gebsrmvn_2xn_kernelILj128ELj3ELj32E21rocsparse_complex_numIdEEEvi20rocsparse_direction_NS_24const_host_device_scalarIT2_EEPKiS8_PKS5_SA_S6_PS5_21rocsparse_index_base_b,comdat
	.globl	_ZN9rocsparseL19gebsrmvn_2xn_kernelILj128ELj3ELj32E21rocsparse_complex_numIdEEEvi20rocsparse_direction_NS_24const_host_device_scalarIT2_EEPKiS8_PKS5_SA_S6_PS5_21rocsparse_index_base_b ; -- Begin function _ZN9rocsparseL19gebsrmvn_2xn_kernelILj128ELj3ELj32E21rocsparse_complex_numIdEEEvi20rocsparse_direction_NS_24const_host_device_scalarIT2_EEPKiS8_PKS5_SA_S6_PS5_21rocsparse_index_base_b
	.p2align	8
	.type	_ZN9rocsparseL19gebsrmvn_2xn_kernelILj128ELj3ELj32E21rocsparse_complex_numIdEEEvi20rocsparse_direction_NS_24const_host_device_scalarIT2_EEPKiS8_PKS5_SA_S6_PS5_21rocsparse_index_base_b,@function
_ZN9rocsparseL19gebsrmvn_2xn_kernelILj128ELj3ELj32E21rocsparse_complex_numIdEEEvi20rocsparse_direction_NS_24const_host_device_scalarIT2_EEPKiS8_PKS5_SA_S6_PS5_21rocsparse_index_base_b: ; @_ZN9rocsparseL19gebsrmvn_2xn_kernelILj128ELj3ELj32E21rocsparse_complex_numIdEEEvi20rocsparse_direction_NS_24const_host_device_scalarIT2_EEPKiS8_PKS5_SA_S6_PS5_21rocsparse_index_base_b
; %bb.0:
	s_load_b64 s[12:13], s[2:3], 0x50
	s_load_b64 s[16:17], s[0:1], 0x4
	s_load_b128 s[8:11], s[2:3], 0x8
	v_bfe_u32 v1, v0, 10, 10
	s_mov_b64 s[0:1], src_shared_base
	s_load_b128 s[4:7], s[2:3], 0x38
	v_and_b32_e32 v10, 0x3ff, v0
	v_bfe_u32 v0, v0, 20, 10
	s_waitcnt lgkmcnt(0)
	s_bitcmp1_b32 s13, 0
	v_mul_u32_u24_e32 v1, s17, v1
	s_cselect_b32 s0, -1, 0
	s_delay_alu instid0(SALU_CYCLE_1)
	s_and_b32 vcc_lo, s0, exec_lo
	s_cselect_b32 s13, s1, s9
	s_lshr_b32 s14, s16, 16
	v_dual_mov_b32 v2, s4 :: v_dual_mov_b32 v3, s5
	s_mul_i32 s14, s14, s17
	v_mov_b32_e32 v6, s13
	v_mad_u32_u24 v1, s14, v10, v1
	s_delay_alu instid0(VALU_DEP_1) | instskip(SKIP_1) | instid1(VALU_DEP_2)
	v_add_lshl_u32 v4, v1, v0, 3
	v_dual_mov_b32 v0, s8 :: v_dual_mov_b32 v1, s9
	v_add_nc_u32_e32 v5, 0x400, v4
	ds_store_2addr_stride64_b64 v4, v[2:3], v[0:1] offset1:2
	v_dual_mov_b32 v2, s10 :: v_dual_mov_b32 v3, s11
	v_cndmask_b32_e64 v5, s8, v5, s0
	s_xor_b32 s10, s0, -1
	flat_load_b64 v[0:1], v[5:6]
	s_cbranch_vccnz .LBB236_2
; %bb.1:
	v_dual_mov_b32 v2, s8 :: v_dual_mov_b32 v3, s9
	flat_load_b64 v[2:3], v[2:3] offset:8
.LBB236_2:
	s_and_b32 s8, s0, exec_lo
	s_cselect_b32 s1, s1, s5
	v_cndmask_b32_e64 v4, s4, v4, s0
	v_dual_mov_b32 v5, s1 :: v_dual_mov_b32 v6, s6
	v_mov_b32_e32 v7, s7
	s_and_not1_b32 vcc_lo, exec_lo, s10
	flat_load_b64 v[4:5], v[4:5]
	s_cbranch_vccnz .LBB236_4
; %bb.3:
	v_dual_mov_b32 v7, s5 :: v_dual_mov_b32 v6, s4
	flat_load_b64 v[6:7], v[6:7] offset:8
.LBB236_4:
	s_waitcnt vmcnt(1) lgkmcnt(1)
	v_cmp_eq_f64_e32 vcc_lo, 0, v[0:1]
	v_cmp_eq_f64_e64 s0, 0, v[2:3]
	s_delay_alu instid0(VALU_DEP_1)
	s_and_b32 s4, vcc_lo, s0
	s_mov_b32 s0, -1
	s_and_saveexec_b32 s1, s4
	s_cbranch_execz .LBB236_6
; %bb.5:
	s_waitcnt vmcnt(0) lgkmcnt(0)
	v_cmp_neq_f64_e32 vcc_lo, 1.0, v[4:5]
	v_cmp_neq_f64_e64 s0, 0, v[6:7]
	s_delay_alu instid0(VALU_DEP_1) | instskip(NEXT) | instid1(SALU_CYCLE_1)
	s_or_b32 s0, vcc_lo, s0
	s_or_not1_b32 s0, s0, exec_lo
.LBB236_6:
	s_or_b32 exec_lo, exec_lo, s1
	s_and_saveexec_b32 s1, s0
	s_cbranch_execz .LBB236_25
; %bb.7:
	s_load_b64 s[0:1], s[2:3], 0x0
	v_lshrrev_b32_e32 v8, 5, v10
	s_delay_alu instid0(VALU_DEP_1) | instskip(SKIP_1) | instid1(VALU_DEP_1)
	v_lshl_or_b32 v8, s15, 2, v8
	s_waitcnt lgkmcnt(0)
	v_cmp_gt_i32_e32 vcc_lo, s0, v8
	s_and_b32 exec_lo, exec_lo, vcc_lo
	s_cbranch_execz .LBB236_25
; %bb.8:
	s_load_b256 s[4:11], s[2:3], 0x18
	v_ashrrev_i32_e32 v9, 31, v8
	v_and_b32_e32 v25, 31, v10
	s_cmp_lg_u32 s1, 0
	s_delay_alu instid0(VALU_DEP_2) | instskip(SKIP_1) | instid1(VALU_DEP_1)
	v_lshlrev_b64 v[11:12], 2, v[8:9]
	s_waitcnt lgkmcnt(0)
	v_add_co_u32 v11, vcc_lo, s4, v11
	s_delay_alu instid0(VALU_DEP_2) | instskip(SKIP_4) | instid1(VALU_DEP_2)
	v_add_co_ci_u32_e32 v12, vcc_lo, s5, v12, vcc_lo
	global_load_b64 v[11:12], v[11:12], off
	s_waitcnt vmcnt(0)
	v_subrev_nc_u32_e32 v9, s12, v11
	v_subrev_nc_u32_e32 v22, s12, v12
	v_add_nc_u32_e32 v17, v9, v25
	s_delay_alu instid0(VALU_DEP_1)
	v_cmp_lt_i32_e64 s0, v17, v22
	s_cbranch_scc0 .LBB236_14
; %bb.9:
	v_mov_b32_e32 v9, 0
	v_mov_b32_e32 v10, 0
	s_delay_alu instid0(VALU_DEP_1)
	v_dual_mov_b32 v12, v10 :: v_dual_mov_b32 v11, v9
	v_dual_mov_b32 v14, v10 :: v_dual_mov_b32 v13, v9
	;; [unrolled: 1-line block ×3, first 2 shown]
	s_and_saveexec_b32 s1, s0
	s_cbranch_execz .LBB236_13
; %bb.10:
	v_dual_mov_b32 v9, 0 :: v_dual_mov_b32 v20, v17
	v_dual_mov_b32 v10, 0 :: v_dual_mov_b32 v19, 0
	v_mul_lo_u32 v18, v17, 6
	s_mov_b32 s4, 0
	s_delay_alu instid0(VALU_DEP_2)
	v_dual_mov_b32 v12, v10 :: v_dual_mov_b32 v11, v9
	v_dual_mov_b32 v14, v10 :: v_dual_mov_b32 v13, v9
	;; [unrolled: 1-line block ×3, first 2 shown]
.LBB236_11:                             ; =>This Inner Loop Header: Depth=1
	v_ashrrev_i32_e32 v21, 31, v20
	s_delay_alu instid0(VALU_DEP_1) | instskip(SKIP_1) | instid1(VALU_DEP_2)
	v_lshlrev_b64 v[23:24], 2, v[20:21]
	v_add_nc_u32_e32 v20, 32, v20
	v_add_co_u32 v23, vcc_lo, s6, v23
	s_delay_alu instid0(VALU_DEP_3) | instskip(SKIP_2) | instid1(VALU_DEP_1)
	v_add_co_ci_u32_e32 v24, vcc_lo, s7, v24, vcc_lo
	global_load_b32 v21, v[23:24], off
	v_lshlrev_b64 v[23:24], 4, v[18:19]
	v_add_co_u32 v23, vcc_lo, s8, v23
	s_delay_alu instid0(VALU_DEP_2) | instskip(SKIP_3) | instid1(VALU_DEP_1)
	v_add_co_ci_u32_e32 v24, vcc_lo, s9, v24, vcc_lo
	global_load_b128 v[26:29], v[23:24], off offset:16
	s_waitcnt vmcnt(1)
	v_subrev_nc_u32_e32 v21, s12, v21
	v_lshl_add_u32 v54, v21, 1, v21
	v_mov_b32_e32 v55, v19
	s_delay_alu instid0(VALU_DEP_2) | instskip(NEXT) | instid1(VALU_DEP_2)
	v_dual_mov_b32 v43, v19 :: v_dual_add_nc_u32 v42, 1, v54
	v_lshlrev_b64 v[30:31], 4, v[54:55]
	v_add_nc_u32_e32 v54, 2, v54
	s_delay_alu instid0(VALU_DEP_3) | instskip(NEXT) | instid1(VALU_DEP_3)
	v_lshlrev_b64 v[42:43], 4, v[42:43]
	v_add_co_u32 v34, vcc_lo, s10, v30
	s_delay_alu instid0(VALU_DEP_4) | instskip(NEXT) | instid1(VALU_DEP_4)
	v_add_co_ci_u32_e32 v35, vcc_lo, s11, v31, vcc_lo
	v_lshlrev_b64 v[54:55], 4, v[54:55]
	global_load_b128 v[30:33], v[23:24], off
	global_load_b128 v[34:37], v[34:35], off
	v_dual_mov_b32 v24, v19 :: v_dual_add_nc_u32 v23, 2, v18
	s_delay_alu instid0(VALU_DEP_1) | instskip(NEXT) | instid1(VALU_DEP_1)
	v_lshlrev_b64 v[23:24], 4, v[23:24]
	v_add_co_u32 v23, vcc_lo, s8, v23
	s_delay_alu instid0(VALU_DEP_2)
	v_add_co_ci_u32_e32 v24, vcc_lo, s9, v24, vcc_lo
	v_add_co_u32 v46, vcc_lo, s10, v42
	v_add_co_ci_u32_e32 v47, vcc_lo, s11, v43, vcc_lo
	s_clause 0x1
	global_load_b128 v[38:41], v[23:24], off offset:16
	global_load_b128 v[42:45], v[23:24], off
	global_load_b128 v[46:49], v[46:47], off
	v_dual_mov_b32 v24, v19 :: v_dual_add_nc_u32 v23, 4, v18
	v_add_nc_u32_e32 v18, 0xc0, v18
	s_delay_alu instid0(VALU_DEP_2) | instskip(NEXT) | instid1(VALU_DEP_1)
	v_lshlrev_b64 v[23:24], 4, v[23:24]
	v_add_co_u32 v23, vcc_lo, s8, v23
	s_delay_alu instid0(VALU_DEP_2)
	v_add_co_ci_u32_e32 v24, vcc_lo, s9, v24, vcc_lo
	v_add_co_u32 v58, vcc_lo, s10, v54
	v_add_co_ci_u32_e32 v59, vcc_lo, s11, v55, vcc_lo
	s_clause 0x1
	global_load_b128 v[50:53], v[23:24], off offset:16
	global_load_b128 v[54:57], v[23:24], off
	global_load_b128 v[58:61], v[58:59], off
	v_cmp_ge_i32_e32 vcc_lo, v20, v22
	s_or_b32 s4, vcc_lo, s4
	s_waitcnt vmcnt(6)
	v_fma_f64 v[11:12], v[30:31], v[34:35], v[11:12]
	v_fma_f64 v[9:10], v[32:33], v[34:35], v[9:10]
	;; [unrolled: 1-line block ×4, first 2 shown]
	s_delay_alu instid0(VALU_DEP_4) | instskip(NEXT) | instid1(VALU_DEP_4)
	v_fma_f64 v[11:12], -v[32:33], v[36:37], v[11:12]
	v_fma_f64 v[9:10], v[30:31], v[36:37], v[9:10]
	s_delay_alu instid0(VALU_DEP_4) | instskip(NEXT) | instid1(VALU_DEP_4)
	v_fma_f64 v[13:14], -v[28:29], v[36:37], v[13:14]
	v_fma_f64 v[15:16], v[26:27], v[36:37], v[15:16]
	s_waitcnt vmcnt(3)
	s_delay_alu instid0(VALU_DEP_4) | instskip(NEXT) | instid1(VALU_DEP_4)
	v_fma_f64 v[11:12], v[42:43], v[46:47], v[11:12]
	v_fma_f64 v[9:10], v[44:45], v[46:47], v[9:10]
	s_delay_alu instid0(VALU_DEP_4) | instskip(NEXT) | instid1(VALU_DEP_4)
	v_fma_f64 v[13:14], v[38:39], v[46:47], v[13:14]
	v_fma_f64 v[15:16], v[40:41], v[46:47], v[15:16]
	s_delay_alu instid0(VALU_DEP_4) | instskip(NEXT) | instid1(VALU_DEP_4)
	v_fma_f64 v[11:12], -v[44:45], v[48:49], v[11:12]
	v_fma_f64 v[9:10], v[42:43], v[48:49], v[9:10]
	s_delay_alu instid0(VALU_DEP_4) | instskip(NEXT) | instid1(VALU_DEP_4)
	v_fma_f64 v[13:14], -v[40:41], v[48:49], v[13:14]
	v_fma_f64 v[15:16], v[38:39], v[48:49], v[15:16]
	s_waitcnt vmcnt(0)
	s_delay_alu instid0(VALU_DEP_4) | instskip(NEXT) | instid1(VALU_DEP_4)
	v_fma_f64 v[11:12], v[54:55], v[58:59], v[11:12]
	v_fma_f64 v[9:10], v[56:57], v[58:59], v[9:10]
	s_delay_alu instid0(VALU_DEP_4) | instskip(NEXT) | instid1(VALU_DEP_4)
	v_fma_f64 v[13:14], v[50:51], v[58:59], v[13:14]
	v_fma_f64 v[15:16], v[52:53], v[58:59], v[15:16]
	s_delay_alu instid0(VALU_DEP_4) | instskip(NEXT) | instid1(VALU_DEP_4)
	v_fma_f64 v[11:12], -v[56:57], v[60:61], v[11:12]
	v_fma_f64 v[9:10], v[54:55], v[60:61], v[9:10]
	s_delay_alu instid0(VALU_DEP_4) | instskip(NEXT) | instid1(VALU_DEP_4)
	v_fma_f64 v[13:14], -v[52:53], v[60:61], v[13:14]
	v_fma_f64 v[15:16], v[50:51], v[60:61], v[15:16]
	s_and_not1_b32 exec_lo, exec_lo, s4
	s_cbranch_execnz .LBB236_11
; %bb.12:
	s_or_b32 exec_lo, exec_lo, s4
.LBB236_13:
	s_delay_alu instid0(SALU_CYCLE_1)
	s_or_b32 exec_lo, exec_lo, s1
	s_cbranch_execz .LBB236_15
	s_branch .LBB236_20
.LBB236_14:
                                        ; implicit-def: $vgpr9_vgpr10
                                        ; implicit-def: $vgpr11_vgpr12
                                        ; implicit-def: $vgpr13_vgpr14
                                        ; implicit-def: $vgpr15_vgpr16
.LBB236_15:
	v_mov_b32_e32 v9, 0
	v_mov_b32_e32 v10, 0
	s_delay_alu instid0(VALU_DEP_1)
	v_dual_mov_b32 v12, v10 :: v_dual_mov_b32 v11, v9
	v_dual_mov_b32 v14, v10 :: v_dual_mov_b32 v13, v9
	;; [unrolled: 1-line block ×3, first 2 shown]
	s_and_saveexec_b32 s1, s0
	s_cbranch_execz .LBB236_19
; %bb.16:
	v_mov_b32_e32 v9, 0
	v_dual_mov_b32 v10, 0 :: v_dual_mov_b32 v21, 0
	v_mad_u64_u32 v[19:20], null, v17, 6, 5
	s_mov_b32 s0, 0
	s_delay_alu instid0(VALU_DEP_2)
	v_dual_mov_b32 v12, v10 :: v_dual_mov_b32 v11, v9
	v_dual_mov_b32 v14, v10 :: v_dual_mov_b32 v13, v9
	;; [unrolled: 1-line block ×3, first 2 shown]
.LBB236_17:                             ; =>This Inner Loop Header: Depth=1
	v_ashrrev_i32_e32 v18, 31, v17
	v_dual_mov_b32 v55, v21 :: v_dual_add_nc_u32 v20, -5, v19
	s_delay_alu instid0(VALU_DEP_2) | instskip(NEXT) | instid1(VALU_DEP_2)
	v_lshlrev_b64 v[23:24], 2, v[17:18]
	v_lshlrev_b64 v[26:27], 4, v[20:21]
	v_add_nc_u32_e32 v17, 32, v17
	s_delay_alu instid0(VALU_DEP_3) | instskip(NEXT) | instid1(VALU_DEP_4)
	v_add_co_u32 v23, vcc_lo, s6, v23
	v_add_co_ci_u32_e32 v24, vcc_lo, s7, v24, vcc_lo
	s_delay_alu instid0(VALU_DEP_4)
	v_add_co_u32 v30, vcc_lo, s8, v26
	v_add_co_ci_u32_e32 v31, vcc_lo, s9, v27, vcc_lo
	global_load_b32 v18, v[23:24], off
	v_dual_mov_b32 v24, v21 :: v_dual_add_nc_u32 v23, -2, v19
	s_clause 0x1
	global_load_b128 v[26:29], v[30:31], off offset:16
	global_load_b128 v[30:33], v[30:31], off
	v_lshlrev_b64 v[23:24], 4, v[23:24]
	s_delay_alu instid0(VALU_DEP_1) | instskip(NEXT) | instid1(VALU_DEP_2)
	v_add_co_u32 v23, vcc_lo, s8, v23
	v_add_co_ci_u32_e32 v24, vcc_lo, s9, v24, vcc_lo
	s_waitcnt vmcnt(2)
	v_subrev_nc_u32_e32 v18, s12, v18
	s_delay_alu instid0(VALU_DEP_1) | instskip(NEXT) | instid1(VALU_DEP_1)
	v_lshl_add_u32 v54, v18, 1, v18
	v_lshlrev_b64 v[34:35], 4, v[54:55]
	v_add_nc_u32_e32 v20, 1, v54
	s_delay_alu instid0(VALU_DEP_2) | instskip(NEXT) | instid1(VALU_DEP_3)
	v_add_co_u32 v38, vcc_lo, s10, v34
	v_add_co_ci_u32_e32 v39, vcc_lo, s11, v35, vcc_lo
	global_load_b128 v[34:37], v[23:24], off
	global_load_b128 v[38:41], v[38:39], off
	v_lshlrev_b64 v[23:24], 4, v[20:21]
	v_add_nc_u32_e32 v20, -1, v19
	s_delay_alu instid0(VALU_DEP_1) | instskip(NEXT) | instid1(VALU_DEP_3)
	v_lshlrev_b64 v[42:43], 4, v[20:21]
	v_add_co_u32 v23, vcc_lo, s10, v23
	s_delay_alu instid0(VALU_DEP_4) | instskip(SKIP_1) | instid1(VALU_DEP_4)
	v_add_co_ci_u32_e32 v24, vcc_lo, s11, v24, vcc_lo
	v_mov_b32_e32 v20, v21
	v_add_co_u32 v46, vcc_lo, s8, v42
	v_add_co_ci_u32_e32 v47, vcc_lo, s9, v43, vcc_lo
	global_load_b128 v[42:45], v[23:24], off
	global_load_b128 v[46:49], v[46:47], off
	v_lshlrev_b64 v[23:24], 4, v[19:20]
	v_add_nc_u32_e32 v20, -3, v19
	v_add_nc_u32_e32 v19, 0xc0, v19
	s_delay_alu instid0(VALU_DEP_3) | instskip(NEXT) | instid1(VALU_DEP_4)
	v_add_co_u32 v23, vcc_lo, s8, v23
	v_add_co_ci_u32_e32 v24, vcc_lo, s9, v24, vcc_lo
	global_load_b128 v[50:53], v[23:24], off
	v_lshlrev_b64 v[23:24], 4, v[20:21]
	v_add_nc_u32_e32 v20, 2, v54
	s_delay_alu instid0(VALU_DEP_1) | instskip(NEXT) | instid1(VALU_DEP_3)
	v_lshlrev_b64 v[54:55], 4, v[20:21]
	v_add_co_u32 v23, vcc_lo, s8, v23
	s_delay_alu instid0(VALU_DEP_4) | instskip(NEXT) | instid1(VALU_DEP_3)
	v_add_co_ci_u32_e32 v24, vcc_lo, s9, v24, vcc_lo
	v_add_co_u32 v58, vcc_lo, s10, v54
	s_delay_alu instid0(VALU_DEP_4)
	v_add_co_ci_u32_e32 v59, vcc_lo, s11, v55, vcc_lo
	global_load_b128 v[54:57], v[23:24], off
	global_load_b128 v[58:61], v[58:59], off
	v_cmp_ge_i32_e32 vcc_lo, v17, v22
	s_or_b32 s0, vcc_lo, s0
	s_waitcnt vmcnt(5)
	v_fma_f64 v[11:12], v[30:31], v[38:39], v[11:12]
	v_fma_f64 v[9:10], v[32:33], v[38:39], v[9:10]
	;; [unrolled: 1-line block ×4, first 2 shown]
	s_delay_alu instid0(VALU_DEP_4) | instskip(NEXT) | instid1(VALU_DEP_4)
	v_fma_f64 v[11:12], -v[32:33], v[40:41], v[11:12]
	v_fma_f64 v[9:10], v[30:31], v[40:41], v[9:10]
	s_delay_alu instid0(VALU_DEP_4) | instskip(NEXT) | instid1(VALU_DEP_4)
	v_fma_f64 v[13:14], -v[36:37], v[40:41], v[13:14]
	v_fma_f64 v[15:16], v[34:35], v[40:41], v[15:16]
	s_waitcnt vmcnt(4)
	s_delay_alu instid0(VALU_DEP_4) | instskip(NEXT) | instid1(VALU_DEP_4)
	v_fma_f64 v[11:12], v[26:27], v[42:43], v[11:12]
	v_fma_f64 v[9:10], v[28:29], v[42:43], v[9:10]
	s_waitcnt vmcnt(3)
	s_delay_alu instid0(VALU_DEP_4) | instskip(NEXT) | instid1(VALU_DEP_4)
	v_fma_f64 v[13:14], v[46:47], v[42:43], v[13:14]
	v_fma_f64 v[15:16], v[48:49], v[42:43], v[15:16]
	s_delay_alu instid0(VALU_DEP_4) | instskip(NEXT) | instid1(VALU_DEP_4)
	v_fma_f64 v[11:12], -v[28:29], v[44:45], v[11:12]
	v_fma_f64 v[9:10], v[26:27], v[44:45], v[9:10]
	s_delay_alu instid0(VALU_DEP_4) | instskip(NEXT) | instid1(VALU_DEP_4)
	v_fma_f64 v[13:14], -v[48:49], v[44:45], v[13:14]
	v_fma_f64 v[15:16], v[46:47], v[44:45], v[15:16]
	s_waitcnt vmcnt(0)
	s_delay_alu instid0(VALU_DEP_4) | instskip(NEXT) | instid1(VALU_DEP_4)
	v_fma_f64 v[11:12], v[54:55], v[58:59], v[11:12]
	v_fma_f64 v[9:10], v[56:57], v[58:59], v[9:10]
	s_delay_alu instid0(VALU_DEP_4) | instskip(NEXT) | instid1(VALU_DEP_4)
	v_fma_f64 v[13:14], v[50:51], v[58:59], v[13:14]
	v_fma_f64 v[15:16], v[52:53], v[58:59], v[15:16]
	s_delay_alu instid0(VALU_DEP_4) | instskip(NEXT) | instid1(VALU_DEP_4)
	v_fma_f64 v[11:12], -v[56:57], v[60:61], v[11:12]
	v_fma_f64 v[9:10], v[54:55], v[60:61], v[9:10]
	s_delay_alu instid0(VALU_DEP_4) | instskip(NEXT) | instid1(VALU_DEP_4)
	v_fma_f64 v[13:14], -v[52:53], v[60:61], v[13:14]
	v_fma_f64 v[15:16], v[50:51], v[60:61], v[15:16]
	s_and_not1_b32 exec_lo, exec_lo, s0
	s_cbranch_execnz .LBB236_17
; %bb.18:
	s_or_b32 exec_lo, exec_lo, s0
.LBB236_19:
	s_delay_alu instid0(SALU_CYCLE_1)
	s_or_b32 exec_lo, exec_lo, s1
.LBB236_20:
	v_mbcnt_lo_u32_b32 v26, -1, 0
	s_delay_alu instid0(VALU_DEP_1) | instskip(NEXT) | instid1(VALU_DEP_1)
	v_xor_b32_e32 v17, 16, v26
	v_cmp_gt_i32_e32 vcc_lo, 32, v17
	v_cndmask_b32_e32 v17, v26, v17, vcc_lo
	s_delay_alu instid0(VALU_DEP_1)
	v_lshlrev_b32_e32 v24, 2, v17
	ds_bpermute_b32 v17, v24, v11
	ds_bpermute_b32 v18, v24, v12
	;; [unrolled: 1-line block ×8, first 2 shown]
	s_waitcnt lgkmcnt(6)
	v_add_f64 v[11:12], v[11:12], v[17:18]
	v_xor_b32_e32 v17, 8, v26
	s_waitcnt lgkmcnt(4)
	v_add_f64 v[9:10], v[9:10], v[19:20]
	s_waitcnt lgkmcnt(2)
	v_add_f64 v[13:14], v[13:14], v[21:22]
	;; [unrolled: 2-line block ×3, first 2 shown]
	v_cmp_gt_i32_e32 vcc_lo, 32, v17
	v_cndmask_b32_e32 v17, v26, v17, vcc_lo
	s_delay_alu instid0(VALU_DEP_1)
	v_lshlrev_b32_e32 v24, 2, v17
	ds_bpermute_b32 v17, v24, v11
	ds_bpermute_b32 v18, v24, v12
	;; [unrolled: 1-line block ×8, first 2 shown]
	s_waitcnt lgkmcnt(6)
	v_add_f64 v[11:12], v[11:12], v[17:18]
	v_xor_b32_e32 v17, 4, v26
	s_waitcnt lgkmcnt(4)
	v_add_f64 v[9:10], v[9:10], v[19:20]
	s_waitcnt lgkmcnt(2)
	v_add_f64 v[13:14], v[13:14], v[21:22]
	;; [unrolled: 2-line block ×3, first 2 shown]
	v_cmp_gt_i32_e32 vcc_lo, 32, v17
	v_cndmask_b32_e32 v17, v26, v17, vcc_lo
	s_delay_alu instid0(VALU_DEP_1)
	v_lshlrev_b32_e32 v24, 2, v17
	ds_bpermute_b32 v17, v24, v11
	ds_bpermute_b32 v18, v24, v12
	;; [unrolled: 1-line block ×8, first 2 shown]
	s_waitcnt lgkmcnt(6)
	v_add_f64 v[11:12], v[11:12], v[17:18]
	s_waitcnt lgkmcnt(4)
	v_add_f64 v[17:18], v[9:10], v[19:20]
	v_xor_b32_e32 v9, 2, v26
	s_waitcnt lgkmcnt(2)
	v_add_f64 v[13:14], v[13:14], v[21:22]
	s_waitcnt lgkmcnt(0)
	v_add_f64 v[19:20], v[15:16], v[23:24]
	v_cmp_gt_i32_e32 vcc_lo, 32, v9
	v_cndmask_b32_e32 v9, v26, v9, vcc_lo
	s_delay_alu instid0(VALU_DEP_1)
	v_lshlrev_b32_e32 v24, 2, v9
	ds_bpermute_b32 v9, v24, v11
	ds_bpermute_b32 v10, v24, v12
	;; [unrolled: 1-line block ×8, first 2 shown]
	s_waitcnt lgkmcnt(6)
	v_add_f64 v[9:10], v[11:12], v[9:10]
	s_waitcnt lgkmcnt(4)
	v_add_f64 v[15:16], v[17:18], v[15:16]
	v_xor_b32_e32 v17, 1, v26
	s_waitcnt lgkmcnt(2)
	v_add_f64 v[11:12], v[13:14], v[21:22]
	s_waitcnt lgkmcnt(0)
	v_add_f64 v[13:14], v[19:20], v[23:24]
	v_cmp_gt_i32_e32 vcc_lo, 32, v17
	v_cndmask_b32_e32 v17, v26, v17, vcc_lo
	v_cmp_eq_u32_e32 vcc_lo, 31, v25
	s_delay_alu instid0(VALU_DEP_2)
	v_lshlrev_b32_e32 v20, 2, v17
	ds_bpermute_b32 v23, v20, v9
	ds_bpermute_b32 v24, v20, v10
	;; [unrolled: 1-line block ×8, first 2 shown]
	s_and_b32 exec_lo, exec_lo, vcc_lo
	s_cbranch_execz .LBB236_25
; %bb.21:
	v_cmp_eq_f64_e32 vcc_lo, 0, v[4:5]
	v_cmp_eq_f64_e64 s0, 0, v[6:7]
	s_waitcnt lgkmcnt(6)
	v_add_f64 v[9:10], v[9:10], v[23:24]
	s_waitcnt lgkmcnt(4)
	v_add_f64 v[15:16], v[15:16], v[21:22]
	;; [unrolled: 2-line block ×4, first 2 shown]
	s_load_b64 s[2:3], s[2:3], 0x48
	s_and_b32 s0, vcc_lo, s0
	s_delay_alu instid0(SALU_CYCLE_1) | instskip(NEXT) | instid1(SALU_CYCLE_1)
	s_and_saveexec_b32 s1, s0
	s_xor_b32 s0, exec_lo, s1
	s_cbranch_execz .LBB236_23
; %bb.22:
	s_delay_alu instid0(VALU_DEP_3) | instskip(SKIP_1) | instid1(VALU_DEP_3)
	v_mul_f64 v[4:5], v[15:16], -v[2:3]
	v_mul_f64 v[6:7], v[0:1], v[15:16]
	v_mul_f64 v[15:16], v[13:14], -v[2:3]
	v_mul_f64 v[13:14], v[0:1], v[13:14]
	v_lshlrev_b32_e32 v8, 1, v8
	v_fma_f64 v[4:5], v[0:1], v[9:10], v[4:5]
	v_fma_f64 v[6:7], v[2:3], v[9:10], v[6:7]
	;; [unrolled: 1-line block ×4, first 2 shown]
	v_ashrrev_i32_e32 v9, 31, v8
                                        ; implicit-def: $vgpr15_vgpr16
                                        ; implicit-def: $vgpr11_vgpr12
                                        ; implicit-def: $vgpr13_vgpr14
	s_delay_alu instid0(VALU_DEP_1) | instskip(SKIP_1) | instid1(VALU_DEP_1)
	v_lshlrev_b64 v[8:9], 4, v[8:9]
	s_waitcnt lgkmcnt(0)
	v_add_co_u32 v8, vcc_lo, s2, v8
	s_delay_alu instid0(VALU_DEP_2)
	v_add_co_ci_u32_e32 v9, vcc_lo, s3, v9, vcc_lo
	s_clause 0x1
	global_store_b128 v[8:9], v[4:7], off
	global_store_b128 v[8:9], v[0:3], off offset:16
                                        ; implicit-def: $vgpr0_vgpr1
                                        ; implicit-def: $vgpr2_vgpr3
                                        ; implicit-def: $vgpr4_vgpr5
                                        ; implicit-def: $vgpr6_vgpr7
                                        ; implicit-def: $vgpr8
                                        ; implicit-def: $vgpr9_vgpr10
.LBB236_23:
	s_and_not1_saveexec_b32 s0, s0
	s_cbranch_execz .LBB236_25
; %bb.24:
	v_lshlrev_b32_e32 v17, 1, v8
	s_delay_alu instid0(VALU_DEP_4) | instskip(SKIP_1) | instid1(VALU_DEP_4)
	v_mul_f64 v[27:28], v[15:16], -v[2:3]
	v_mul_f64 v[15:16], v[0:1], v[15:16]
	v_mul_f64 v[29:30], v[13:14], -v[2:3]
	v_mul_f64 v[13:14], v[0:1], v[13:14]
	v_ashrrev_i32_e32 v18, 31, v17
	s_delay_alu instid0(VALU_DEP_1) | instskip(SKIP_1) | instid1(VALU_DEP_1)
	v_lshlrev_b64 v[17:18], 4, v[17:18]
	s_waitcnt lgkmcnt(0)
	v_add_co_u32 v25, vcc_lo, s2, v17
	s_delay_alu instid0(VALU_DEP_2)
	v_add_co_ci_u32_e32 v26, vcc_lo, s3, v18, vcc_lo
	s_clause 0x1
	global_load_b128 v[17:20], v[25:26], off
	global_load_b128 v[21:24], v[25:26], off offset:16
	v_fma_f64 v[27:28], v[0:1], v[9:10], v[27:28]
	v_fma_f64 v[8:9], v[2:3], v[9:10], v[15:16]
	;; [unrolled: 1-line block ×4, first 2 shown]
	s_waitcnt vmcnt(1)
	s_delay_alu instid0(VALU_DEP_4) | instskip(NEXT) | instid1(VALU_DEP_4)
	v_fma_f64 v[10:11], v[4:5], v[17:18], v[27:28]
	v_fma_f64 v[8:9], v[6:7], v[17:18], v[8:9]
	s_waitcnt vmcnt(0)
	s_delay_alu instid0(VALU_DEP_4) | instskip(NEXT) | instid1(VALU_DEP_4)
	v_fma_f64 v[12:13], v[4:5], v[21:22], v[0:1]
	v_fma_f64 v[14:15], v[6:7], v[21:22], v[2:3]
	s_delay_alu instid0(VALU_DEP_4) | instskip(NEXT) | instid1(VALU_DEP_4)
	v_fma_f64 v[0:1], -v[6:7], v[19:20], v[10:11]
	v_fma_f64 v[2:3], v[4:5], v[19:20], v[8:9]
	s_delay_alu instid0(VALU_DEP_4) | instskip(NEXT) | instid1(VALU_DEP_4)
	v_fma_f64 v[6:7], -v[6:7], v[23:24], v[12:13]
	v_fma_f64 v[8:9], v[4:5], v[23:24], v[14:15]
	s_clause 0x1
	global_store_b128 v[25:26], v[0:3], off
	global_store_b128 v[25:26], v[6:9], off offset:16
.LBB236_25:
	s_nop 0
	s_sendmsg sendmsg(MSG_DEALLOC_VGPRS)
	s_endpgm
	.section	.rodata,"a",@progbits
	.p2align	6, 0x0
	.amdhsa_kernel _ZN9rocsparseL19gebsrmvn_2xn_kernelILj128ELj3ELj32E21rocsparse_complex_numIdEEEvi20rocsparse_direction_NS_24const_host_device_scalarIT2_EEPKiS8_PKS5_SA_S6_PS5_21rocsparse_index_base_b
		.amdhsa_group_segment_fixed_size 2048
		.amdhsa_private_segment_fixed_size 0
		.amdhsa_kernarg_size 88
		.amdhsa_user_sgpr_count 15
		.amdhsa_user_sgpr_dispatch_ptr 1
		.amdhsa_user_sgpr_queue_ptr 0
		.amdhsa_user_sgpr_kernarg_segment_ptr 1
		.amdhsa_user_sgpr_dispatch_id 0
		.amdhsa_user_sgpr_private_segment_size 0
		.amdhsa_wavefront_size32 1
		.amdhsa_uses_dynamic_stack 0
		.amdhsa_enable_private_segment 0
		.amdhsa_system_sgpr_workgroup_id_x 1
		.amdhsa_system_sgpr_workgroup_id_y 0
		.amdhsa_system_sgpr_workgroup_id_z 0
		.amdhsa_system_sgpr_workgroup_info 0
		.amdhsa_system_vgpr_workitem_id 2
		.amdhsa_next_free_vgpr 62
		.amdhsa_next_free_sgpr 18
		.amdhsa_reserve_vcc 1
		.amdhsa_float_round_mode_32 0
		.amdhsa_float_round_mode_16_64 0
		.amdhsa_float_denorm_mode_32 3
		.amdhsa_float_denorm_mode_16_64 3
		.amdhsa_dx10_clamp 1
		.amdhsa_ieee_mode 1
		.amdhsa_fp16_overflow 0
		.amdhsa_workgroup_processor_mode 1
		.amdhsa_memory_ordered 1
		.amdhsa_forward_progress 0
		.amdhsa_shared_vgpr_count 0
		.amdhsa_exception_fp_ieee_invalid_op 0
		.amdhsa_exception_fp_denorm_src 0
		.amdhsa_exception_fp_ieee_div_zero 0
		.amdhsa_exception_fp_ieee_overflow 0
		.amdhsa_exception_fp_ieee_underflow 0
		.amdhsa_exception_fp_ieee_inexact 0
		.amdhsa_exception_int_div_zero 0
	.end_amdhsa_kernel
	.section	.text._ZN9rocsparseL19gebsrmvn_2xn_kernelILj128ELj3ELj32E21rocsparse_complex_numIdEEEvi20rocsparse_direction_NS_24const_host_device_scalarIT2_EEPKiS8_PKS5_SA_S6_PS5_21rocsparse_index_base_b,"axG",@progbits,_ZN9rocsparseL19gebsrmvn_2xn_kernelILj128ELj3ELj32E21rocsparse_complex_numIdEEEvi20rocsparse_direction_NS_24const_host_device_scalarIT2_EEPKiS8_PKS5_SA_S6_PS5_21rocsparse_index_base_b,comdat
.Lfunc_end236:
	.size	_ZN9rocsparseL19gebsrmvn_2xn_kernelILj128ELj3ELj32E21rocsparse_complex_numIdEEEvi20rocsparse_direction_NS_24const_host_device_scalarIT2_EEPKiS8_PKS5_SA_S6_PS5_21rocsparse_index_base_b, .Lfunc_end236-_ZN9rocsparseL19gebsrmvn_2xn_kernelILj128ELj3ELj32E21rocsparse_complex_numIdEEEvi20rocsparse_direction_NS_24const_host_device_scalarIT2_EEPKiS8_PKS5_SA_S6_PS5_21rocsparse_index_base_b
                                        ; -- End function
	.section	.AMDGPU.csdata,"",@progbits
; Kernel info:
; codeLenInByte = 3040
; NumSgprs: 20
; NumVgprs: 62
; ScratchSize: 0
; MemoryBound: 0
; FloatMode: 240
; IeeeMode: 1
; LDSByteSize: 2048 bytes/workgroup (compile time only)
; SGPRBlocks: 2
; VGPRBlocks: 7
; NumSGPRsForWavesPerEU: 20
; NumVGPRsForWavesPerEU: 62
; Occupancy: 16
; WaveLimiterHint : 1
; COMPUTE_PGM_RSRC2:SCRATCH_EN: 0
; COMPUTE_PGM_RSRC2:USER_SGPR: 15
; COMPUTE_PGM_RSRC2:TRAP_HANDLER: 0
; COMPUTE_PGM_RSRC2:TGID_X_EN: 1
; COMPUTE_PGM_RSRC2:TGID_Y_EN: 0
; COMPUTE_PGM_RSRC2:TGID_Z_EN: 0
; COMPUTE_PGM_RSRC2:TIDIG_COMP_CNT: 2
	.section	.text._ZN9rocsparseL19gebsrmvn_2xn_kernelILj128ELj3ELj64E21rocsparse_complex_numIdEEEvi20rocsparse_direction_NS_24const_host_device_scalarIT2_EEPKiS8_PKS5_SA_S6_PS5_21rocsparse_index_base_b,"axG",@progbits,_ZN9rocsparseL19gebsrmvn_2xn_kernelILj128ELj3ELj64E21rocsparse_complex_numIdEEEvi20rocsparse_direction_NS_24const_host_device_scalarIT2_EEPKiS8_PKS5_SA_S6_PS5_21rocsparse_index_base_b,comdat
	.globl	_ZN9rocsparseL19gebsrmvn_2xn_kernelILj128ELj3ELj64E21rocsparse_complex_numIdEEEvi20rocsparse_direction_NS_24const_host_device_scalarIT2_EEPKiS8_PKS5_SA_S6_PS5_21rocsparse_index_base_b ; -- Begin function _ZN9rocsparseL19gebsrmvn_2xn_kernelILj128ELj3ELj64E21rocsparse_complex_numIdEEEvi20rocsparse_direction_NS_24const_host_device_scalarIT2_EEPKiS8_PKS5_SA_S6_PS5_21rocsparse_index_base_b
	.p2align	8
	.type	_ZN9rocsparseL19gebsrmvn_2xn_kernelILj128ELj3ELj64E21rocsparse_complex_numIdEEEvi20rocsparse_direction_NS_24const_host_device_scalarIT2_EEPKiS8_PKS5_SA_S6_PS5_21rocsparse_index_base_b,@function
_ZN9rocsparseL19gebsrmvn_2xn_kernelILj128ELj3ELj64E21rocsparse_complex_numIdEEEvi20rocsparse_direction_NS_24const_host_device_scalarIT2_EEPKiS8_PKS5_SA_S6_PS5_21rocsparse_index_base_b: ; @_ZN9rocsparseL19gebsrmvn_2xn_kernelILj128ELj3ELj64E21rocsparse_complex_numIdEEEvi20rocsparse_direction_NS_24const_host_device_scalarIT2_EEPKiS8_PKS5_SA_S6_PS5_21rocsparse_index_base_b
; %bb.0:
	s_load_b64 s[12:13], s[2:3], 0x50
	s_load_b64 s[16:17], s[0:1], 0x4
	s_load_b128 s[8:11], s[2:3], 0x8
	v_bfe_u32 v1, v0, 10, 10
	s_mov_b64 s[0:1], src_shared_base
	s_load_b128 s[4:7], s[2:3], 0x38
	v_and_b32_e32 v10, 0x3ff, v0
	v_bfe_u32 v0, v0, 20, 10
	s_waitcnt lgkmcnt(0)
	s_bitcmp1_b32 s13, 0
	v_mul_u32_u24_e32 v1, s17, v1
	s_cselect_b32 s0, -1, 0
	s_delay_alu instid0(SALU_CYCLE_1)
	s_and_b32 vcc_lo, s0, exec_lo
	s_cselect_b32 s13, s1, s9
	s_lshr_b32 s14, s16, 16
	v_dual_mov_b32 v2, s4 :: v_dual_mov_b32 v3, s5
	s_mul_i32 s14, s14, s17
	v_mov_b32_e32 v6, s13
	v_mad_u32_u24 v1, s14, v10, v1
	s_delay_alu instid0(VALU_DEP_1) | instskip(SKIP_1) | instid1(VALU_DEP_2)
	v_add_lshl_u32 v4, v1, v0, 3
	v_dual_mov_b32 v0, s8 :: v_dual_mov_b32 v1, s9
	v_add_nc_u32_e32 v5, 0x400, v4
	ds_store_2addr_stride64_b64 v4, v[2:3], v[0:1] offset1:2
	v_dual_mov_b32 v2, s10 :: v_dual_mov_b32 v3, s11
	v_cndmask_b32_e64 v5, s8, v5, s0
	s_xor_b32 s10, s0, -1
	flat_load_b64 v[0:1], v[5:6]
	s_cbranch_vccnz .LBB237_2
; %bb.1:
	v_dual_mov_b32 v2, s8 :: v_dual_mov_b32 v3, s9
	flat_load_b64 v[2:3], v[2:3] offset:8
.LBB237_2:
	s_and_b32 s8, s0, exec_lo
	s_cselect_b32 s1, s1, s5
	v_cndmask_b32_e64 v4, s4, v4, s0
	v_dual_mov_b32 v5, s1 :: v_dual_mov_b32 v6, s6
	v_mov_b32_e32 v7, s7
	s_and_not1_b32 vcc_lo, exec_lo, s10
	flat_load_b64 v[4:5], v[4:5]
	s_cbranch_vccnz .LBB237_4
; %bb.3:
	v_dual_mov_b32 v7, s5 :: v_dual_mov_b32 v6, s4
	flat_load_b64 v[6:7], v[6:7] offset:8
.LBB237_4:
	s_waitcnt vmcnt(1) lgkmcnt(1)
	v_cmp_eq_f64_e32 vcc_lo, 0, v[0:1]
	v_cmp_eq_f64_e64 s0, 0, v[2:3]
	s_delay_alu instid0(VALU_DEP_1)
	s_and_b32 s4, vcc_lo, s0
	s_mov_b32 s0, -1
	s_and_saveexec_b32 s1, s4
	s_cbranch_execz .LBB237_6
; %bb.5:
	s_waitcnt vmcnt(0) lgkmcnt(0)
	v_cmp_neq_f64_e32 vcc_lo, 1.0, v[4:5]
	v_cmp_neq_f64_e64 s0, 0, v[6:7]
	s_delay_alu instid0(VALU_DEP_1) | instskip(NEXT) | instid1(SALU_CYCLE_1)
	s_or_b32 s0, vcc_lo, s0
	s_or_not1_b32 s0, s0, exec_lo
.LBB237_6:
	s_or_b32 exec_lo, exec_lo, s1
	s_and_saveexec_b32 s1, s0
	s_cbranch_execz .LBB237_25
; %bb.7:
	s_load_b64 s[0:1], s[2:3], 0x0
	v_lshrrev_b32_e32 v8, 6, v10
	s_delay_alu instid0(VALU_DEP_1) | instskip(SKIP_1) | instid1(VALU_DEP_1)
	v_lshl_or_b32 v8, s15, 1, v8
	s_waitcnt lgkmcnt(0)
	v_cmp_gt_i32_e32 vcc_lo, s0, v8
	s_and_b32 exec_lo, exec_lo, vcc_lo
	s_cbranch_execz .LBB237_25
; %bb.8:
	s_load_b256 s[4:11], s[2:3], 0x18
	v_ashrrev_i32_e32 v9, 31, v8
	v_and_b32_e32 v25, 63, v10
	s_cmp_lg_u32 s1, 0
	s_delay_alu instid0(VALU_DEP_2) | instskip(SKIP_1) | instid1(VALU_DEP_1)
	v_lshlrev_b64 v[11:12], 2, v[8:9]
	s_waitcnt lgkmcnt(0)
	v_add_co_u32 v11, vcc_lo, s4, v11
	s_delay_alu instid0(VALU_DEP_2) | instskip(SKIP_4) | instid1(VALU_DEP_2)
	v_add_co_ci_u32_e32 v12, vcc_lo, s5, v12, vcc_lo
	global_load_b64 v[11:12], v[11:12], off
	s_waitcnt vmcnt(0)
	v_subrev_nc_u32_e32 v9, s12, v11
	v_subrev_nc_u32_e32 v22, s12, v12
	v_add_nc_u32_e32 v17, v9, v25
	s_delay_alu instid0(VALU_DEP_1)
	v_cmp_lt_i32_e64 s0, v17, v22
	s_cbranch_scc0 .LBB237_14
; %bb.9:
	v_mov_b32_e32 v9, 0
	v_mov_b32_e32 v10, 0
	s_delay_alu instid0(VALU_DEP_1)
	v_dual_mov_b32 v12, v10 :: v_dual_mov_b32 v11, v9
	v_dual_mov_b32 v14, v10 :: v_dual_mov_b32 v13, v9
	v_dual_mov_b32 v16, v10 :: v_dual_mov_b32 v15, v9
	s_and_saveexec_b32 s1, s0
	s_cbranch_execz .LBB237_13
; %bb.10:
	v_dual_mov_b32 v9, 0 :: v_dual_mov_b32 v20, v17
	v_dual_mov_b32 v10, 0 :: v_dual_mov_b32 v19, 0
	v_mul_lo_u32 v18, v17, 6
	s_mov_b32 s4, 0
	s_delay_alu instid0(VALU_DEP_2)
	v_dual_mov_b32 v12, v10 :: v_dual_mov_b32 v11, v9
	v_dual_mov_b32 v14, v10 :: v_dual_mov_b32 v13, v9
	;; [unrolled: 1-line block ×3, first 2 shown]
.LBB237_11:                             ; =>This Inner Loop Header: Depth=1
	v_ashrrev_i32_e32 v21, 31, v20
	s_delay_alu instid0(VALU_DEP_1) | instskip(SKIP_1) | instid1(VALU_DEP_2)
	v_lshlrev_b64 v[23:24], 2, v[20:21]
	v_add_nc_u32_e32 v20, 64, v20
	v_add_co_u32 v23, vcc_lo, s6, v23
	s_delay_alu instid0(VALU_DEP_3) | instskip(SKIP_2) | instid1(VALU_DEP_1)
	v_add_co_ci_u32_e32 v24, vcc_lo, s7, v24, vcc_lo
	global_load_b32 v21, v[23:24], off
	v_lshlrev_b64 v[23:24], 4, v[18:19]
	v_add_co_u32 v23, vcc_lo, s8, v23
	s_delay_alu instid0(VALU_DEP_2) | instskip(SKIP_3) | instid1(VALU_DEP_1)
	v_add_co_ci_u32_e32 v24, vcc_lo, s9, v24, vcc_lo
	global_load_b128 v[26:29], v[23:24], off offset:16
	s_waitcnt vmcnt(1)
	v_subrev_nc_u32_e32 v21, s12, v21
	v_lshl_add_u32 v54, v21, 1, v21
	v_mov_b32_e32 v55, v19
	s_delay_alu instid0(VALU_DEP_2) | instskip(NEXT) | instid1(VALU_DEP_2)
	v_dual_mov_b32 v43, v19 :: v_dual_add_nc_u32 v42, 1, v54
	v_lshlrev_b64 v[30:31], 4, v[54:55]
	v_add_nc_u32_e32 v54, 2, v54
	s_delay_alu instid0(VALU_DEP_3) | instskip(NEXT) | instid1(VALU_DEP_3)
	v_lshlrev_b64 v[42:43], 4, v[42:43]
	v_add_co_u32 v34, vcc_lo, s10, v30
	s_delay_alu instid0(VALU_DEP_4) | instskip(NEXT) | instid1(VALU_DEP_4)
	v_add_co_ci_u32_e32 v35, vcc_lo, s11, v31, vcc_lo
	v_lshlrev_b64 v[54:55], 4, v[54:55]
	global_load_b128 v[30:33], v[23:24], off
	global_load_b128 v[34:37], v[34:35], off
	v_dual_mov_b32 v24, v19 :: v_dual_add_nc_u32 v23, 2, v18
	s_delay_alu instid0(VALU_DEP_1) | instskip(NEXT) | instid1(VALU_DEP_1)
	v_lshlrev_b64 v[23:24], 4, v[23:24]
	v_add_co_u32 v23, vcc_lo, s8, v23
	s_delay_alu instid0(VALU_DEP_2)
	v_add_co_ci_u32_e32 v24, vcc_lo, s9, v24, vcc_lo
	v_add_co_u32 v46, vcc_lo, s10, v42
	v_add_co_ci_u32_e32 v47, vcc_lo, s11, v43, vcc_lo
	s_clause 0x1
	global_load_b128 v[38:41], v[23:24], off offset:16
	global_load_b128 v[42:45], v[23:24], off
	global_load_b128 v[46:49], v[46:47], off
	v_dual_mov_b32 v24, v19 :: v_dual_add_nc_u32 v23, 4, v18
	v_add_nc_u32_e32 v18, 0x180, v18
	s_delay_alu instid0(VALU_DEP_2) | instskip(NEXT) | instid1(VALU_DEP_1)
	v_lshlrev_b64 v[23:24], 4, v[23:24]
	v_add_co_u32 v23, vcc_lo, s8, v23
	s_delay_alu instid0(VALU_DEP_2)
	v_add_co_ci_u32_e32 v24, vcc_lo, s9, v24, vcc_lo
	v_add_co_u32 v58, vcc_lo, s10, v54
	v_add_co_ci_u32_e32 v59, vcc_lo, s11, v55, vcc_lo
	s_clause 0x1
	global_load_b128 v[50:53], v[23:24], off offset:16
	global_load_b128 v[54:57], v[23:24], off
	global_load_b128 v[58:61], v[58:59], off
	v_cmp_ge_i32_e32 vcc_lo, v20, v22
	s_or_b32 s4, vcc_lo, s4
	s_waitcnt vmcnt(6)
	v_fma_f64 v[11:12], v[30:31], v[34:35], v[11:12]
	v_fma_f64 v[9:10], v[32:33], v[34:35], v[9:10]
	;; [unrolled: 1-line block ×4, first 2 shown]
	s_delay_alu instid0(VALU_DEP_4) | instskip(NEXT) | instid1(VALU_DEP_4)
	v_fma_f64 v[11:12], -v[32:33], v[36:37], v[11:12]
	v_fma_f64 v[9:10], v[30:31], v[36:37], v[9:10]
	s_delay_alu instid0(VALU_DEP_4) | instskip(NEXT) | instid1(VALU_DEP_4)
	v_fma_f64 v[13:14], -v[28:29], v[36:37], v[13:14]
	v_fma_f64 v[15:16], v[26:27], v[36:37], v[15:16]
	s_waitcnt vmcnt(3)
	s_delay_alu instid0(VALU_DEP_4) | instskip(NEXT) | instid1(VALU_DEP_4)
	v_fma_f64 v[11:12], v[42:43], v[46:47], v[11:12]
	v_fma_f64 v[9:10], v[44:45], v[46:47], v[9:10]
	s_delay_alu instid0(VALU_DEP_4) | instskip(NEXT) | instid1(VALU_DEP_4)
	v_fma_f64 v[13:14], v[38:39], v[46:47], v[13:14]
	v_fma_f64 v[15:16], v[40:41], v[46:47], v[15:16]
	s_delay_alu instid0(VALU_DEP_4) | instskip(NEXT) | instid1(VALU_DEP_4)
	v_fma_f64 v[11:12], -v[44:45], v[48:49], v[11:12]
	v_fma_f64 v[9:10], v[42:43], v[48:49], v[9:10]
	s_delay_alu instid0(VALU_DEP_4) | instskip(NEXT) | instid1(VALU_DEP_4)
	v_fma_f64 v[13:14], -v[40:41], v[48:49], v[13:14]
	v_fma_f64 v[15:16], v[38:39], v[48:49], v[15:16]
	s_waitcnt vmcnt(0)
	s_delay_alu instid0(VALU_DEP_4) | instskip(NEXT) | instid1(VALU_DEP_4)
	v_fma_f64 v[11:12], v[54:55], v[58:59], v[11:12]
	v_fma_f64 v[9:10], v[56:57], v[58:59], v[9:10]
	s_delay_alu instid0(VALU_DEP_4) | instskip(NEXT) | instid1(VALU_DEP_4)
	v_fma_f64 v[13:14], v[50:51], v[58:59], v[13:14]
	v_fma_f64 v[15:16], v[52:53], v[58:59], v[15:16]
	s_delay_alu instid0(VALU_DEP_4) | instskip(NEXT) | instid1(VALU_DEP_4)
	v_fma_f64 v[11:12], -v[56:57], v[60:61], v[11:12]
	v_fma_f64 v[9:10], v[54:55], v[60:61], v[9:10]
	s_delay_alu instid0(VALU_DEP_4) | instskip(NEXT) | instid1(VALU_DEP_4)
	v_fma_f64 v[13:14], -v[52:53], v[60:61], v[13:14]
	v_fma_f64 v[15:16], v[50:51], v[60:61], v[15:16]
	s_and_not1_b32 exec_lo, exec_lo, s4
	s_cbranch_execnz .LBB237_11
; %bb.12:
	s_or_b32 exec_lo, exec_lo, s4
.LBB237_13:
	s_delay_alu instid0(SALU_CYCLE_1)
	s_or_b32 exec_lo, exec_lo, s1
	s_cbranch_execz .LBB237_15
	s_branch .LBB237_20
.LBB237_14:
                                        ; implicit-def: $vgpr9_vgpr10
                                        ; implicit-def: $vgpr11_vgpr12
                                        ; implicit-def: $vgpr13_vgpr14
                                        ; implicit-def: $vgpr15_vgpr16
.LBB237_15:
	v_mov_b32_e32 v9, 0
	v_mov_b32_e32 v10, 0
	s_delay_alu instid0(VALU_DEP_1)
	v_dual_mov_b32 v12, v10 :: v_dual_mov_b32 v11, v9
	v_dual_mov_b32 v14, v10 :: v_dual_mov_b32 v13, v9
	;; [unrolled: 1-line block ×3, first 2 shown]
	s_and_saveexec_b32 s1, s0
	s_cbranch_execz .LBB237_19
; %bb.16:
	v_mov_b32_e32 v9, 0
	v_dual_mov_b32 v10, 0 :: v_dual_mov_b32 v21, 0
	v_mad_u64_u32 v[19:20], null, v17, 6, 5
	s_mov_b32 s0, 0
	s_delay_alu instid0(VALU_DEP_2)
	v_dual_mov_b32 v12, v10 :: v_dual_mov_b32 v11, v9
	v_dual_mov_b32 v14, v10 :: v_dual_mov_b32 v13, v9
	;; [unrolled: 1-line block ×3, first 2 shown]
.LBB237_17:                             ; =>This Inner Loop Header: Depth=1
	v_ashrrev_i32_e32 v18, 31, v17
	v_dual_mov_b32 v55, v21 :: v_dual_add_nc_u32 v20, -5, v19
	s_delay_alu instid0(VALU_DEP_2) | instskip(NEXT) | instid1(VALU_DEP_2)
	v_lshlrev_b64 v[23:24], 2, v[17:18]
	v_lshlrev_b64 v[26:27], 4, v[20:21]
	v_add_nc_u32_e32 v17, 64, v17
	s_delay_alu instid0(VALU_DEP_3) | instskip(NEXT) | instid1(VALU_DEP_4)
	v_add_co_u32 v23, vcc_lo, s6, v23
	v_add_co_ci_u32_e32 v24, vcc_lo, s7, v24, vcc_lo
	s_delay_alu instid0(VALU_DEP_4)
	v_add_co_u32 v30, vcc_lo, s8, v26
	v_add_co_ci_u32_e32 v31, vcc_lo, s9, v27, vcc_lo
	global_load_b32 v18, v[23:24], off
	v_dual_mov_b32 v24, v21 :: v_dual_add_nc_u32 v23, -2, v19
	s_clause 0x1
	global_load_b128 v[26:29], v[30:31], off offset:16
	global_load_b128 v[30:33], v[30:31], off
	v_lshlrev_b64 v[23:24], 4, v[23:24]
	s_delay_alu instid0(VALU_DEP_1) | instskip(NEXT) | instid1(VALU_DEP_2)
	v_add_co_u32 v23, vcc_lo, s8, v23
	v_add_co_ci_u32_e32 v24, vcc_lo, s9, v24, vcc_lo
	s_waitcnt vmcnt(2)
	v_subrev_nc_u32_e32 v18, s12, v18
	s_delay_alu instid0(VALU_DEP_1) | instskip(NEXT) | instid1(VALU_DEP_1)
	v_lshl_add_u32 v54, v18, 1, v18
	v_lshlrev_b64 v[34:35], 4, v[54:55]
	v_add_nc_u32_e32 v20, 1, v54
	s_delay_alu instid0(VALU_DEP_2) | instskip(NEXT) | instid1(VALU_DEP_3)
	v_add_co_u32 v38, vcc_lo, s10, v34
	v_add_co_ci_u32_e32 v39, vcc_lo, s11, v35, vcc_lo
	global_load_b128 v[34:37], v[23:24], off
	global_load_b128 v[38:41], v[38:39], off
	v_lshlrev_b64 v[23:24], 4, v[20:21]
	v_add_nc_u32_e32 v20, -1, v19
	s_delay_alu instid0(VALU_DEP_1) | instskip(NEXT) | instid1(VALU_DEP_3)
	v_lshlrev_b64 v[42:43], 4, v[20:21]
	v_add_co_u32 v23, vcc_lo, s10, v23
	s_delay_alu instid0(VALU_DEP_4) | instskip(SKIP_1) | instid1(VALU_DEP_4)
	v_add_co_ci_u32_e32 v24, vcc_lo, s11, v24, vcc_lo
	v_mov_b32_e32 v20, v21
	v_add_co_u32 v46, vcc_lo, s8, v42
	v_add_co_ci_u32_e32 v47, vcc_lo, s9, v43, vcc_lo
	global_load_b128 v[42:45], v[23:24], off
	global_load_b128 v[46:49], v[46:47], off
	v_lshlrev_b64 v[23:24], 4, v[19:20]
	v_add_nc_u32_e32 v20, -3, v19
	v_add_nc_u32_e32 v19, 0x180, v19
	s_delay_alu instid0(VALU_DEP_3) | instskip(NEXT) | instid1(VALU_DEP_4)
	v_add_co_u32 v23, vcc_lo, s8, v23
	v_add_co_ci_u32_e32 v24, vcc_lo, s9, v24, vcc_lo
	global_load_b128 v[50:53], v[23:24], off
	v_lshlrev_b64 v[23:24], 4, v[20:21]
	v_add_nc_u32_e32 v20, 2, v54
	s_delay_alu instid0(VALU_DEP_1) | instskip(NEXT) | instid1(VALU_DEP_3)
	v_lshlrev_b64 v[54:55], 4, v[20:21]
	v_add_co_u32 v23, vcc_lo, s8, v23
	s_delay_alu instid0(VALU_DEP_4) | instskip(NEXT) | instid1(VALU_DEP_3)
	v_add_co_ci_u32_e32 v24, vcc_lo, s9, v24, vcc_lo
	v_add_co_u32 v58, vcc_lo, s10, v54
	s_delay_alu instid0(VALU_DEP_4)
	v_add_co_ci_u32_e32 v59, vcc_lo, s11, v55, vcc_lo
	global_load_b128 v[54:57], v[23:24], off
	global_load_b128 v[58:61], v[58:59], off
	v_cmp_ge_i32_e32 vcc_lo, v17, v22
	s_or_b32 s0, vcc_lo, s0
	s_waitcnt vmcnt(5)
	v_fma_f64 v[11:12], v[30:31], v[38:39], v[11:12]
	v_fma_f64 v[9:10], v[32:33], v[38:39], v[9:10]
	;; [unrolled: 1-line block ×4, first 2 shown]
	s_delay_alu instid0(VALU_DEP_4) | instskip(NEXT) | instid1(VALU_DEP_4)
	v_fma_f64 v[11:12], -v[32:33], v[40:41], v[11:12]
	v_fma_f64 v[9:10], v[30:31], v[40:41], v[9:10]
	s_delay_alu instid0(VALU_DEP_4) | instskip(NEXT) | instid1(VALU_DEP_4)
	v_fma_f64 v[13:14], -v[36:37], v[40:41], v[13:14]
	v_fma_f64 v[15:16], v[34:35], v[40:41], v[15:16]
	s_waitcnt vmcnt(4)
	s_delay_alu instid0(VALU_DEP_4) | instskip(NEXT) | instid1(VALU_DEP_4)
	v_fma_f64 v[11:12], v[26:27], v[42:43], v[11:12]
	v_fma_f64 v[9:10], v[28:29], v[42:43], v[9:10]
	s_waitcnt vmcnt(3)
	s_delay_alu instid0(VALU_DEP_4) | instskip(NEXT) | instid1(VALU_DEP_4)
	v_fma_f64 v[13:14], v[46:47], v[42:43], v[13:14]
	v_fma_f64 v[15:16], v[48:49], v[42:43], v[15:16]
	s_delay_alu instid0(VALU_DEP_4) | instskip(NEXT) | instid1(VALU_DEP_4)
	v_fma_f64 v[11:12], -v[28:29], v[44:45], v[11:12]
	v_fma_f64 v[9:10], v[26:27], v[44:45], v[9:10]
	s_delay_alu instid0(VALU_DEP_4) | instskip(NEXT) | instid1(VALU_DEP_4)
	v_fma_f64 v[13:14], -v[48:49], v[44:45], v[13:14]
	v_fma_f64 v[15:16], v[46:47], v[44:45], v[15:16]
	s_waitcnt vmcnt(0)
	s_delay_alu instid0(VALU_DEP_4) | instskip(NEXT) | instid1(VALU_DEP_4)
	v_fma_f64 v[11:12], v[54:55], v[58:59], v[11:12]
	v_fma_f64 v[9:10], v[56:57], v[58:59], v[9:10]
	s_delay_alu instid0(VALU_DEP_4) | instskip(NEXT) | instid1(VALU_DEP_4)
	v_fma_f64 v[13:14], v[50:51], v[58:59], v[13:14]
	v_fma_f64 v[15:16], v[52:53], v[58:59], v[15:16]
	s_delay_alu instid0(VALU_DEP_4) | instskip(NEXT) | instid1(VALU_DEP_4)
	v_fma_f64 v[11:12], -v[56:57], v[60:61], v[11:12]
	v_fma_f64 v[9:10], v[54:55], v[60:61], v[9:10]
	s_delay_alu instid0(VALU_DEP_4) | instskip(NEXT) | instid1(VALU_DEP_4)
	v_fma_f64 v[13:14], -v[52:53], v[60:61], v[13:14]
	v_fma_f64 v[15:16], v[50:51], v[60:61], v[15:16]
	s_and_not1_b32 exec_lo, exec_lo, s0
	s_cbranch_execnz .LBB237_17
; %bb.18:
	s_or_b32 exec_lo, exec_lo, s0
.LBB237_19:
	s_delay_alu instid0(SALU_CYCLE_1)
	s_or_b32 exec_lo, exec_lo, s1
.LBB237_20:
	v_mbcnt_lo_u32_b32 v26, -1, 0
	s_delay_alu instid0(VALU_DEP_1) | instskip(NEXT) | instid1(VALU_DEP_1)
	v_or_b32_e32 v17, 32, v26
	v_cmp_gt_i32_e32 vcc_lo, 32, v17
	v_cndmask_b32_e32 v17, v26, v17, vcc_lo
	s_delay_alu instid0(VALU_DEP_1)
	v_lshlrev_b32_e32 v24, 2, v17
	ds_bpermute_b32 v17, v24, v11
	ds_bpermute_b32 v18, v24, v12
	ds_bpermute_b32 v19, v24, v9
	ds_bpermute_b32 v20, v24, v10
	ds_bpermute_b32 v21, v24, v13
	ds_bpermute_b32 v22, v24, v14
	ds_bpermute_b32 v23, v24, v15
	ds_bpermute_b32 v24, v24, v16
	s_waitcnt lgkmcnt(6)
	v_add_f64 v[11:12], v[11:12], v[17:18]
	v_xor_b32_e32 v17, 16, v26
	s_waitcnt lgkmcnt(4)
	v_add_f64 v[9:10], v[9:10], v[19:20]
	s_waitcnt lgkmcnt(2)
	v_add_f64 v[13:14], v[13:14], v[21:22]
	s_waitcnt lgkmcnt(0)
	v_add_f64 v[15:16], v[15:16], v[23:24]
	v_cmp_gt_i32_e32 vcc_lo, 32, v17
	v_cndmask_b32_e32 v17, v26, v17, vcc_lo
	s_delay_alu instid0(VALU_DEP_1)
	v_lshlrev_b32_e32 v24, 2, v17
	ds_bpermute_b32 v17, v24, v11
	ds_bpermute_b32 v18, v24, v12
	ds_bpermute_b32 v19, v24, v9
	ds_bpermute_b32 v20, v24, v10
	ds_bpermute_b32 v21, v24, v13
	ds_bpermute_b32 v22, v24, v14
	ds_bpermute_b32 v23, v24, v15
	ds_bpermute_b32 v24, v24, v16
	s_waitcnt lgkmcnt(6)
	v_add_f64 v[11:12], v[11:12], v[17:18]
	v_xor_b32_e32 v17, 8, v26
	s_waitcnt lgkmcnt(4)
	v_add_f64 v[9:10], v[9:10], v[19:20]
	s_waitcnt lgkmcnt(2)
	v_add_f64 v[13:14], v[13:14], v[21:22]
	s_waitcnt lgkmcnt(0)
	v_add_f64 v[15:16], v[15:16], v[23:24]
	;; [unrolled: 21-line block ×3, first 2 shown]
	v_cmp_gt_i32_e32 vcc_lo, 32, v17
	v_cndmask_b32_e32 v17, v26, v17, vcc_lo
	s_delay_alu instid0(VALU_DEP_1)
	v_lshlrev_b32_e32 v24, 2, v17
	ds_bpermute_b32 v17, v24, v11
	ds_bpermute_b32 v18, v24, v12
	;; [unrolled: 1-line block ×8, first 2 shown]
	s_waitcnt lgkmcnt(6)
	v_add_f64 v[11:12], v[11:12], v[17:18]
	s_waitcnt lgkmcnt(4)
	v_add_f64 v[17:18], v[9:10], v[19:20]
	v_xor_b32_e32 v9, 2, v26
	s_waitcnt lgkmcnt(2)
	v_add_f64 v[13:14], v[13:14], v[21:22]
	s_waitcnt lgkmcnt(0)
	v_add_f64 v[19:20], v[15:16], v[23:24]
	v_cmp_gt_i32_e32 vcc_lo, 32, v9
	v_cndmask_b32_e32 v9, v26, v9, vcc_lo
	s_delay_alu instid0(VALU_DEP_1)
	v_lshlrev_b32_e32 v24, 2, v9
	ds_bpermute_b32 v9, v24, v11
	ds_bpermute_b32 v10, v24, v12
	;; [unrolled: 1-line block ×8, first 2 shown]
	s_waitcnt lgkmcnt(6)
	v_add_f64 v[9:10], v[11:12], v[9:10]
	s_waitcnt lgkmcnt(4)
	v_add_f64 v[15:16], v[17:18], v[15:16]
	v_xor_b32_e32 v17, 1, v26
	s_waitcnt lgkmcnt(2)
	v_add_f64 v[11:12], v[13:14], v[21:22]
	s_waitcnt lgkmcnt(0)
	v_add_f64 v[13:14], v[19:20], v[23:24]
	v_cmp_gt_i32_e32 vcc_lo, 32, v17
	v_cndmask_b32_e32 v17, v26, v17, vcc_lo
	v_cmp_eq_u32_e32 vcc_lo, 63, v25
	s_delay_alu instid0(VALU_DEP_2)
	v_lshlrev_b32_e32 v20, 2, v17
	ds_bpermute_b32 v23, v20, v9
	ds_bpermute_b32 v24, v20, v10
	;; [unrolled: 1-line block ×8, first 2 shown]
	s_and_b32 exec_lo, exec_lo, vcc_lo
	s_cbranch_execz .LBB237_25
; %bb.21:
	v_cmp_eq_f64_e32 vcc_lo, 0, v[4:5]
	v_cmp_eq_f64_e64 s0, 0, v[6:7]
	s_waitcnt lgkmcnt(6)
	v_add_f64 v[9:10], v[9:10], v[23:24]
	s_waitcnt lgkmcnt(4)
	v_add_f64 v[15:16], v[15:16], v[21:22]
	;; [unrolled: 2-line block ×4, first 2 shown]
	s_load_b64 s[2:3], s[2:3], 0x48
	s_and_b32 s0, vcc_lo, s0
	s_delay_alu instid0(SALU_CYCLE_1) | instskip(NEXT) | instid1(SALU_CYCLE_1)
	s_and_saveexec_b32 s1, s0
	s_xor_b32 s0, exec_lo, s1
	s_cbranch_execz .LBB237_23
; %bb.22:
	s_delay_alu instid0(VALU_DEP_3) | instskip(SKIP_1) | instid1(VALU_DEP_3)
	v_mul_f64 v[4:5], v[15:16], -v[2:3]
	v_mul_f64 v[6:7], v[0:1], v[15:16]
	v_mul_f64 v[15:16], v[13:14], -v[2:3]
	v_mul_f64 v[13:14], v[0:1], v[13:14]
	v_lshlrev_b32_e32 v8, 1, v8
	v_fma_f64 v[4:5], v[0:1], v[9:10], v[4:5]
	v_fma_f64 v[6:7], v[2:3], v[9:10], v[6:7]
	;; [unrolled: 1-line block ×4, first 2 shown]
	v_ashrrev_i32_e32 v9, 31, v8
                                        ; implicit-def: $vgpr15_vgpr16
                                        ; implicit-def: $vgpr11_vgpr12
                                        ; implicit-def: $vgpr13_vgpr14
	s_delay_alu instid0(VALU_DEP_1) | instskip(SKIP_1) | instid1(VALU_DEP_1)
	v_lshlrev_b64 v[8:9], 4, v[8:9]
	s_waitcnt lgkmcnt(0)
	v_add_co_u32 v8, vcc_lo, s2, v8
	s_delay_alu instid0(VALU_DEP_2)
	v_add_co_ci_u32_e32 v9, vcc_lo, s3, v9, vcc_lo
	s_clause 0x1
	global_store_b128 v[8:9], v[4:7], off
	global_store_b128 v[8:9], v[0:3], off offset:16
                                        ; implicit-def: $vgpr0_vgpr1
                                        ; implicit-def: $vgpr2_vgpr3
                                        ; implicit-def: $vgpr4_vgpr5
                                        ; implicit-def: $vgpr6_vgpr7
                                        ; implicit-def: $vgpr8
                                        ; implicit-def: $vgpr9_vgpr10
.LBB237_23:
	s_and_not1_saveexec_b32 s0, s0
	s_cbranch_execz .LBB237_25
; %bb.24:
	v_lshlrev_b32_e32 v17, 1, v8
	s_delay_alu instid0(VALU_DEP_4) | instskip(SKIP_1) | instid1(VALU_DEP_4)
	v_mul_f64 v[27:28], v[15:16], -v[2:3]
	v_mul_f64 v[15:16], v[0:1], v[15:16]
	v_mul_f64 v[29:30], v[13:14], -v[2:3]
	v_mul_f64 v[13:14], v[0:1], v[13:14]
	v_ashrrev_i32_e32 v18, 31, v17
	s_delay_alu instid0(VALU_DEP_1) | instskip(SKIP_1) | instid1(VALU_DEP_1)
	v_lshlrev_b64 v[17:18], 4, v[17:18]
	s_waitcnt lgkmcnt(0)
	v_add_co_u32 v25, vcc_lo, s2, v17
	s_delay_alu instid0(VALU_DEP_2)
	v_add_co_ci_u32_e32 v26, vcc_lo, s3, v18, vcc_lo
	s_clause 0x1
	global_load_b128 v[17:20], v[25:26], off
	global_load_b128 v[21:24], v[25:26], off offset:16
	v_fma_f64 v[27:28], v[0:1], v[9:10], v[27:28]
	v_fma_f64 v[8:9], v[2:3], v[9:10], v[15:16]
	v_fma_f64 v[0:1], v[0:1], v[11:12], v[29:30]
	v_fma_f64 v[2:3], v[2:3], v[11:12], v[13:14]
	s_waitcnt vmcnt(1)
	s_delay_alu instid0(VALU_DEP_4) | instskip(NEXT) | instid1(VALU_DEP_4)
	v_fma_f64 v[10:11], v[4:5], v[17:18], v[27:28]
	v_fma_f64 v[8:9], v[6:7], v[17:18], v[8:9]
	s_waitcnt vmcnt(0)
	s_delay_alu instid0(VALU_DEP_4) | instskip(NEXT) | instid1(VALU_DEP_4)
	v_fma_f64 v[12:13], v[4:5], v[21:22], v[0:1]
	v_fma_f64 v[14:15], v[6:7], v[21:22], v[2:3]
	s_delay_alu instid0(VALU_DEP_4) | instskip(NEXT) | instid1(VALU_DEP_4)
	v_fma_f64 v[0:1], -v[6:7], v[19:20], v[10:11]
	v_fma_f64 v[2:3], v[4:5], v[19:20], v[8:9]
	s_delay_alu instid0(VALU_DEP_4) | instskip(NEXT) | instid1(VALU_DEP_4)
	v_fma_f64 v[6:7], -v[6:7], v[23:24], v[12:13]
	v_fma_f64 v[8:9], v[4:5], v[23:24], v[14:15]
	s_clause 0x1
	global_store_b128 v[25:26], v[0:3], off
	global_store_b128 v[25:26], v[6:9], off offset:16
.LBB237_25:
	s_nop 0
	s_sendmsg sendmsg(MSG_DEALLOC_VGPRS)
	s_endpgm
	.section	.rodata,"a",@progbits
	.p2align	6, 0x0
	.amdhsa_kernel _ZN9rocsparseL19gebsrmvn_2xn_kernelILj128ELj3ELj64E21rocsparse_complex_numIdEEEvi20rocsparse_direction_NS_24const_host_device_scalarIT2_EEPKiS8_PKS5_SA_S6_PS5_21rocsparse_index_base_b
		.amdhsa_group_segment_fixed_size 2048
		.amdhsa_private_segment_fixed_size 0
		.amdhsa_kernarg_size 88
		.amdhsa_user_sgpr_count 15
		.amdhsa_user_sgpr_dispatch_ptr 1
		.amdhsa_user_sgpr_queue_ptr 0
		.amdhsa_user_sgpr_kernarg_segment_ptr 1
		.amdhsa_user_sgpr_dispatch_id 0
		.amdhsa_user_sgpr_private_segment_size 0
		.amdhsa_wavefront_size32 1
		.amdhsa_uses_dynamic_stack 0
		.amdhsa_enable_private_segment 0
		.amdhsa_system_sgpr_workgroup_id_x 1
		.amdhsa_system_sgpr_workgroup_id_y 0
		.amdhsa_system_sgpr_workgroup_id_z 0
		.amdhsa_system_sgpr_workgroup_info 0
		.amdhsa_system_vgpr_workitem_id 2
		.amdhsa_next_free_vgpr 62
		.amdhsa_next_free_sgpr 18
		.amdhsa_reserve_vcc 1
		.amdhsa_float_round_mode_32 0
		.amdhsa_float_round_mode_16_64 0
		.amdhsa_float_denorm_mode_32 3
		.amdhsa_float_denorm_mode_16_64 3
		.amdhsa_dx10_clamp 1
		.amdhsa_ieee_mode 1
		.amdhsa_fp16_overflow 0
		.amdhsa_workgroup_processor_mode 1
		.amdhsa_memory_ordered 1
		.amdhsa_forward_progress 0
		.amdhsa_shared_vgpr_count 0
		.amdhsa_exception_fp_ieee_invalid_op 0
		.amdhsa_exception_fp_denorm_src 0
		.amdhsa_exception_fp_ieee_div_zero 0
		.amdhsa_exception_fp_ieee_overflow 0
		.amdhsa_exception_fp_ieee_underflow 0
		.amdhsa_exception_fp_ieee_inexact 0
		.amdhsa_exception_int_div_zero 0
	.end_amdhsa_kernel
	.section	.text._ZN9rocsparseL19gebsrmvn_2xn_kernelILj128ELj3ELj64E21rocsparse_complex_numIdEEEvi20rocsparse_direction_NS_24const_host_device_scalarIT2_EEPKiS8_PKS5_SA_S6_PS5_21rocsparse_index_base_b,"axG",@progbits,_ZN9rocsparseL19gebsrmvn_2xn_kernelILj128ELj3ELj64E21rocsparse_complex_numIdEEEvi20rocsparse_direction_NS_24const_host_device_scalarIT2_EEPKiS8_PKS5_SA_S6_PS5_21rocsparse_index_base_b,comdat
.Lfunc_end237:
	.size	_ZN9rocsparseL19gebsrmvn_2xn_kernelILj128ELj3ELj64E21rocsparse_complex_numIdEEEvi20rocsparse_direction_NS_24const_host_device_scalarIT2_EEPKiS8_PKS5_SA_S6_PS5_21rocsparse_index_base_b, .Lfunc_end237-_ZN9rocsparseL19gebsrmvn_2xn_kernelILj128ELj3ELj64E21rocsparse_complex_numIdEEEvi20rocsparse_direction_NS_24const_host_device_scalarIT2_EEPKiS8_PKS5_SA_S6_PS5_21rocsparse_index_base_b
                                        ; -- End function
	.section	.AMDGPU.csdata,"",@progbits
; Kernel info:
; codeLenInByte = 3172
; NumSgprs: 20
; NumVgprs: 62
; ScratchSize: 0
; MemoryBound: 0
; FloatMode: 240
; IeeeMode: 1
; LDSByteSize: 2048 bytes/workgroup (compile time only)
; SGPRBlocks: 2
; VGPRBlocks: 7
; NumSGPRsForWavesPerEU: 20
; NumVGPRsForWavesPerEU: 62
; Occupancy: 16
; WaveLimiterHint : 1
; COMPUTE_PGM_RSRC2:SCRATCH_EN: 0
; COMPUTE_PGM_RSRC2:USER_SGPR: 15
; COMPUTE_PGM_RSRC2:TRAP_HANDLER: 0
; COMPUTE_PGM_RSRC2:TGID_X_EN: 1
; COMPUTE_PGM_RSRC2:TGID_Y_EN: 0
; COMPUTE_PGM_RSRC2:TGID_Z_EN: 0
; COMPUTE_PGM_RSRC2:TIDIG_COMP_CNT: 2
	.section	.text._ZN9rocsparseL19gebsrmvn_2xn_kernelILj128ELj4ELj4E21rocsparse_complex_numIdEEEvi20rocsparse_direction_NS_24const_host_device_scalarIT2_EEPKiS8_PKS5_SA_S6_PS5_21rocsparse_index_base_b,"axG",@progbits,_ZN9rocsparseL19gebsrmvn_2xn_kernelILj128ELj4ELj4E21rocsparse_complex_numIdEEEvi20rocsparse_direction_NS_24const_host_device_scalarIT2_EEPKiS8_PKS5_SA_S6_PS5_21rocsparse_index_base_b,comdat
	.globl	_ZN9rocsparseL19gebsrmvn_2xn_kernelILj128ELj4ELj4E21rocsparse_complex_numIdEEEvi20rocsparse_direction_NS_24const_host_device_scalarIT2_EEPKiS8_PKS5_SA_S6_PS5_21rocsparse_index_base_b ; -- Begin function _ZN9rocsparseL19gebsrmvn_2xn_kernelILj128ELj4ELj4E21rocsparse_complex_numIdEEEvi20rocsparse_direction_NS_24const_host_device_scalarIT2_EEPKiS8_PKS5_SA_S6_PS5_21rocsparse_index_base_b
	.p2align	8
	.type	_ZN9rocsparseL19gebsrmvn_2xn_kernelILj128ELj4ELj4E21rocsparse_complex_numIdEEEvi20rocsparse_direction_NS_24const_host_device_scalarIT2_EEPKiS8_PKS5_SA_S6_PS5_21rocsparse_index_base_b,@function
_ZN9rocsparseL19gebsrmvn_2xn_kernelILj128ELj4ELj4E21rocsparse_complex_numIdEEEvi20rocsparse_direction_NS_24const_host_device_scalarIT2_EEPKiS8_PKS5_SA_S6_PS5_21rocsparse_index_base_b: ; @_ZN9rocsparseL19gebsrmvn_2xn_kernelILj128ELj4ELj4E21rocsparse_complex_numIdEEEvi20rocsparse_direction_NS_24const_host_device_scalarIT2_EEPKiS8_PKS5_SA_S6_PS5_21rocsparse_index_base_b
; %bb.0:
	s_load_b64 s[12:13], s[2:3], 0x50
	s_load_b64 s[16:17], s[0:1], 0x4
	s_load_b128 s[8:11], s[2:3], 0x8
	v_bfe_u32 v1, v0, 10, 10
	s_mov_b64 s[0:1], src_shared_base
	s_load_b128 s[4:7], s[2:3], 0x38
	v_and_b32_e32 v10, 0x3ff, v0
	v_bfe_u32 v0, v0, 20, 10
	s_waitcnt lgkmcnt(0)
	s_bitcmp1_b32 s13, 0
	v_mul_u32_u24_e32 v1, s17, v1
	s_cselect_b32 s0, -1, 0
	s_delay_alu instid0(SALU_CYCLE_1)
	s_and_b32 vcc_lo, s0, exec_lo
	s_cselect_b32 s13, s1, s9
	s_lshr_b32 s14, s16, 16
	v_dual_mov_b32 v2, s4 :: v_dual_mov_b32 v3, s5
	s_mul_i32 s14, s14, s17
	v_mov_b32_e32 v6, s13
	v_mad_u32_u24 v1, s14, v10, v1
	s_delay_alu instid0(VALU_DEP_1) | instskip(SKIP_1) | instid1(VALU_DEP_2)
	v_add_lshl_u32 v4, v1, v0, 3
	v_dual_mov_b32 v0, s8 :: v_dual_mov_b32 v1, s9
	v_add_nc_u32_e32 v5, 0x400, v4
	ds_store_2addr_stride64_b64 v4, v[2:3], v[0:1] offset1:2
	v_dual_mov_b32 v2, s10 :: v_dual_mov_b32 v3, s11
	v_cndmask_b32_e64 v5, s8, v5, s0
	s_xor_b32 s10, s0, -1
	flat_load_b64 v[0:1], v[5:6]
	s_cbranch_vccnz .LBB238_2
; %bb.1:
	v_dual_mov_b32 v2, s8 :: v_dual_mov_b32 v3, s9
	flat_load_b64 v[2:3], v[2:3] offset:8
.LBB238_2:
	s_and_b32 s8, s0, exec_lo
	s_cselect_b32 s1, s1, s5
	v_cndmask_b32_e64 v4, s4, v4, s0
	v_dual_mov_b32 v5, s1 :: v_dual_mov_b32 v6, s6
	v_mov_b32_e32 v7, s7
	s_and_not1_b32 vcc_lo, exec_lo, s10
	flat_load_b64 v[4:5], v[4:5]
	s_cbranch_vccnz .LBB238_4
; %bb.3:
	v_dual_mov_b32 v7, s5 :: v_dual_mov_b32 v6, s4
	flat_load_b64 v[6:7], v[6:7] offset:8
.LBB238_4:
	s_waitcnt vmcnt(1) lgkmcnt(1)
	v_cmp_eq_f64_e32 vcc_lo, 0, v[0:1]
	v_cmp_eq_f64_e64 s0, 0, v[2:3]
	s_delay_alu instid0(VALU_DEP_1)
	s_and_b32 s4, vcc_lo, s0
	s_mov_b32 s0, -1
	s_and_saveexec_b32 s1, s4
	s_cbranch_execz .LBB238_6
; %bb.5:
	s_waitcnt vmcnt(0) lgkmcnt(0)
	v_cmp_neq_f64_e32 vcc_lo, 1.0, v[4:5]
	v_cmp_neq_f64_e64 s0, 0, v[6:7]
	s_delay_alu instid0(VALU_DEP_1) | instskip(NEXT) | instid1(SALU_CYCLE_1)
	s_or_b32 s0, vcc_lo, s0
	s_or_not1_b32 s0, s0, exec_lo
.LBB238_6:
	s_or_b32 exec_lo, exec_lo, s1
	s_and_saveexec_b32 s1, s0
	s_cbranch_execz .LBB238_25
; %bb.7:
	s_load_b64 s[0:1], s[2:3], 0x0
	v_lshrrev_b32_e32 v8, 2, v10
	s_delay_alu instid0(VALU_DEP_1) | instskip(SKIP_1) | instid1(VALU_DEP_1)
	v_lshl_or_b32 v8, s15, 5, v8
	s_waitcnt lgkmcnt(0)
	v_cmp_gt_i32_e32 vcc_lo, s0, v8
	s_and_b32 exec_lo, exec_lo, vcc_lo
	s_cbranch_execz .LBB238_25
; %bb.8:
	s_load_b256 s[4:11], s[2:3], 0x18
	v_ashrrev_i32_e32 v9, 31, v8
	v_and_b32_e32 v25, 3, v10
	s_cmp_lg_u32 s1, 0
	s_delay_alu instid0(VALU_DEP_2) | instskip(SKIP_1) | instid1(VALU_DEP_1)
	v_lshlrev_b64 v[11:12], 2, v[8:9]
	s_waitcnt lgkmcnt(0)
	v_add_co_u32 v11, vcc_lo, s4, v11
	s_delay_alu instid0(VALU_DEP_2) | instskip(SKIP_4) | instid1(VALU_DEP_2)
	v_add_co_ci_u32_e32 v12, vcc_lo, s5, v12, vcc_lo
	global_load_b64 v[11:12], v[11:12], off
	s_waitcnt vmcnt(0)
	v_subrev_nc_u32_e32 v9, s12, v11
	v_subrev_nc_u32_e32 v23, s12, v12
	v_add_nc_u32_e32 v9, v9, v25
	s_delay_alu instid0(VALU_DEP_1)
	v_cmp_lt_i32_e64 s0, v9, v23
	s_cbranch_scc0 .LBB238_14
; %bb.9:
	v_mov_b32_e32 v11, 0
	v_mov_b32_e32 v12, 0
	s_delay_alu instid0(VALU_DEP_1)
	v_dual_mov_b32 v18, v12 :: v_dual_mov_b32 v17, v11
	v_dual_mov_b32 v14, v12 :: v_dual_mov_b32 v13, v11
	;; [unrolled: 1-line block ×3, first 2 shown]
	s_and_saveexec_b32 s1, s0
	s_cbranch_execz .LBB238_13
; %bb.10:
	v_dual_mov_b32 v11, 0 :: v_dual_mov_b32 v20, 0
	v_dual_mov_b32 v12, 0 :: v_dual_lshlrev_b32 v19, 3, v9
	v_mov_b32_e32 v21, v9
	s_mov_b32 s4, 0
	s_delay_alu instid0(VALU_DEP_2)
	v_dual_mov_b32 v18, v12 :: v_dual_mov_b32 v17, v11
	v_dual_mov_b32 v14, v12 :: v_dual_mov_b32 v13, v11
	;; [unrolled: 1-line block ×3, first 2 shown]
.LBB238_11:                             ; =>This Inner Loop Header: Depth=1
	v_ashrrev_i32_e32 v22, 31, v21
	s_delay_alu instid0(VALU_DEP_1) | instskip(SKIP_1) | instid1(VALU_DEP_2)
	v_lshlrev_b64 v[26:27], 2, v[21:22]
	v_add_nc_u32_e32 v21, 4, v21
	v_add_co_u32 v26, vcc_lo, s6, v26
	s_delay_alu instid0(VALU_DEP_3) | instskip(SKIP_3) | instid1(VALU_DEP_2)
	v_add_co_ci_u32_e32 v27, vcc_lo, s7, v27, vcc_lo
	global_load_b32 v10, v[26:27], off
	v_lshlrev_b64 v[26:27], 4, v[19:20]
	v_add_nc_u32_e32 v19, 32, v19
	v_add_co_u32 v70, vcc_lo, s8, v26
	s_delay_alu instid0(VALU_DEP_3) | instskip(SKIP_3) | instid1(VALU_DEP_1)
	v_add_co_ci_u32_e32 v71, vcc_lo, s9, v27, vcc_lo
	global_load_b128 v[26:29], v[70:71], off offset:16
	s_waitcnt vmcnt(1)
	v_subrev_nc_u32_e32 v10, s12, v10
	v_dual_mov_b32 v31, v20 :: v_dual_lshlrev_b32 v30, 2, v10
	s_delay_alu instid0(VALU_DEP_1) | instskip(NEXT) | instid1(VALU_DEP_1)
	v_lshlrev_b64 v[30:31], 4, v[30:31]
	v_add_co_u32 v62, vcc_lo, s10, v30
	s_delay_alu instid0(VALU_DEP_2)
	v_add_co_ci_u32_e32 v63, vcc_lo, s11, v31, vcc_lo
	v_cmp_ge_i32_e32 vcc_lo, v21, v23
	global_load_b128 v[30:33], v[70:71], off
	s_clause 0x1
	global_load_b128 v[34:37], v[62:63], off
	global_load_b128 v[38:41], v[62:63], off offset:16
	s_clause 0x3
	global_load_b128 v[42:45], v[70:71], off offset:32
	global_load_b128 v[46:49], v[70:71], off offset:48
	;; [unrolled: 1-line block ×4, first 2 shown]
	s_clause 0x1
	global_load_b128 v[58:61], v[62:63], off offset:32
	global_load_b128 v[62:65], v[62:63], off offset:48
	s_clause 0x1
	global_load_b128 v[66:69], v[70:71], off offset:96
	global_load_b128 v[70:73], v[70:71], off offset:112
	s_or_b32 s4, vcc_lo, s4
	s_waitcnt vmcnt(9)
	v_fma_f64 v[17:18], v[30:31], v[34:35], v[17:18]
	v_fma_f64 v[10:11], v[32:33], v[34:35], v[11:12]
	;; [unrolled: 1-line block ×4, first 2 shown]
	s_delay_alu instid0(VALU_DEP_4) | instskip(NEXT) | instid1(VALU_DEP_4)
	v_fma_f64 v[16:17], -v[32:33], v[36:37], v[17:18]
	v_fma_f64 v[10:11], v[30:31], v[36:37], v[10:11]
	s_delay_alu instid0(VALU_DEP_4) | instskip(NEXT) | instid1(VALU_DEP_4)
	v_fma_f64 v[12:13], -v[28:29], v[36:37], v[12:13]
	v_fma_f64 v[14:15], v[26:27], v[36:37], v[14:15]
	s_waitcnt vmcnt(7)
	s_delay_alu instid0(VALU_DEP_4) | instskip(NEXT) | instid1(VALU_DEP_4)
	v_fma_f64 v[16:17], v[42:43], v[38:39], v[16:17]
	v_fma_f64 v[10:11], v[44:45], v[38:39], v[10:11]
	s_waitcnt vmcnt(6)
	s_delay_alu instid0(VALU_DEP_4) | instskip(NEXT) | instid1(VALU_DEP_4)
	v_fma_f64 v[12:13], v[46:47], v[38:39], v[12:13]
	v_fma_f64 v[14:15], v[48:49], v[38:39], v[14:15]
	s_delay_alu instid0(VALU_DEP_4) | instskip(NEXT) | instid1(VALU_DEP_4)
	v_fma_f64 v[16:17], -v[44:45], v[40:41], v[16:17]
	v_fma_f64 v[10:11], v[42:43], v[40:41], v[10:11]
	s_delay_alu instid0(VALU_DEP_4) | instskip(NEXT) | instid1(VALU_DEP_4)
	v_fma_f64 v[12:13], -v[48:49], v[40:41], v[12:13]
	v_fma_f64 v[14:15], v[46:47], v[40:41], v[14:15]
	s_waitcnt vmcnt(3)
	s_delay_alu instid0(VALU_DEP_4) | instskip(NEXT) | instid1(VALU_DEP_4)
	v_fma_f64 v[16:17], v[54:55], v[58:59], v[16:17]
	v_fma_f64 v[10:11], v[56:57], v[58:59], v[10:11]
	s_delay_alu instid0(VALU_DEP_4) | instskip(NEXT) | instid1(VALU_DEP_4)
	v_fma_f64 v[12:13], v[50:51], v[58:59], v[12:13]
	v_fma_f64 v[14:15], v[52:53], v[58:59], v[14:15]
	s_delay_alu instid0(VALU_DEP_4) | instskip(NEXT) | instid1(VALU_DEP_4)
	v_fma_f64 v[16:17], -v[56:57], v[60:61], v[16:17]
	v_fma_f64 v[10:11], v[54:55], v[60:61], v[10:11]
	s_delay_alu instid0(VALU_DEP_4) | instskip(NEXT) | instid1(VALU_DEP_4)
	v_fma_f64 v[12:13], -v[52:53], v[60:61], v[12:13]
	v_fma_f64 v[14:15], v[50:51], v[60:61], v[14:15]
	s_waitcnt vmcnt(1)
	s_delay_alu instid0(VALU_DEP_4) | instskip(NEXT) | instid1(VALU_DEP_4)
	v_fma_f64 v[16:17], v[66:67], v[62:63], v[16:17]
	v_fma_f64 v[10:11], v[68:69], v[62:63], v[10:11]
	s_waitcnt vmcnt(0)
	s_delay_alu instid0(VALU_DEP_4) | instskip(NEXT) | instid1(VALU_DEP_4)
	v_fma_f64 v[26:27], v[70:71], v[62:63], v[12:13]
	v_fma_f64 v[28:29], v[72:73], v[62:63], v[14:15]
	s_delay_alu instid0(VALU_DEP_4) | instskip(NEXT) | instid1(VALU_DEP_4)
	v_fma_f64 v[17:18], -v[68:69], v[64:65], v[16:17]
	v_fma_f64 v[11:12], v[66:67], v[64:65], v[10:11]
	s_delay_alu instid0(VALU_DEP_4) | instskip(NEXT) | instid1(VALU_DEP_4)
	v_fma_f64 v[13:14], -v[72:73], v[64:65], v[26:27]
	v_fma_f64 v[15:16], v[70:71], v[64:65], v[28:29]
	s_and_not1_b32 exec_lo, exec_lo, s4
	s_cbranch_execnz .LBB238_11
; %bb.12:
	s_or_b32 exec_lo, exec_lo, s4
.LBB238_13:
	s_delay_alu instid0(SALU_CYCLE_1)
	s_or_b32 exec_lo, exec_lo, s1
	s_cbranch_execz .LBB238_15
	s_branch .LBB238_20
.LBB238_14:
                                        ; implicit-def: $vgpr11_vgpr12
                                        ; implicit-def: $vgpr17_vgpr18
                                        ; implicit-def: $vgpr13_vgpr14
                                        ; implicit-def: $vgpr15_vgpr16
.LBB238_15:
	v_mov_b32_e32 v11, 0
	v_mov_b32_e32 v12, 0
	s_delay_alu instid0(VALU_DEP_1)
	v_dual_mov_b32 v18, v12 :: v_dual_mov_b32 v17, v11
	v_dual_mov_b32 v14, v12 :: v_dual_mov_b32 v13, v11
	;; [unrolled: 1-line block ×3, first 2 shown]
	s_and_saveexec_b32 s1, s0
	s_cbranch_execz .LBB238_19
; %bb.16:
	v_dual_mov_b32 v11, 0 :: v_dual_mov_b32 v20, 0
	v_dual_mov_b32 v12, 0 :: v_dual_lshlrev_b32 v19, 3, v9
	s_mov_b32 s0, 0
	s_delay_alu instid0(VALU_DEP_1)
	v_dual_mov_b32 v18, v12 :: v_dual_mov_b32 v17, v11
	v_dual_mov_b32 v14, v12 :: v_dual_mov_b32 v13, v11
	;; [unrolled: 1-line block ×3, first 2 shown]
.LBB238_17:                             ; =>This Inner Loop Header: Depth=1
	v_ashrrev_i32_e32 v10, 31, v9
	s_delay_alu instid0(VALU_DEP_1) | instskip(SKIP_1) | instid1(VALU_DEP_2)
	v_lshlrev_b64 v[21:22], 2, v[9:10]
	v_add_nc_u32_e32 v9, 4, v9
	v_add_co_u32 v21, vcc_lo, s6, v21
	s_delay_alu instid0(VALU_DEP_3) | instskip(SKIP_3) | instid1(VALU_DEP_2)
	v_add_co_ci_u32_e32 v22, vcc_lo, s7, v22, vcc_lo
	global_load_b32 v10, v[21:22], off
	v_lshlrev_b64 v[21:22], 4, v[19:20]
	v_add_nc_u32_e32 v19, 32, v19
	v_add_co_u32 v21, vcc_lo, s8, v21
	s_delay_alu instid0(VALU_DEP_3)
	v_add_co_ci_u32_e32 v22, vcc_lo, s9, v22, vcc_lo
	s_clause 0x2
	global_load_b128 v[26:29], v[21:22], off offset:16
	global_load_b128 v[30:33], v[21:22], off
	global_load_b128 v[34:37], v[21:22], off offset:80
	s_waitcnt vmcnt(3)
	v_subrev_nc_u32_e32 v10, s12, v10
	s_delay_alu instid0(VALU_DEP_1) | instskip(NEXT) | instid1(VALU_DEP_1)
	v_dual_mov_b32 v39, v20 :: v_dual_lshlrev_b32 v38, 2, v10
	v_lshlrev_b64 v[38:39], 4, v[38:39]
	s_delay_alu instid0(VALU_DEP_1) | instskip(NEXT) | instid1(VALU_DEP_2)
	v_add_co_u32 v70, vcc_lo, s10, v38
	v_add_co_ci_u32_e32 v71, vcc_lo, s11, v39, vcc_lo
	v_cmp_ge_i32_e32 vcc_lo, v9, v23
	global_load_b128 v[38:41], v[21:22], off offset:64
	s_clause 0x1
	global_load_b128 v[42:45], v[70:71], off
	global_load_b128 v[46:49], v[70:71], off offset:16
	s_clause 0x3
	global_load_b128 v[50:53], v[21:22], off offset:48
	global_load_b128 v[54:57], v[21:22], off offset:32
	;; [unrolled: 1-line block ×4, first 2 shown]
	s_clause 0x1
	global_load_b128 v[66:69], v[70:71], off offset:32
	global_load_b128 v[70:73], v[70:71], off offset:48
	s_or_b32 s0, vcc_lo, s0
	s_waitcnt vmcnt(7)
	v_fma_f64 v[17:18], v[30:31], v[42:43], v[17:18]
	v_fma_f64 v[10:11], v[32:33], v[42:43], v[11:12]
	;; [unrolled: 1-line block ×4, first 2 shown]
	s_delay_alu instid0(VALU_DEP_4) | instskip(NEXT) | instid1(VALU_DEP_4)
	v_fma_f64 v[16:17], -v[32:33], v[44:45], v[17:18]
	v_fma_f64 v[10:11], v[30:31], v[44:45], v[10:11]
	s_delay_alu instid0(VALU_DEP_4) | instskip(NEXT) | instid1(VALU_DEP_4)
	v_fma_f64 v[12:13], -v[40:41], v[44:45], v[12:13]
	v_fma_f64 v[14:15], v[38:39], v[44:45], v[14:15]
	s_waitcnt vmcnt(6)
	s_delay_alu instid0(VALU_DEP_4) | instskip(NEXT) | instid1(VALU_DEP_4)
	v_fma_f64 v[16:17], v[26:27], v[46:47], v[16:17]
	v_fma_f64 v[10:11], v[28:29], v[46:47], v[10:11]
	s_delay_alu instid0(VALU_DEP_4) | instskip(NEXT) | instid1(VALU_DEP_4)
	v_fma_f64 v[12:13], v[34:35], v[46:47], v[12:13]
	v_fma_f64 v[14:15], v[36:37], v[46:47], v[14:15]
	s_delay_alu instid0(VALU_DEP_4) | instskip(NEXT) | instid1(VALU_DEP_4)
	v_fma_f64 v[16:17], -v[28:29], v[48:49], v[16:17]
	v_fma_f64 v[10:11], v[26:27], v[48:49], v[10:11]
	s_delay_alu instid0(VALU_DEP_4) | instskip(NEXT) | instid1(VALU_DEP_4)
	v_fma_f64 v[12:13], -v[36:37], v[48:49], v[12:13]
	v_fma_f64 v[14:15], v[34:35], v[48:49], v[14:15]
	s_waitcnt vmcnt(1)
	s_delay_alu instid0(VALU_DEP_4) | instskip(NEXT) | instid1(VALU_DEP_4)
	v_fma_f64 v[16:17], v[54:55], v[66:67], v[16:17]
	v_fma_f64 v[10:11], v[56:57], v[66:67], v[10:11]
	s_delay_alu instid0(VALU_DEP_4) | instskip(NEXT) | instid1(VALU_DEP_4)
	v_fma_f64 v[12:13], v[62:63], v[66:67], v[12:13]
	v_fma_f64 v[14:15], v[64:65], v[66:67], v[14:15]
	;; [unrolled: 13-line block ×3, first 2 shown]
	s_delay_alu instid0(VALU_DEP_4) | instskip(NEXT) | instid1(VALU_DEP_4)
	v_fma_f64 v[17:18], -v[52:53], v[72:73], v[16:17]
	v_fma_f64 v[11:12], v[50:51], v[72:73], v[10:11]
	s_delay_alu instid0(VALU_DEP_4) | instskip(NEXT) | instid1(VALU_DEP_4)
	v_fma_f64 v[13:14], -v[60:61], v[72:73], v[21:22]
	v_fma_f64 v[15:16], v[58:59], v[72:73], v[26:27]
	s_and_not1_b32 exec_lo, exec_lo, s0
	s_cbranch_execnz .LBB238_17
; %bb.18:
	s_or_b32 exec_lo, exec_lo, s0
.LBB238_19:
	s_delay_alu instid0(SALU_CYCLE_1)
	s_or_b32 exec_lo, exec_lo, s1
.LBB238_20:
	v_mbcnt_lo_u32_b32 v26, -1, 0
	s_delay_alu instid0(VALU_DEP_1) | instskip(NEXT) | instid1(VALU_DEP_1)
	v_xor_b32_e32 v9, 2, v26
	v_cmp_gt_i32_e32 vcc_lo, 32, v9
	v_cndmask_b32_e32 v9, v26, v9, vcc_lo
	s_delay_alu instid0(VALU_DEP_1)
	v_lshlrev_b32_e32 v24, 2, v9
	ds_bpermute_b32 v9, v24, v17
	ds_bpermute_b32 v10, v24, v18
	;; [unrolled: 1-line block ×8, first 2 shown]
	s_waitcnt lgkmcnt(6)
	v_add_f64 v[9:10], v[17:18], v[9:10]
	s_waitcnt lgkmcnt(4)
	v_add_f64 v[17:18], v[11:12], v[19:20]
	;; [unrolled: 2-line block ×4, first 2 shown]
	v_xor_b32_e32 v15, 1, v26
	s_delay_alu instid0(VALU_DEP_1) | instskip(SKIP_2) | instid1(VALU_DEP_2)
	v_cmp_gt_i32_e32 vcc_lo, 32, v15
	v_cndmask_b32_e32 v15, v26, v15, vcc_lo
	v_cmp_eq_u32_e32 vcc_lo, 3, v25
	v_lshlrev_b32_e32 v22, 2, v15
	ds_bpermute_b32 v23, v22, v9
	ds_bpermute_b32 v24, v22, v10
	;; [unrolled: 1-line block ×8, first 2 shown]
	s_and_b32 exec_lo, exec_lo, vcc_lo
	s_cbranch_execz .LBB238_25
; %bb.21:
	v_cmp_eq_f64_e32 vcc_lo, 0, v[4:5]
	v_cmp_eq_f64_e64 s0, 0, v[6:7]
	s_waitcnt lgkmcnt(6)
	v_add_f64 v[9:10], v[9:10], v[23:24]
	s_waitcnt lgkmcnt(4)
	v_add_f64 v[15:16], v[17:18], v[15:16]
	;; [unrolled: 2-line block ×4, first 2 shown]
	s_load_b64 s[2:3], s[2:3], 0x48
	s_and_b32 s0, vcc_lo, s0
	s_delay_alu instid0(SALU_CYCLE_1) | instskip(NEXT) | instid1(SALU_CYCLE_1)
	s_and_saveexec_b32 s1, s0
	s_xor_b32 s0, exec_lo, s1
	s_cbranch_execz .LBB238_23
; %bb.22:
	s_delay_alu instid0(VALU_DEP_3) | instskip(SKIP_1) | instid1(VALU_DEP_3)
	v_mul_f64 v[4:5], v[15:16], -v[2:3]
	v_mul_f64 v[6:7], v[0:1], v[15:16]
	v_mul_f64 v[15:16], v[13:14], -v[2:3]
	v_mul_f64 v[13:14], v[0:1], v[13:14]
	v_lshlrev_b32_e32 v8, 1, v8
	v_fma_f64 v[4:5], v[0:1], v[9:10], v[4:5]
	v_fma_f64 v[6:7], v[2:3], v[9:10], v[6:7]
	;; [unrolled: 1-line block ×4, first 2 shown]
	v_ashrrev_i32_e32 v9, 31, v8
                                        ; implicit-def: $vgpr15_vgpr16
                                        ; implicit-def: $vgpr11_vgpr12
                                        ; implicit-def: $vgpr13_vgpr14
	s_delay_alu instid0(VALU_DEP_1) | instskip(SKIP_1) | instid1(VALU_DEP_1)
	v_lshlrev_b64 v[8:9], 4, v[8:9]
	s_waitcnt lgkmcnt(0)
	v_add_co_u32 v8, vcc_lo, s2, v8
	s_delay_alu instid0(VALU_DEP_2)
	v_add_co_ci_u32_e32 v9, vcc_lo, s3, v9, vcc_lo
	s_clause 0x1
	global_store_b128 v[8:9], v[4:7], off
	global_store_b128 v[8:9], v[0:3], off offset:16
                                        ; implicit-def: $vgpr0_vgpr1
                                        ; implicit-def: $vgpr2_vgpr3
                                        ; implicit-def: $vgpr4_vgpr5
                                        ; implicit-def: $vgpr6_vgpr7
                                        ; implicit-def: $vgpr8
                                        ; implicit-def: $vgpr9_vgpr10
.LBB238_23:
	s_and_not1_saveexec_b32 s0, s0
	s_cbranch_execz .LBB238_25
; %bb.24:
	v_lshlrev_b32_e32 v17, 1, v8
	s_delay_alu instid0(VALU_DEP_4) | instskip(SKIP_1) | instid1(VALU_DEP_4)
	v_mul_f64 v[27:28], v[15:16], -v[2:3]
	v_mul_f64 v[15:16], v[0:1], v[15:16]
	v_mul_f64 v[29:30], v[13:14], -v[2:3]
	v_mul_f64 v[13:14], v[0:1], v[13:14]
	v_ashrrev_i32_e32 v18, 31, v17
	s_delay_alu instid0(VALU_DEP_1) | instskip(SKIP_1) | instid1(VALU_DEP_1)
	v_lshlrev_b64 v[17:18], 4, v[17:18]
	s_waitcnt lgkmcnt(0)
	v_add_co_u32 v25, vcc_lo, s2, v17
	s_delay_alu instid0(VALU_DEP_2)
	v_add_co_ci_u32_e32 v26, vcc_lo, s3, v18, vcc_lo
	s_clause 0x1
	global_load_b128 v[17:20], v[25:26], off
	global_load_b128 v[21:24], v[25:26], off offset:16
	v_fma_f64 v[27:28], v[0:1], v[9:10], v[27:28]
	v_fma_f64 v[8:9], v[2:3], v[9:10], v[15:16]
	;; [unrolled: 1-line block ×4, first 2 shown]
	s_waitcnt vmcnt(1)
	s_delay_alu instid0(VALU_DEP_4) | instskip(NEXT) | instid1(VALU_DEP_4)
	v_fma_f64 v[10:11], v[4:5], v[17:18], v[27:28]
	v_fma_f64 v[8:9], v[6:7], v[17:18], v[8:9]
	s_waitcnt vmcnt(0)
	s_delay_alu instid0(VALU_DEP_4) | instskip(NEXT) | instid1(VALU_DEP_4)
	v_fma_f64 v[12:13], v[4:5], v[21:22], v[0:1]
	v_fma_f64 v[14:15], v[6:7], v[21:22], v[2:3]
	s_delay_alu instid0(VALU_DEP_4) | instskip(NEXT) | instid1(VALU_DEP_4)
	v_fma_f64 v[0:1], -v[6:7], v[19:20], v[10:11]
	v_fma_f64 v[2:3], v[4:5], v[19:20], v[8:9]
	s_delay_alu instid0(VALU_DEP_4) | instskip(NEXT) | instid1(VALU_DEP_4)
	v_fma_f64 v[6:7], -v[6:7], v[23:24], v[12:13]
	v_fma_f64 v[8:9], v[4:5], v[23:24], v[14:15]
	s_clause 0x1
	global_store_b128 v[25:26], v[0:3], off
	global_store_b128 v[25:26], v[6:9], off offset:16
.LBB238_25:
	s_nop 0
	s_sendmsg sendmsg(MSG_DEALLOC_VGPRS)
	s_endpgm
	.section	.rodata,"a",@progbits
	.p2align	6, 0x0
	.amdhsa_kernel _ZN9rocsparseL19gebsrmvn_2xn_kernelILj128ELj4ELj4E21rocsparse_complex_numIdEEEvi20rocsparse_direction_NS_24const_host_device_scalarIT2_EEPKiS8_PKS5_SA_S6_PS5_21rocsparse_index_base_b
		.amdhsa_group_segment_fixed_size 2048
		.amdhsa_private_segment_fixed_size 0
		.amdhsa_kernarg_size 88
		.amdhsa_user_sgpr_count 15
		.amdhsa_user_sgpr_dispatch_ptr 1
		.amdhsa_user_sgpr_queue_ptr 0
		.amdhsa_user_sgpr_kernarg_segment_ptr 1
		.amdhsa_user_sgpr_dispatch_id 0
		.amdhsa_user_sgpr_private_segment_size 0
		.amdhsa_wavefront_size32 1
		.amdhsa_uses_dynamic_stack 0
		.amdhsa_enable_private_segment 0
		.amdhsa_system_sgpr_workgroup_id_x 1
		.amdhsa_system_sgpr_workgroup_id_y 0
		.amdhsa_system_sgpr_workgroup_id_z 0
		.amdhsa_system_sgpr_workgroup_info 0
		.amdhsa_system_vgpr_workitem_id 2
		.amdhsa_next_free_vgpr 74
		.amdhsa_next_free_sgpr 18
		.amdhsa_reserve_vcc 1
		.amdhsa_float_round_mode_32 0
		.amdhsa_float_round_mode_16_64 0
		.amdhsa_float_denorm_mode_32 3
		.amdhsa_float_denorm_mode_16_64 3
		.amdhsa_dx10_clamp 1
		.amdhsa_ieee_mode 1
		.amdhsa_fp16_overflow 0
		.amdhsa_workgroup_processor_mode 1
		.amdhsa_memory_ordered 1
		.amdhsa_forward_progress 0
		.amdhsa_shared_vgpr_count 0
		.amdhsa_exception_fp_ieee_invalid_op 0
		.amdhsa_exception_fp_denorm_src 0
		.amdhsa_exception_fp_ieee_div_zero 0
		.amdhsa_exception_fp_ieee_overflow 0
		.amdhsa_exception_fp_ieee_underflow 0
		.amdhsa_exception_fp_ieee_inexact 0
		.amdhsa_exception_int_div_zero 0
	.end_amdhsa_kernel
	.section	.text._ZN9rocsparseL19gebsrmvn_2xn_kernelILj128ELj4ELj4E21rocsparse_complex_numIdEEEvi20rocsparse_direction_NS_24const_host_device_scalarIT2_EEPKiS8_PKS5_SA_S6_PS5_21rocsparse_index_base_b,"axG",@progbits,_ZN9rocsparseL19gebsrmvn_2xn_kernelILj128ELj4ELj4E21rocsparse_complex_numIdEEEvi20rocsparse_direction_NS_24const_host_device_scalarIT2_EEPKiS8_PKS5_SA_S6_PS5_21rocsparse_index_base_b,comdat
.Lfunc_end238:
	.size	_ZN9rocsparseL19gebsrmvn_2xn_kernelILj128ELj4ELj4E21rocsparse_complex_numIdEEEvi20rocsparse_direction_NS_24const_host_device_scalarIT2_EEPKiS8_PKS5_SA_S6_PS5_21rocsparse_index_base_b, .Lfunc_end238-_ZN9rocsparseL19gebsrmvn_2xn_kernelILj128ELj4ELj4E21rocsparse_complex_numIdEEEvi20rocsparse_direction_NS_24const_host_device_scalarIT2_EEPKiS8_PKS5_SA_S6_PS5_21rocsparse_index_base_b
                                        ; -- End function
	.section	.AMDGPU.csdata,"",@progbits
; Kernel info:
; codeLenInByte = 2552
; NumSgprs: 20
; NumVgprs: 74
; ScratchSize: 0
; MemoryBound: 1
; FloatMode: 240
; IeeeMode: 1
; LDSByteSize: 2048 bytes/workgroup (compile time only)
; SGPRBlocks: 2
; VGPRBlocks: 9
; NumSGPRsForWavesPerEU: 20
; NumVGPRsForWavesPerEU: 74
; Occupancy: 16
; WaveLimiterHint : 1
; COMPUTE_PGM_RSRC2:SCRATCH_EN: 0
; COMPUTE_PGM_RSRC2:USER_SGPR: 15
; COMPUTE_PGM_RSRC2:TRAP_HANDLER: 0
; COMPUTE_PGM_RSRC2:TGID_X_EN: 1
; COMPUTE_PGM_RSRC2:TGID_Y_EN: 0
; COMPUTE_PGM_RSRC2:TGID_Z_EN: 0
; COMPUTE_PGM_RSRC2:TIDIG_COMP_CNT: 2
	.section	.text._ZN9rocsparseL19gebsrmvn_2xn_kernelILj128ELj4ELj8E21rocsparse_complex_numIdEEEvi20rocsparse_direction_NS_24const_host_device_scalarIT2_EEPKiS8_PKS5_SA_S6_PS5_21rocsparse_index_base_b,"axG",@progbits,_ZN9rocsparseL19gebsrmvn_2xn_kernelILj128ELj4ELj8E21rocsparse_complex_numIdEEEvi20rocsparse_direction_NS_24const_host_device_scalarIT2_EEPKiS8_PKS5_SA_S6_PS5_21rocsparse_index_base_b,comdat
	.globl	_ZN9rocsparseL19gebsrmvn_2xn_kernelILj128ELj4ELj8E21rocsparse_complex_numIdEEEvi20rocsparse_direction_NS_24const_host_device_scalarIT2_EEPKiS8_PKS5_SA_S6_PS5_21rocsparse_index_base_b ; -- Begin function _ZN9rocsparseL19gebsrmvn_2xn_kernelILj128ELj4ELj8E21rocsparse_complex_numIdEEEvi20rocsparse_direction_NS_24const_host_device_scalarIT2_EEPKiS8_PKS5_SA_S6_PS5_21rocsparse_index_base_b
	.p2align	8
	.type	_ZN9rocsparseL19gebsrmvn_2xn_kernelILj128ELj4ELj8E21rocsparse_complex_numIdEEEvi20rocsparse_direction_NS_24const_host_device_scalarIT2_EEPKiS8_PKS5_SA_S6_PS5_21rocsparse_index_base_b,@function
_ZN9rocsparseL19gebsrmvn_2xn_kernelILj128ELj4ELj8E21rocsparse_complex_numIdEEEvi20rocsparse_direction_NS_24const_host_device_scalarIT2_EEPKiS8_PKS5_SA_S6_PS5_21rocsparse_index_base_b: ; @_ZN9rocsparseL19gebsrmvn_2xn_kernelILj128ELj4ELj8E21rocsparse_complex_numIdEEEvi20rocsparse_direction_NS_24const_host_device_scalarIT2_EEPKiS8_PKS5_SA_S6_PS5_21rocsparse_index_base_b
; %bb.0:
	s_load_b64 s[12:13], s[2:3], 0x50
	s_load_b64 s[16:17], s[0:1], 0x4
	s_load_b128 s[8:11], s[2:3], 0x8
	v_bfe_u32 v1, v0, 10, 10
	s_mov_b64 s[0:1], src_shared_base
	s_load_b128 s[4:7], s[2:3], 0x38
	v_and_b32_e32 v10, 0x3ff, v0
	v_bfe_u32 v0, v0, 20, 10
	s_waitcnt lgkmcnt(0)
	s_bitcmp1_b32 s13, 0
	v_mul_u32_u24_e32 v1, s17, v1
	s_cselect_b32 s0, -1, 0
	s_delay_alu instid0(SALU_CYCLE_1)
	s_and_b32 vcc_lo, s0, exec_lo
	s_cselect_b32 s13, s1, s9
	s_lshr_b32 s14, s16, 16
	v_dual_mov_b32 v2, s4 :: v_dual_mov_b32 v3, s5
	s_mul_i32 s14, s14, s17
	v_mov_b32_e32 v6, s13
	v_mad_u32_u24 v1, s14, v10, v1
	s_delay_alu instid0(VALU_DEP_1) | instskip(SKIP_1) | instid1(VALU_DEP_2)
	v_add_lshl_u32 v4, v1, v0, 3
	v_dual_mov_b32 v0, s8 :: v_dual_mov_b32 v1, s9
	v_add_nc_u32_e32 v5, 0x400, v4
	ds_store_2addr_stride64_b64 v4, v[2:3], v[0:1] offset1:2
	v_dual_mov_b32 v2, s10 :: v_dual_mov_b32 v3, s11
	v_cndmask_b32_e64 v5, s8, v5, s0
	s_xor_b32 s10, s0, -1
	flat_load_b64 v[0:1], v[5:6]
	s_cbranch_vccnz .LBB239_2
; %bb.1:
	v_dual_mov_b32 v2, s8 :: v_dual_mov_b32 v3, s9
	flat_load_b64 v[2:3], v[2:3] offset:8
.LBB239_2:
	s_and_b32 s8, s0, exec_lo
	s_cselect_b32 s1, s1, s5
	v_cndmask_b32_e64 v4, s4, v4, s0
	v_dual_mov_b32 v5, s1 :: v_dual_mov_b32 v6, s6
	v_mov_b32_e32 v7, s7
	s_and_not1_b32 vcc_lo, exec_lo, s10
	flat_load_b64 v[4:5], v[4:5]
	s_cbranch_vccnz .LBB239_4
; %bb.3:
	v_dual_mov_b32 v7, s5 :: v_dual_mov_b32 v6, s4
	flat_load_b64 v[6:7], v[6:7] offset:8
.LBB239_4:
	s_waitcnt vmcnt(1) lgkmcnt(1)
	v_cmp_eq_f64_e32 vcc_lo, 0, v[0:1]
	v_cmp_eq_f64_e64 s0, 0, v[2:3]
	s_delay_alu instid0(VALU_DEP_1)
	s_and_b32 s4, vcc_lo, s0
	s_mov_b32 s0, -1
	s_and_saveexec_b32 s1, s4
	s_cbranch_execz .LBB239_6
; %bb.5:
	s_waitcnt vmcnt(0) lgkmcnt(0)
	v_cmp_neq_f64_e32 vcc_lo, 1.0, v[4:5]
	v_cmp_neq_f64_e64 s0, 0, v[6:7]
	s_delay_alu instid0(VALU_DEP_1) | instskip(NEXT) | instid1(SALU_CYCLE_1)
	s_or_b32 s0, vcc_lo, s0
	s_or_not1_b32 s0, s0, exec_lo
.LBB239_6:
	s_or_b32 exec_lo, exec_lo, s1
	s_and_saveexec_b32 s1, s0
	s_cbranch_execz .LBB239_25
; %bb.7:
	s_load_b64 s[0:1], s[2:3], 0x0
	v_lshrrev_b32_e32 v8, 3, v10
	s_delay_alu instid0(VALU_DEP_1) | instskip(SKIP_1) | instid1(VALU_DEP_1)
	v_lshl_or_b32 v8, s15, 4, v8
	s_waitcnt lgkmcnt(0)
	v_cmp_gt_i32_e32 vcc_lo, s0, v8
	s_and_b32 exec_lo, exec_lo, vcc_lo
	s_cbranch_execz .LBB239_25
; %bb.8:
	s_load_b256 s[4:11], s[2:3], 0x18
	v_ashrrev_i32_e32 v9, 31, v8
	v_and_b32_e32 v25, 7, v10
	s_cmp_lg_u32 s1, 0
	s_delay_alu instid0(VALU_DEP_2) | instskip(SKIP_1) | instid1(VALU_DEP_1)
	v_lshlrev_b64 v[11:12], 2, v[8:9]
	s_waitcnt lgkmcnt(0)
	v_add_co_u32 v11, vcc_lo, s4, v11
	s_delay_alu instid0(VALU_DEP_2) | instskip(SKIP_4) | instid1(VALU_DEP_2)
	v_add_co_ci_u32_e32 v12, vcc_lo, s5, v12, vcc_lo
	global_load_b64 v[11:12], v[11:12], off
	s_waitcnt vmcnt(0)
	v_subrev_nc_u32_e32 v9, s12, v11
	v_subrev_nc_u32_e32 v23, s12, v12
	v_add_nc_u32_e32 v9, v9, v25
	s_delay_alu instid0(VALU_DEP_1)
	v_cmp_lt_i32_e64 s0, v9, v23
	s_cbranch_scc0 .LBB239_14
; %bb.9:
	v_mov_b32_e32 v11, 0
	v_mov_b32_e32 v12, 0
	s_delay_alu instid0(VALU_DEP_1)
	v_dual_mov_b32 v18, v12 :: v_dual_mov_b32 v17, v11
	v_dual_mov_b32 v14, v12 :: v_dual_mov_b32 v13, v11
	;; [unrolled: 1-line block ×3, first 2 shown]
	s_and_saveexec_b32 s1, s0
	s_cbranch_execz .LBB239_13
; %bb.10:
	v_dual_mov_b32 v11, 0 :: v_dual_mov_b32 v20, 0
	v_dual_mov_b32 v12, 0 :: v_dual_lshlrev_b32 v19, 3, v9
	v_mov_b32_e32 v21, v9
	s_mov_b32 s4, 0
	s_delay_alu instid0(VALU_DEP_2)
	v_dual_mov_b32 v18, v12 :: v_dual_mov_b32 v17, v11
	v_dual_mov_b32 v14, v12 :: v_dual_mov_b32 v13, v11
	;; [unrolled: 1-line block ×3, first 2 shown]
.LBB239_11:                             ; =>This Inner Loop Header: Depth=1
	v_ashrrev_i32_e32 v22, 31, v21
	s_delay_alu instid0(VALU_DEP_1) | instskip(SKIP_1) | instid1(VALU_DEP_2)
	v_lshlrev_b64 v[26:27], 2, v[21:22]
	v_add_nc_u32_e32 v21, 8, v21
	v_add_co_u32 v26, vcc_lo, s6, v26
	s_delay_alu instid0(VALU_DEP_3) | instskip(SKIP_3) | instid1(VALU_DEP_2)
	v_add_co_ci_u32_e32 v27, vcc_lo, s7, v27, vcc_lo
	global_load_b32 v10, v[26:27], off
	v_lshlrev_b64 v[26:27], 4, v[19:20]
	v_add_nc_u32_e32 v19, 64, v19
	v_add_co_u32 v70, vcc_lo, s8, v26
	s_delay_alu instid0(VALU_DEP_3) | instskip(SKIP_3) | instid1(VALU_DEP_1)
	v_add_co_ci_u32_e32 v71, vcc_lo, s9, v27, vcc_lo
	global_load_b128 v[26:29], v[70:71], off offset:16
	s_waitcnt vmcnt(1)
	v_subrev_nc_u32_e32 v10, s12, v10
	v_dual_mov_b32 v31, v20 :: v_dual_lshlrev_b32 v30, 2, v10
	s_delay_alu instid0(VALU_DEP_1) | instskip(NEXT) | instid1(VALU_DEP_1)
	v_lshlrev_b64 v[30:31], 4, v[30:31]
	v_add_co_u32 v62, vcc_lo, s10, v30
	s_delay_alu instid0(VALU_DEP_2)
	v_add_co_ci_u32_e32 v63, vcc_lo, s11, v31, vcc_lo
	v_cmp_ge_i32_e32 vcc_lo, v21, v23
	global_load_b128 v[30:33], v[70:71], off
	s_clause 0x1
	global_load_b128 v[34:37], v[62:63], off
	global_load_b128 v[38:41], v[62:63], off offset:16
	s_clause 0x3
	global_load_b128 v[42:45], v[70:71], off offset:32
	global_load_b128 v[46:49], v[70:71], off offset:48
	;; [unrolled: 1-line block ×4, first 2 shown]
	s_clause 0x1
	global_load_b128 v[58:61], v[62:63], off offset:32
	global_load_b128 v[62:65], v[62:63], off offset:48
	s_clause 0x1
	global_load_b128 v[66:69], v[70:71], off offset:96
	global_load_b128 v[70:73], v[70:71], off offset:112
	s_or_b32 s4, vcc_lo, s4
	s_waitcnt vmcnt(9)
	v_fma_f64 v[17:18], v[30:31], v[34:35], v[17:18]
	v_fma_f64 v[10:11], v[32:33], v[34:35], v[11:12]
	;; [unrolled: 1-line block ×4, first 2 shown]
	s_delay_alu instid0(VALU_DEP_4) | instskip(NEXT) | instid1(VALU_DEP_4)
	v_fma_f64 v[16:17], -v[32:33], v[36:37], v[17:18]
	v_fma_f64 v[10:11], v[30:31], v[36:37], v[10:11]
	s_delay_alu instid0(VALU_DEP_4) | instskip(NEXT) | instid1(VALU_DEP_4)
	v_fma_f64 v[12:13], -v[28:29], v[36:37], v[12:13]
	v_fma_f64 v[14:15], v[26:27], v[36:37], v[14:15]
	s_waitcnt vmcnt(7)
	s_delay_alu instid0(VALU_DEP_4) | instskip(NEXT) | instid1(VALU_DEP_4)
	v_fma_f64 v[16:17], v[42:43], v[38:39], v[16:17]
	v_fma_f64 v[10:11], v[44:45], v[38:39], v[10:11]
	s_waitcnt vmcnt(6)
	s_delay_alu instid0(VALU_DEP_4) | instskip(NEXT) | instid1(VALU_DEP_4)
	v_fma_f64 v[12:13], v[46:47], v[38:39], v[12:13]
	v_fma_f64 v[14:15], v[48:49], v[38:39], v[14:15]
	s_delay_alu instid0(VALU_DEP_4) | instskip(NEXT) | instid1(VALU_DEP_4)
	v_fma_f64 v[16:17], -v[44:45], v[40:41], v[16:17]
	v_fma_f64 v[10:11], v[42:43], v[40:41], v[10:11]
	s_delay_alu instid0(VALU_DEP_4) | instskip(NEXT) | instid1(VALU_DEP_4)
	v_fma_f64 v[12:13], -v[48:49], v[40:41], v[12:13]
	v_fma_f64 v[14:15], v[46:47], v[40:41], v[14:15]
	s_waitcnt vmcnt(3)
	s_delay_alu instid0(VALU_DEP_4) | instskip(NEXT) | instid1(VALU_DEP_4)
	v_fma_f64 v[16:17], v[54:55], v[58:59], v[16:17]
	v_fma_f64 v[10:11], v[56:57], v[58:59], v[10:11]
	s_delay_alu instid0(VALU_DEP_4) | instskip(NEXT) | instid1(VALU_DEP_4)
	v_fma_f64 v[12:13], v[50:51], v[58:59], v[12:13]
	v_fma_f64 v[14:15], v[52:53], v[58:59], v[14:15]
	s_delay_alu instid0(VALU_DEP_4) | instskip(NEXT) | instid1(VALU_DEP_4)
	v_fma_f64 v[16:17], -v[56:57], v[60:61], v[16:17]
	v_fma_f64 v[10:11], v[54:55], v[60:61], v[10:11]
	s_delay_alu instid0(VALU_DEP_4) | instskip(NEXT) | instid1(VALU_DEP_4)
	v_fma_f64 v[12:13], -v[52:53], v[60:61], v[12:13]
	v_fma_f64 v[14:15], v[50:51], v[60:61], v[14:15]
	s_waitcnt vmcnt(1)
	s_delay_alu instid0(VALU_DEP_4) | instskip(NEXT) | instid1(VALU_DEP_4)
	v_fma_f64 v[16:17], v[66:67], v[62:63], v[16:17]
	v_fma_f64 v[10:11], v[68:69], v[62:63], v[10:11]
	s_waitcnt vmcnt(0)
	s_delay_alu instid0(VALU_DEP_4) | instskip(NEXT) | instid1(VALU_DEP_4)
	v_fma_f64 v[26:27], v[70:71], v[62:63], v[12:13]
	v_fma_f64 v[28:29], v[72:73], v[62:63], v[14:15]
	s_delay_alu instid0(VALU_DEP_4) | instskip(NEXT) | instid1(VALU_DEP_4)
	v_fma_f64 v[17:18], -v[68:69], v[64:65], v[16:17]
	v_fma_f64 v[11:12], v[66:67], v[64:65], v[10:11]
	s_delay_alu instid0(VALU_DEP_4) | instskip(NEXT) | instid1(VALU_DEP_4)
	v_fma_f64 v[13:14], -v[72:73], v[64:65], v[26:27]
	v_fma_f64 v[15:16], v[70:71], v[64:65], v[28:29]
	s_and_not1_b32 exec_lo, exec_lo, s4
	s_cbranch_execnz .LBB239_11
; %bb.12:
	s_or_b32 exec_lo, exec_lo, s4
.LBB239_13:
	s_delay_alu instid0(SALU_CYCLE_1)
	s_or_b32 exec_lo, exec_lo, s1
	s_cbranch_execz .LBB239_15
	s_branch .LBB239_20
.LBB239_14:
                                        ; implicit-def: $vgpr11_vgpr12
                                        ; implicit-def: $vgpr17_vgpr18
                                        ; implicit-def: $vgpr13_vgpr14
                                        ; implicit-def: $vgpr15_vgpr16
.LBB239_15:
	v_mov_b32_e32 v11, 0
	v_mov_b32_e32 v12, 0
	s_delay_alu instid0(VALU_DEP_1)
	v_dual_mov_b32 v18, v12 :: v_dual_mov_b32 v17, v11
	v_dual_mov_b32 v14, v12 :: v_dual_mov_b32 v13, v11
	v_dual_mov_b32 v16, v12 :: v_dual_mov_b32 v15, v11
	s_and_saveexec_b32 s1, s0
	s_cbranch_execz .LBB239_19
; %bb.16:
	v_dual_mov_b32 v11, 0 :: v_dual_mov_b32 v20, 0
	v_dual_mov_b32 v12, 0 :: v_dual_lshlrev_b32 v19, 3, v9
	s_mov_b32 s0, 0
	s_delay_alu instid0(VALU_DEP_1)
	v_dual_mov_b32 v18, v12 :: v_dual_mov_b32 v17, v11
	v_dual_mov_b32 v14, v12 :: v_dual_mov_b32 v13, v11
	;; [unrolled: 1-line block ×3, first 2 shown]
.LBB239_17:                             ; =>This Inner Loop Header: Depth=1
	v_ashrrev_i32_e32 v10, 31, v9
	s_delay_alu instid0(VALU_DEP_1) | instskip(SKIP_1) | instid1(VALU_DEP_2)
	v_lshlrev_b64 v[21:22], 2, v[9:10]
	v_add_nc_u32_e32 v9, 8, v9
	v_add_co_u32 v21, vcc_lo, s6, v21
	s_delay_alu instid0(VALU_DEP_3) | instskip(SKIP_3) | instid1(VALU_DEP_2)
	v_add_co_ci_u32_e32 v22, vcc_lo, s7, v22, vcc_lo
	global_load_b32 v10, v[21:22], off
	v_lshlrev_b64 v[21:22], 4, v[19:20]
	v_add_nc_u32_e32 v19, 64, v19
	v_add_co_u32 v21, vcc_lo, s8, v21
	s_delay_alu instid0(VALU_DEP_3)
	v_add_co_ci_u32_e32 v22, vcc_lo, s9, v22, vcc_lo
	s_clause 0x2
	global_load_b128 v[26:29], v[21:22], off offset:16
	global_load_b128 v[30:33], v[21:22], off
	global_load_b128 v[34:37], v[21:22], off offset:80
	s_waitcnt vmcnt(3)
	v_subrev_nc_u32_e32 v10, s12, v10
	s_delay_alu instid0(VALU_DEP_1) | instskip(NEXT) | instid1(VALU_DEP_1)
	v_dual_mov_b32 v39, v20 :: v_dual_lshlrev_b32 v38, 2, v10
	v_lshlrev_b64 v[38:39], 4, v[38:39]
	s_delay_alu instid0(VALU_DEP_1) | instskip(NEXT) | instid1(VALU_DEP_2)
	v_add_co_u32 v70, vcc_lo, s10, v38
	v_add_co_ci_u32_e32 v71, vcc_lo, s11, v39, vcc_lo
	v_cmp_ge_i32_e32 vcc_lo, v9, v23
	global_load_b128 v[38:41], v[21:22], off offset:64
	s_clause 0x1
	global_load_b128 v[42:45], v[70:71], off
	global_load_b128 v[46:49], v[70:71], off offset:16
	s_clause 0x3
	global_load_b128 v[50:53], v[21:22], off offset:48
	global_load_b128 v[54:57], v[21:22], off offset:32
	;; [unrolled: 1-line block ×4, first 2 shown]
	s_clause 0x1
	global_load_b128 v[66:69], v[70:71], off offset:32
	global_load_b128 v[70:73], v[70:71], off offset:48
	s_or_b32 s0, vcc_lo, s0
	s_waitcnt vmcnt(7)
	v_fma_f64 v[17:18], v[30:31], v[42:43], v[17:18]
	v_fma_f64 v[10:11], v[32:33], v[42:43], v[11:12]
	v_fma_f64 v[12:13], v[38:39], v[42:43], v[13:14]
	v_fma_f64 v[14:15], v[40:41], v[42:43], v[15:16]
	s_delay_alu instid0(VALU_DEP_4) | instskip(NEXT) | instid1(VALU_DEP_4)
	v_fma_f64 v[16:17], -v[32:33], v[44:45], v[17:18]
	v_fma_f64 v[10:11], v[30:31], v[44:45], v[10:11]
	s_delay_alu instid0(VALU_DEP_4) | instskip(NEXT) | instid1(VALU_DEP_4)
	v_fma_f64 v[12:13], -v[40:41], v[44:45], v[12:13]
	v_fma_f64 v[14:15], v[38:39], v[44:45], v[14:15]
	s_waitcnt vmcnt(6)
	s_delay_alu instid0(VALU_DEP_4) | instskip(NEXT) | instid1(VALU_DEP_4)
	v_fma_f64 v[16:17], v[26:27], v[46:47], v[16:17]
	v_fma_f64 v[10:11], v[28:29], v[46:47], v[10:11]
	s_delay_alu instid0(VALU_DEP_4) | instskip(NEXT) | instid1(VALU_DEP_4)
	v_fma_f64 v[12:13], v[34:35], v[46:47], v[12:13]
	v_fma_f64 v[14:15], v[36:37], v[46:47], v[14:15]
	s_delay_alu instid0(VALU_DEP_4) | instskip(NEXT) | instid1(VALU_DEP_4)
	v_fma_f64 v[16:17], -v[28:29], v[48:49], v[16:17]
	v_fma_f64 v[10:11], v[26:27], v[48:49], v[10:11]
	s_delay_alu instid0(VALU_DEP_4) | instskip(NEXT) | instid1(VALU_DEP_4)
	v_fma_f64 v[12:13], -v[36:37], v[48:49], v[12:13]
	v_fma_f64 v[14:15], v[34:35], v[48:49], v[14:15]
	s_waitcnt vmcnt(1)
	s_delay_alu instid0(VALU_DEP_4) | instskip(NEXT) | instid1(VALU_DEP_4)
	v_fma_f64 v[16:17], v[54:55], v[66:67], v[16:17]
	v_fma_f64 v[10:11], v[56:57], v[66:67], v[10:11]
	s_delay_alu instid0(VALU_DEP_4) | instskip(NEXT) | instid1(VALU_DEP_4)
	v_fma_f64 v[12:13], v[62:63], v[66:67], v[12:13]
	v_fma_f64 v[14:15], v[64:65], v[66:67], v[14:15]
	;; [unrolled: 13-line block ×3, first 2 shown]
	s_delay_alu instid0(VALU_DEP_4) | instskip(NEXT) | instid1(VALU_DEP_4)
	v_fma_f64 v[17:18], -v[52:53], v[72:73], v[16:17]
	v_fma_f64 v[11:12], v[50:51], v[72:73], v[10:11]
	s_delay_alu instid0(VALU_DEP_4) | instskip(NEXT) | instid1(VALU_DEP_4)
	v_fma_f64 v[13:14], -v[60:61], v[72:73], v[21:22]
	v_fma_f64 v[15:16], v[58:59], v[72:73], v[26:27]
	s_and_not1_b32 exec_lo, exec_lo, s0
	s_cbranch_execnz .LBB239_17
; %bb.18:
	s_or_b32 exec_lo, exec_lo, s0
.LBB239_19:
	s_delay_alu instid0(SALU_CYCLE_1)
	s_or_b32 exec_lo, exec_lo, s1
.LBB239_20:
	v_mbcnt_lo_u32_b32 v26, -1, 0
	s_delay_alu instid0(VALU_DEP_1) | instskip(NEXT) | instid1(VALU_DEP_1)
	v_xor_b32_e32 v9, 4, v26
	v_cmp_gt_i32_e32 vcc_lo, 32, v9
	v_cndmask_b32_e32 v9, v26, v9, vcc_lo
	s_delay_alu instid0(VALU_DEP_1)
	v_lshlrev_b32_e32 v24, 2, v9
	ds_bpermute_b32 v9, v24, v17
	ds_bpermute_b32 v10, v24, v18
	;; [unrolled: 1-line block ×8, first 2 shown]
	s_waitcnt lgkmcnt(6)
	v_add_f64 v[9:10], v[17:18], v[9:10]
	s_waitcnt lgkmcnt(4)
	v_add_f64 v[11:12], v[11:12], v[19:20]
	;; [unrolled: 2-line block ×4, first 2 shown]
	v_xor_b32_e32 v15, 2, v26
	s_delay_alu instid0(VALU_DEP_1) | instskip(SKIP_1) | instid1(VALU_DEP_1)
	v_cmp_gt_i32_e32 vcc_lo, 32, v15
	v_cndmask_b32_e32 v15, v26, v15, vcc_lo
	v_lshlrev_b32_e32 v24, 2, v15
	ds_bpermute_b32 v15, v24, v9
	ds_bpermute_b32 v16, v24, v10
	;; [unrolled: 1-line block ×8, first 2 shown]
	s_waitcnt lgkmcnt(6)
	v_add_f64 v[9:10], v[9:10], v[15:16]
	s_waitcnt lgkmcnt(4)
	v_add_f64 v[15:16], v[11:12], v[19:20]
	;; [unrolled: 2-line block ×4, first 2 shown]
	v_xor_b32_e32 v17, 1, v26
	s_delay_alu instid0(VALU_DEP_1) | instskip(SKIP_2) | instid1(VALU_DEP_2)
	v_cmp_gt_i32_e32 vcc_lo, 32, v17
	v_cndmask_b32_e32 v17, v26, v17, vcc_lo
	v_cmp_eq_u32_e32 vcc_lo, 7, v25
	v_lshlrev_b32_e32 v20, 2, v17
	ds_bpermute_b32 v23, v20, v9
	ds_bpermute_b32 v24, v20, v10
	;; [unrolled: 1-line block ×8, first 2 shown]
	s_and_b32 exec_lo, exec_lo, vcc_lo
	s_cbranch_execz .LBB239_25
; %bb.21:
	v_cmp_eq_f64_e32 vcc_lo, 0, v[4:5]
	v_cmp_eq_f64_e64 s0, 0, v[6:7]
	s_waitcnt lgkmcnt(6)
	v_add_f64 v[9:10], v[9:10], v[23:24]
	s_waitcnt lgkmcnt(4)
	v_add_f64 v[15:16], v[15:16], v[21:22]
	s_waitcnt lgkmcnt(2)
	v_add_f64 v[11:12], v[11:12], v[17:18]
	s_waitcnt lgkmcnt(0)
	v_add_f64 v[13:14], v[13:14], v[19:20]
	s_load_b64 s[2:3], s[2:3], 0x48
	s_and_b32 s0, vcc_lo, s0
	s_delay_alu instid0(SALU_CYCLE_1) | instskip(NEXT) | instid1(SALU_CYCLE_1)
	s_and_saveexec_b32 s1, s0
	s_xor_b32 s0, exec_lo, s1
	s_cbranch_execz .LBB239_23
; %bb.22:
	s_delay_alu instid0(VALU_DEP_3) | instskip(SKIP_1) | instid1(VALU_DEP_3)
	v_mul_f64 v[4:5], v[15:16], -v[2:3]
	v_mul_f64 v[6:7], v[0:1], v[15:16]
	v_mul_f64 v[15:16], v[13:14], -v[2:3]
	v_mul_f64 v[13:14], v[0:1], v[13:14]
	v_lshlrev_b32_e32 v8, 1, v8
	v_fma_f64 v[4:5], v[0:1], v[9:10], v[4:5]
	v_fma_f64 v[6:7], v[2:3], v[9:10], v[6:7]
	;; [unrolled: 1-line block ×4, first 2 shown]
	v_ashrrev_i32_e32 v9, 31, v8
                                        ; implicit-def: $vgpr15_vgpr16
                                        ; implicit-def: $vgpr11_vgpr12
                                        ; implicit-def: $vgpr13_vgpr14
	s_delay_alu instid0(VALU_DEP_1) | instskip(SKIP_1) | instid1(VALU_DEP_1)
	v_lshlrev_b64 v[8:9], 4, v[8:9]
	s_waitcnt lgkmcnt(0)
	v_add_co_u32 v8, vcc_lo, s2, v8
	s_delay_alu instid0(VALU_DEP_2)
	v_add_co_ci_u32_e32 v9, vcc_lo, s3, v9, vcc_lo
	s_clause 0x1
	global_store_b128 v[8:9], v[4:7], off
	global_store_b128 v[8:9], v[0:3], off offset:16
                                        ; implicit-def: $vgpr0_vgpr1
                                        ; implicit-def: $vgpr2_vgpr3
                                        ; implicit-def: $vgpr4_vgpr5
                                        ; implicit-def: $vgpr6_vgpr7
                                        ; implicit-def: $vgpr8
                                        ; implicit-def: $vgpr9_vgpr10
.LBB239_23:
	s_and_not1_saveexec_b32 s0, s0
	s_cbranch_execz .LBB239_25
; %bb.24:
	v_lshlrev_b32_e32 v17, 1, v8
	s_delay_alu instid0(VALU_DEP_4) | instskip(SKIP_1) | instid1(VALU_DEP_4)
	v_mul_f64 v[27:28], v[15:16], -v[2:3]
	v_mul_f64 v[15:16], v[0:1], v[15:16]
	v_mul_f64 v[29:30], v[13:14], -v[2:3]
	v_mul_f64 v[13:14], v[0:1], v[13:14]
	v_ashrrev_i32_e32 v18, 31, v17
	s_delay_alu instid0(VALU_DEP_1) | instskip(SKIP_1) | instid1(VALU_DEP_1)
	v_lshlrev_b64 v[17:18], 4, v[17:18]
	s_waitcnt lgkmcnt(0)
	v_add_co_u32 v25, vcc_lo, s2, v17
	s_delay_alu instid0(VALU_DEP_2)
	v_add_co_ci_u32_e32 v26, vcc_lo, s3, v18, vcc_lo
	s_clause 0x1
	global_load_b128 v[17:20], v[25:26], off
	global_load_b128 v[21:24], v[25:26], off offset:16
	v_fma_f64 v[27:28], v[0:1], v[9:10], v[27:28]
	v_fma_f64 v[8:9], v[2:3], v[9:10], v[15:16]
	;; [unrolled: 1-line block ×4, first 2 shown]
	s_waitcnt vmcnt(1)
	s_delay_alu instid0(VALU_DEP_4) | instskip(NEXT) | instid1(VALU_DEP_4)
	v_fma_f64 v[10:11], v[4:5], v[17:18], v[27:28]
	v_fma_f64 v[8:9], v[6:7], v[17:18], v[8:9]
	s_waitcnt vmcnt(0)
	s_delay_alu instid0(VALU_DEP_4) | instskip(NEXT) | instid1(VALU_DEP_4)
	v_fma_f64 v[12:13], v[4:5], v[21:22], v[0:1]
	v_fma_f64 v[14:15], v[6:7], v[21:22], v[2:3]
	s_delay_alu instid0(VALU_DEP_4) | instskip(NEXT) | instid1(VALU_DEP_4)
	v_fma_f64 v[0:1], -v[6:7], v[19:20], v[10:11]
	v_fma_f64 v[2:3], v[4:5], v[19:20], v[8:9]
	s_delay_alu instid0(VALU_DEP_4) | instskip(NEXT) | instid1(VALU_DEP_4)
	v_fma_f64 v[6:7], -v[6:7], v[23:24], v[12:13]
	v_fma_f64 v[8:9], v[4:5], v[23:24], v[14:15]
	s_clause 0x1
	global_store_b128 v[25:26], v[0:3], off
	global_store_b128 v[25:26], v[6:9], off offset:16
.LBB239_25:
	s_nop 0
	s_sendmsg sendmsg(MSG_DEALLOC_VGPRS)
	s_endpgm
	.section	.rodata,"a",@progbits
	.p2align	6, 0x0
	.amdhsa_kernel _ZN9rocsparseL19gebsrmvn_2xn_kernelILj128ELj4ELj8E21rocsparse_complex_numIdEEEvi20rocsparse_direction_NS_24const_host_device_scalarIT2_EEPKiS8_PKS5_SA_S6_PS5_21rocsparse_index_base_b
		.amdhsa_group_segment_fixed_size 2048
		.amdhsa_private_segment_fixed_size 0
		.amdhsa_kernarg_size 88
		.amdhsa_user_sgpr_count 15
		.amdhsa_user_sgpr_dispatch_ptr 1
		.amdhsa_user_sgpr_queue_ptr 0
		.amdhsa_user_sgpr_kernarg_segment_ptr 1
		.amdhsa_user_sgpr_dispatch_id 0
		.amdhsa_user_sgpr_private_segment_size 0
		.amdhsa_wavefront_size32 1
		.amdhsa_uses_dynamic_stack 0
		.amdhsa_enable_private_segment 0
		.amdhsa_system_sgpr_workgroup_id_x 1
		.amdhsa_system_sgpr_workgroup_id_y 0
		.amdhsa_system_sgpr_workgroup_id_z 0
		.amdhsa_system_sgpr_workgroup_info 0
		.amdhsa_system_vgpr_workitem_id 2
		.amdhsa_next_free_vgpr 74
		.amdhsa_next_free_sgpr 18
		.amdhsa_reserve_vcc 1
		.amdhsa_float_round_mode_32 0
		.amdhsa_float_round_mode_16_64 0
		.amdhsa_float_denorm_mode_32 3
		.amdhsa_float_denorm_mode_16_64 3
		.amdhsa_dx10_clamp 1
		.amdhsa_ieee_mode 1
		.amdhsa_fp16_overflow 0
		.amdhsa_workgroup_processor_mode 1
		.amdhsa_memory_ordered 1
		.amdhsa_forward_progress 0
		.amdhsa_shared_vgpr_count 0
		.amdhsa_exception_fp_ieee_invalid_op 0
		.amdhsa_exception_fp_denorm_src 0
		.amdhsa_exception_fp_ieee_div_zero 0
		.amdhsa_exception_fp_ieee_overflow 0
		.amdhsa_exception_fp_ieee_underflow 0
		.amdhsa_exception_fp_ieee_inexact 0
		.amdhsa_exception_int_div_zero 0
	.end_amdhsa_kernel
	.section	.text._ZN9rocsparseL19gebsrmvn_2xn_kernelILj128ELj4ELj8E21rocsparse_complex_numIdEEEvi20rocsparse_direction_NS_24const_host_device_scalarIT2_EEPKiS8_PKS5_SA_S6_PS5_21rocsparse_index_base_b,"axG",@progbits,_ZN9rocsparseL19gebsrmvn_2xn_kernelILj128ELj4ELj8E21rocsparse_complex_numIdEEEvi20rocsparse_direction_NS_24const_host_device_scalarIT2_EEPKiS8_PKS5_SA_S6_PS5_21rocsparse_index_base_b,comdat
.Lfunc_end239:
	.size	_ZN9rocsparseL19gebsrmvn_2xn_kernelILj128ELj4ELj8E21rocsparse_complex_numIdEEEvi20rocsparse_direction_NS_24const_host_device_scalarIT2_EEPKiS8_PKS5_SA_S6_PS5_21rocsparse_index_base_b, .Lfunc_end239-_ZN9rocsparseL19gebsrmvn_2xn_kernelILj128ELj4ELj8E21rocsparse_complex_numIdEEEvi20rocsparse_direction_NS_24const_host_device_scalarIT2_EEPKiS8_PKS5_SA_S6_PS5_21rocsparse_index_base_b
                                        ; -- End function
	.section	.AMDGPU.csdata,"",@progbits
; Kernel info:
; codeLenInByte = 2684
; NumSgprs: 20
; NumVgprs: 74
; ScratchSize: 0
; MemoryBound: 1
; FloatMode: 240
; IeeeMode: 1
; LDSByteSize: 2048 bytes/workgroup (compile time only)
; SGPRBlocks: 2
; VGPRBlocks: 9
; NumSGPRsForWavesPerEU: 20
; NumVGPRsForWavesPerEU: 74
; Occupancy: 16
; WaveLimiterHint : 1
; COMPUTE_PGM_RSRC2:SCRATCH_EN: 0
; COMPUTE_PGM_RSRC2:USER_SGPR: 15
; COMPUTE_PGM_RSRC2:TRAP_HANDLER: 0
; COMPUTE_PGM_RSRC2:TGID_X_EN: 1
; COMPUTE_PGM_RSRC2:TGID_Y_EN: 0
; COMPUTE_PGM_RSRC2:TGID_Z_EN: 0
; COMPUTE_PGM_RSRC2:TIDIG_COMP_CNT: 2
	.section	.text._ZN9rocsparseL19gebsrmvn_2xn_kernelILj128ELj4ELj16E21rocsparse_complex_numIdEEEvi20rocsparse_direction_NS_24const_host_device_scalarIT2_EEPKiS8_PKS5_SA_S6_PS5_21rocsparse_index_base_b,"axG",@progbits,_ZN9rocsparseL19gebsrmvn_2xn_kernelILj128ELj4ELj16E21rocsparse_complex_numIdEEEvi20rocsparse_direction_NS_24const_host_device_scalarIT2_EEPKiS8_PKS5_SA_S6_PS5_21rocsparse_index_base_b,comdat
	.globl	_ZN9rocsparseL19gebsrmvn_2xn_kernelILj128ELj4ELj16E21rocsparse_complex_numIdEEEvi20rocsparse_direction_NS_24const_host_device_scalarIT2_EEPKiS8_PKS5_SA_S6_PS5_21rocsparse_index_base_b ; -- Begin function _ZN9rocsparseL19gebsrmvn_2xn_kernelILj128ELj4ELj16E21rocsparse_complex_numIdEEEvi20rocsparse_direction_NS_24const_host_device_scalarIT2_EEPKiS8_PKS5_SA_S6_PS5_21rocsparse_index_base_b
	.p2align	8
	.type	_ZN9rocsparseL19gebsrmvn_2xn_kernelILj128ELj4ELj16E21rocsparse_complex_numIdEEEvi20rocsparse_direction_NS_24const_host_device_scalarIT2_EEPKiS8_PKS5_SA_S6_PS5_21rocsparse_index_base_b,@function
_ZN9rocsparseL19gebsrmvn_2xn_kernelILj128ELj4ELj16E21rocsparse_complex_numIdEEEvi20rocsparse_direction_NS_24const_host_device_scalarIT2_EEPKiS8_PKS5_SA_S6_PS5_21rocsparse_index_base_b: ; @_ZN9rocsparseL19gebsrmvn_2xn_kernelILj128ELj4ELj16E21rocsparse_complex_numIdEEEvi20rocsparse_direction_NS_24const_host_device_scalarIT2_EEPKiS8_PKS5_SA_S6_PS5_21rocsparse_index_base_b
; %bb.0:
	s_load_b64 s[12:13], s[2:3], 0x50
	s_load_b64 s[16:17], s[0:1], 0x4
	s_load_b128 s[8:11], s[2:3], 0x8
	v_bfe_u32 v1, v0, 10, 10
	s_mov_b64 s[0:1], src_shared_base
	s_load_b128 s[4:7], s[2:3], 0x38
	v_and_b32_e32 v10, 0x3ff, v0
	v_bfe_u32 v0, v0, 20, 10
	s_waitcnt lgkmcnt(0)
	s_bitcmp1_b32 s13, 0
	v_mul_u32_u24_e32 v1, s17, v1
	s_cselect_b32 s0, -1, 0
	s_delay_alu instid0(SALU_CYCLE_1)
	s_and_b32 vcc_lo, s0, exec_lo
	s_cselect_b32 s13, s1, s9
	s_lshr_b32 s14, s16, 16
	v_dual_mov_b32 v2, s4 :: v_dual_mov_b32 v3, s5
	s_mul_i32 s14, s14, s17
	v_mov_b32_e32 v6, s13
	v_mad_u32_u24 v1, s14, v10, v1
	s_delay_alu instid0(VALU_DEP_1) | instskip(SKIP_1) | instid1(VALU_DEP_2)
	v_add_lshl_u32 v4, v1, v0, 3
	v_dual_mov_b32 v0, s8 :: v_dual_mov_b32 v1, s9
	v_add_nc_u32_e32 v5, 0x400, v4
	ds_store_2addr_stride64_b64 v4, v[2:3], v[0:1] offset1:2
	v_dual_mov_b32 v2, s10 :: v_dual_mov_b32 v3, s11
	v_cndmask_b32_e64 v5, s8, v5, s0
	s_xor_b32 s10, s0, -1
	flat_load_b64 v[0:1], v[5:6]
	s_cbranch_vccnz .LBB240_2
; %bb.1:
	v_dual_mov_b32 v2, s8 :: v_dual_mov_b32 v3, s9
	flat_load_b64 v[2:3], v[2:3] offset:8
.LBB240_2:
	s_and_b32 s8, s0, exec_lo
	s_cselect_b32 s1, s1, s5
	v_cndmask_b32_e64 v4, s4, v4, s0
	v_dual_mov_b32 v5, s1 :: v_dual_mov_b32 v6, s6
	v_mov_b32_e32 v7, s7
	s_and_not1_b32 vcc_lo, exec_lo, s10
	flat_load_b64 v[4:5], v[4:5]
	s_cbranch_vccnz .LBB240_4
; %bb.3:
	v_dual_mov_b32 v7, s5 :: v_dual_mov_b32 v6, s4
	flat_load_b64 v[6:7], v[6:7] offset:8
.LBB240_4:
	s_waitcnt vmcnt(1) lgkmcnt(1)
	v_cmp_eq_f64_e32 vcc_lo, 0, v[0:1]
	v_cmp_eq_f64_e64 s0, 0, v[2:3]
	s_delay_alu instid0(VALU_DEP_1)
	s_and_b32 s4, vcc_lo, s0
	s_mov_b32 s0, -1
	s_and_saveexec_b32 s1, s4
	s_cbranch_execz .LBB240_6
; %bb.5:
	s_waitcnt vmcnt(0) lgkmcnt(0)
	v_cmp_neq_f64_e32 vcc_lo, 1.0, v[4:5]
	v_cmp_neq_f64_e64 s0, 0, v[6:7]
	s_delay_alu instid0(VALU_DEP_1) | instskip(NEXT) | instid1(SALU_CYCLE_1)
	s_or_b32 s0, vcc_lo, s0
	s_or_not1_b32 s0, s0, exec_lo
.LBB240_6:
	s_or_b32 exec_lo, exec_lo, s1
	s_and_saveexec_b32 s1, s0
	s_cbranch_execz .LBB240_25
; %bb.7:
	s_load_b64 s[0:1], s[2:3], 0x0
	v_lshrrev_b32_e32 v8, 4, v10
	s_delay_alu instid0(VALU_DEP_1) | instskip(SKIP_1) | instid1(VALU_DEP_1)
	v_lshl_or_b32 v8, s15, 3, v8
	s_waitcnt lgkmcnt(0)
	v_cmp_gt_i32_e32 vcc_lo, s0, v8
	s_and_b32 exec_lo, exec_lo, vcc_lo
	s_cbranch_execz .LBB240_25
; %bb.8:
	s_load_b256 s[4:11], s[2:3], 0x18
	v_ashrrev_i32_e32 v9, 31, v8
	v_and_b32_e32 v25, 15, v10
	s_cmp_lg_u32 s1, 0
	s_delay_alu instid0(VALU_DEP_2) | instskip(SKIP_1) | instid1(VALU_DEP_1)
	v_lshlrev_b64 v[11:12], 2, v[8:9]
	s_waitcnt lgkmcnt(0)
	v_add_co_u32 v11, vcc_lo, s4, v11
	s_delay_alu instid0(VALU_DEP_2) | instskip(SKIP_4) | instid1(VALU_DEP_2)
	v_add_co_ci_u32_e32 v12, vcc_lo, s5, v12, vcc_lo
	global_load_b64 v[11:12], v[11:12], off
	s_waitcnt vmcnt(0)
	v_subrev_nc_u32_e32 v9, s12, v11
	v_subrev_nc_u32_e32 v23, s12, v12
	v_add_nc_u32_e32 v9, v9, v25
	s_delay_alu instid0(VALU_DEP_1)
	v_cmp_lt_i32_e64 s0, v9, v23
	s_cbranch_scc0 .LBB240_14
; %bb.9:
	v_mov_b32_e32 v11, 0
	v_mov_b32_e32 v12, 0
	s_delay_alu instid0(VALU_DEP_1)
	v_dual_mov_b32 v18, v12 :: v_dual_mov_b32 v17, v11
	v_dual_mov_b32 v14, v12 :: v_dual_mov_b32 v13, v11
	;; [unrolled: 1-line block ×3, first 2 shown]
	s_and_saveexec_b32 s1, s0
	s_cbranch_execz .LBB240_13
; %bb.10:
	v_dual_mov_b32 v11, 0 :: v_dual_mov_b32 v20, 0
	v_dual_mov_b32 v12, 0 :: v_dual_lshlrev_b32 v19, 3, v9
	v_mov_b32_e32 v21, v9
	s_mov_b32 s4, 0
	s_delay_alu instid0(VALU_DEP_2)
	v_dual_mov_b32 v18, v12 :: v_dual_mov_b32 v17, v11
	v_dual_mov_b32 v14, v12 :: v_dual_mov_b32 v13, v11
	;; [unrolled: 1-line block ×3, first 2 shown]
.LBB240_11:                             ; =>This Inner Loop Header: Depth=1
	v_ashrrev_i32_e32 v22, 31, v21
	s_delay_alu instid0(VALU_DEP_1) | instskip(SKIP_1) | instid1(VALU_DEP_2)
	v_lshlrev_b64 v[26:27], 2, v[21:22]
	v_add_nc_u32_e32 v21, 16, v21
	v_add_co_u32 v26, vcc_lo, s6, v26
	s_delay_alu instid0(VALU_DEP_3) | instskip(SKIP_3) | instid1(VALU_DEP_2)
	v_add_co_ci_u32_e32 v27, vcc_lo, s7, v27, vcc_lo
	global_load_b32 v10, v[26:27], off
	v_lshlrev_b64 v[26:27], 4, v[19:20]
	v_add_nc_u32_e32 v19, 0x80, v19
	v_add_co_u32 v70, vcc_lo, s8, v26
	s_delay_alu instid0(VALU_DEP_3) | instskip(SKIP_3) | instid1(VALU_DEP_1)
	v_add_co_ci_u32_e32 v71, vcc_lo, s9, v27, vcc_lo
	global_load_b128 v[26:29], v[70:71], off offset:16
	s_waitcnt vmcnt(1)
	v_subrev_nc_u32_e32 v10, s12, v10
	v_dual_mov_b32 v31, v20 :: v_dual_lshlrev_b32 v30, 2, v10
	s_delay_alu instid0(VALU_DEP_1) | instskip(NEXT) | instid1(VALU_DEP_1)
	v_lshlrev_b64 v[30:31], 4, v[30:31]
	v_add_co_u32 v62, vcc_lo, s10, v30
	s_delay_alu instid0(VALU_DEP_2)
	v_add_co_ci_u32_e32 v63, vcc_lo, s11, v31, vcc_lo
	v_cmp_ge_i32_e32 vcc_lo, v21, v23
	global_load_b128 v[30:33], v[70:71], off
	s_clause 0x1
	global_load_b128 v[34:37], v[62:63], off
	global_load_b128 v[38:41], v[62:63], off offset:16
	s_clause 0x3
	global_load_b128 v[42:45], v[70:71], off offset:32
	global_load_b128 v[46:49], v[70:71], off offset:48
	;; [unrolled: 1-line block ×4, first 2 shown]
	s_clause 0x1
	global_load_b128 v[58:61], v[62:63], off offset:32
	global_load_b128 v[62:65], v[62:63], off offset:48
	s_clause 0x1
	global_load_b128 v[66:69], v[70:71], off offset:96
	global_load_b128 v[70:73], v[70:71], off offset:112
	s_or_b32 s4, vcc_lo, s4
	s_waitcnt vmcnt(9)
	v_fma_f64 v[17:18], v[30:31], v[34:35], v[17:18]
	v_fma_f64 v[10:11], v[32:33], v[34:35], v[11:12]
	;; [unrolled: 1-line block ×4, first 2 shown]
	s_delay_alu instid0(VALU_DEP_4) | instskip(NEXT) | instid1(VALU_DEP_4)
	v_fma_f64 v[16:17], -v[32:33], v[36:37], v[17:18]
	v_fma_f64 v[10:11], v[30:31], v[36:37], v[10:11]
	s_delay_alu instid0(VALU_DEP_4) | instskip(NEXT) | instid1(VALU_DEP_4)
	v_fma_f64 v[12:13], -v[28:29], v[36:37], v[12:13]
	v_fma_f64 v[14:15], v[26:27], v[36:37], v[14:15]
	s_waitcnt vmcnt(7)
	s_delay_alu instid0(VALU_DEP_4) | instskip(NEXT) | instid1(VALU_DEP_4)
	v_fma_f64 v[16:17], v[42:43], v[38:39], v[16:17]
	v_fma_f64 v[10:11], v[44:45], v[38:39], v[10:11]
	s_waitcnt vmcnt(6)
	s_delay_alu instid0(VALU_DEP_4) | instskip(NEXT) | instid1(VALU_DEP_4)
	v_fma_f64 v[12:13], v[46:47], v[38:39], v[12:13]
	v_fma_f64 v[14:15], v[48:49], v[38:39], v[14:15]
	s_delay_alu instid0(VALU_DEP_4) | instskip(NEXT) | instid1(VALU_DEP_4)
	v_fma_f64 v[16:17], -v[44:45], v[40:41], v[16:17]
	v_fma_f64 v[10:11], v[42:43], v[40:41], v[10:11]
	s_delay_alu instid0(VALU_DEP_4) | instskip(NEXT) | instid1(VALU_DEP_4)
	v_fma_f64 v[12:13], -v[48:49], v[40:41], v[12:13]
	v_fma_f64 v[14:15], v[46:47], v[40:41], v[14:15]
	s_waitcnt vmcnt(3)
	s_delay_alu instid0(VALU_DEP_4) | instskip(NEXT) | instid1(VALU_DEP_4)
	v_fma_f64 v[16:17], v[54:55], v[58:59], v[16:17]
	v_fma_f64 v[10:11], v[56:57], v[58:59], v[10:11]
	s_delay_alu instid0(VALU_DEP_4) | instskip(NEXT) | instid1(VALU_DEP_4)
	v_fma_f64 v[12:13], v[50:51], v[58:59], v[12:13]
	v_fma_f64 v[14:15], v[52:53], v[58:59], v[14:15]
	s_delay_alu instid0(VALU_DEP_4) | instskip(NEXT) | instid1(VALU_DEP_4)
	v_fma_f64 v[16:17], -v[56:57], v[60:61], v[16:17]
	v_fma_f64 v[10:11], v[54:55], v[60:61], v[10:11]
	s_delay_alu instid0(VALU_DEP_4) | instskip(NEXT) | instid1(VALU_DEP_4)
	v_fma_f64 v[12:13], -v[52:53], v[60:61], v[12:13]
	v_fma_f64 v[14:15], v[50:51], v[60:61], v[14:15]
	s_waitcnt vmcnt(1)
	s_delay_alu instid0(VALU_DEP_4) | instskip(NEXT) | instid1(VALU_DEP_4)
	v_fma_f64 v[16:17], v[66:67], v[62:63], v[16:17]
	v_fma_f64 v[10:11], v[68:69], v[62:63], v[10:11]
	s_waitcnt vmcnt(0)
	s_delay_alu instid0(VALU_DEP_4) | instskip(NEXT) | instid1(VALU_DEP_4)
	v_fma_f64 v[26:27], v[70:71], v[62:63], v[12:13]
	v_fma_f64 v[28:29], v[72:73], v[62:63], v[14:15]
	s_delay_alu instid0(VALU_DEP_4) | instskip(NEXT) | instid1(VALU_DEP_4)
	v_fma_f64 v[17:18], -v[68:69], v[64:65], v[16:17]
	v_fma_f64 v[11:12], v[66:67], v[64:65], v[10:11]
	s_delay_alu instid0(VALU_DEP_4) | instskip(NEXT) | instid1(VALU_DEP_4)
	v_fma_f64 v[13:14], -v[72:73], v[64:65], v[26:27]
	v_fma_f64 v[15:16], v[70:71], v[64:65], v[28:29]
	s_and_not1_b32 exec_lo, exec_lo, s4
	s_cbranch_execnz .LBB240_11
; %bb.12:
	s_or_b32 exec_lo, exec_lo, s4
.LBB240_13:
	s_delay_alu instid0(SALU_CYCLE_1)
	s_or_b32 exec_lo, exec_lo, s1
	s_cbranch_execz .LBB240_15
	s_branch .LBB240_20
.LBB240_14:
                                        ; implicit-def: $vgpr11_vgpr12
                                        ; implicit-def: $vgpr17_vgpr18
                                        ; implicit-def: $vgpr13_vgpr14
                                        ; implicit-def: $vgpr15_vgpr16
.LBB240_15:
	v_mov_b32_e32 v11, 0
	v_mov_b32_e32 v12, 0
	s_delay_alu instid0(VALU_DEP_1)
	v_dual_mov_b32 v18, v12 :: v_dual_mov_b32 v17, v11
	v_dual_mov_b32 v14, v12 :: v_dual_mov_b32 v13, v11
	;; [unrolled: 1-line block ×3, first 2 shown]
	s_and_saveexec_b32 s1, s0
	s_cbranch_execz .LBB240_19
; %bb.16:
	v_dual_mov_b32 v11, 0 :: v_dual_mov_b32 v20, 0
	v_dual_mov_b32 v12, 0 :: v_dual_lshlrev_b32 v19, 3, v9
	s_mov_b32 s0, 0
	s_delay_alu instid0(VALU_DEP_1)
	v_dual_mov_b32 v18, v12 :: v_dual_mov_b32 v17, v11
	v_dual_mov_b32 v14, v12 :: v_dual_mov_b32 v13, v11
	;; [unrolled: 1-line block ×3, first 2 shown]
.LBB240_17:                             ; =>This Inner Loop Header: Depth=1
	v_ashrrev_i32_e32 v10, 31, v9
	s_delay_alu instid0(VALU_DEP_1) | instskip(SKIP_1) | instid1(VALU_DEP_2)
	v_lshlrev_b64 v[21:22], 2, v[9:10]
	v_add_nc_u32_e32 v9, 16, v9
	v_add_co_u32 v21, vcc_lo, s6, v21
	s_delay_alu instid0(VALU_DEP_3) | instskip(SKIP_3) | instid1(VALU_DEP_2)
	v_add_co_ci_u32_e32 v22, vcc_lo, s7, v22, vcc_lo
	global_load_b32 v10, v[21:22], off
	v_lshlrev_b64 v[21:22], 4, v[19:20]
	v_add_nc_u32_e32 v19, 0x80, v19
	v_add_co_u32 v21, vcc_lo, s8, v21
	s_delay_alu instid0(VALU_DEP_3)
	v_add_co_ci_u32_e32 v22, vcc_lo, s9, v22, vcc_lo
	s_clause 0x2
	global_load_b128 v[26:29], v[21:22], off offset:16
	global_load_b128 v[30:33], v[21:22], off
	global_load_b128 v[34:37], v[21:22], off offset:80
	s_waitcnt vmcnt(3)
	v_subrev_nc_u32_e32 v10, s12, v10
	s_delay_alu instid0(VALU_DEP_1) | instskip(NEXT) | instid1(VALU_DEP_1)
	v_dual_mov_b32 v39, v20 :: v_dual_lshlrev_b32 v38, 2, v10
	v_lshlrev_b64 v[38:39], 4, v[38:39]
	s_delay_alu instid0(VALU_DEP_1) | instskip(NEXT) | instid1(VALU_DEP_2)
	v_add_co_u32 v70, vcc_lo, s10, v38
	v_add_co_ci_u32_e32 v71, vcc_lo, s11, v39, vcc_lo
	v_cmp_ge_i32_e32 vcc_lo, v9, v23
	global_load_b128 v[38:41], v[21:22], off offset:64
	s_clause 0x1
	global_load_b128 v[42:45], v[70:71], off
	global_load_b128 v[46:49], v[70:71], off offset:16
	s_clause 0x3
	global_load_b128 v[50:53], v[21:22], off offset:48
	global_load_b128 v[54:57], v[21:22], off offset:32
	;; [unrolled: 1-line block ×4, first 2 shown]
	s_clause 0x1
	global_load_b128 v[66:69], v[70:71], off offset:32
	global_load_b128 v[70:73], v[70:71], off offset:48
	s_or_b32 s0, vcc_lo, s0
	s_waitcnt vmcnt(7)
	v_fma_f64 v[17:18], v[30:31], v[42:43], v[17:18]
	v_fma_f64 v[10:11], v[32:33], v[42:43], v[11:12]
	;; [unrolled: 1-line block ×4, first 2 shown]
	s_delay_alu instid0(VALU_DEP_4) | instskip(NEXT) | instid1(VALU_DEP_4)
	v_fma_f64 v[16:17], -v[32:33], v[44:45], v[17:18]
	v_fma_f64 v[10:11], v[30:31], v[44:45], v[10:11]
	s_delay_alu instid0(VALU_DEP_4) | instskip(NEXT) | instid1(VALU_DEP_4)
	v_fma_f64 v[12:13], -v[40:41], v[44:45], v[12:13]
	v_fma_f64 v[14:15], v[38:39], v[44:45], v[14:15]
	s_waitcnt vmcnt(6)
	s_delay_alu instid0(VALU_DEP_4) | instskip(NEXT) | instid1(VALU_DEP_4)
	v_fma_f64 v[16:17], v[26:27], v[46:47], v[16:17]
	v_fma_f64 v[10:11], v[28:29], v[46:47], v[10:11]
	s_delay_alu instid0(VALU_DEP_4) | instskip(NEXT) | instid1(VALU_DEP_4)
	v_fma_f64 v[12:13], v[34:35], v[46:47], v[12:13]
	v_fma_f64 v[14:15], v[36:37], v[46:47], v[14:15]
	s_delay_alu instid0(VALU_DEP_4) | instskip(NEXT) | instid1(VALU_DEP_4)
	v_fma_f64 v[16:17], -v[28:29], v[48:49], v[16:17]
	v_fma_f64 v[10:11], v[26:27], v[48:49], v[10:11]
	s_delay_alu instid0(VALU_DEP_4) | instskip(NEXT) | instid1(VALU_DEP_4)
	v_fma_f64 v[12:13], -v[36:37], v[48:49], v[12:13]
	v_fma_f64 v[14:15], v[34:35], v[48:49], v[14:15]
	s_waitcnt vmcnt(1)
	s_delay_alu instid0(VALU_DEP_4) | instskip(NEXT) | instid1(VALU_DEP_4)
	v_fma_f64 v[16:17], v[54:55], v[66:67], v[16:17]
	v_fma_f64 v[10:11], v[56:57], v[66:67], v[10:11]
	s_delay_alu instid0(VALU_DEP_4) | instskip(NEXT) | instid1(VALU_DEP_4)
	v_fma_f64 v[12:13], v[62:63], v[66:67], v[12:13]
	v_fma_f64 v[14:15], v[64:65], v[66:67], v[14:15]
	;; [unrolled: 13-line block ×3, first 2 shown]
	s_delay_alu instid0(VALU_DEP_4) | instskip(NEXT) | instid1(VALU_DEP_4)
	v_fma_f64 v[17:18], -v[52:53], v[72:73], v[16:17]
	v_fma_f64 v[11:12], v[50:51], v[72:73], v[10:11]
	s_delay_alu instid0(VALU_DEP_4) | instskip(NEXT) | instid1(VALU_DEP_4)
	v_fma_f64 v[13:14], -v[60:61], v[72:73], v[21:22]
	v_fma_f64 v[15:16], v[58:59], v[72:73], v[26:27]
	s_and_not1_b32 exec_lo, exec_lo, s0
	s_cbranch_execnz .LBB240_17
; %bb.18:
	s_or_b32 exec_lo, exec_lo, s0
.LBB240_19:
	s_delay_alu instid0(SALU_CYCLE_1)
	s_or_b32 exec_lo, exec_lo, s1
.LBB240_20:
	v_mbcnt_lo_u32_b32 v26, -1, 0
	s_delay_alu instid0(VALU_DEP_1) | instskip(NEXT) | instid1(VALU_DEP_1)
	v_xor_b32_e32 v9, 8, v26
	v_cmp_gt_i32_e32 vcc_lo, 32, v9
	v_cndmask_b32_e32 v9, v26, v9, vcc_lo
	s_delay_alu instid0(VALU_DEP_1)
	v_lshlrev_b32_e32 v24, 2, v9
	ds_bpermute_b32 v9, v24, v17
	ds_bpermute_b32 v10, v24, v18
	ds_bpermute_b32 v19, v24, v11
	ds_bpermute_b32 v20, v24, v12
	ds_bpermute_b32 v21, v24, v13
	ds_bpermute_b32 v22, v24, v14
	ds_bpermute_b32 v23, v24, v15
	ds_bpermute_b32 v24, v24, v16
	s_waitcnt lgkmcnt(6)
	v_add_f64 v[9:10], v[17:18], v[9:10]
	v_xor_b32_e32 v17, 4, v26
	s_waitcnt lgkmcnt(4)
	v_add_f64 v[11:12], v[11:12], v[19:20]
	s_waitcnt lgkmcnt(2)
	v_add_f64 v[13:14], v[13:14], v[21:22]
	;; [unrolled: 2-line block ×3, first 2 shown]
	v_cmp_gt_i32_e32 vcc_lo, 32, v17
	v_cndmask_b32_e32 v17, v26, v17, vcc_lo
	s_delay_alu instid0(VALU_DEP_1)
	v_lshlrev_b32_e32 v24, 2, v17
	ds_bpermute_b32 v17, v24, v9
	ds_bpermute_b32 v18, v24, v10
	;; [unrolled: 1-line block ×8, first 2 shown]
	s_waitcnt lgkmcnt(6)
	v_add_f64 v[9:10], v[9:10], v[17:18]
	s_waitcnt lgkmcnt(4)
	v_add_f64 v[11:12], v[11:12], v[19:20]
	;; [unrolled: 2-line block ×4, first 2 shown]
	v_xor_b32_e32 v15, 2, v26
	s_delay_alu instid0(VALU_DEP_1) | instskip(SKIP_1) | instid1(VALU_DEP_1)
	v_cmp_gt_i32_e32 vcc_lo, 32, v15
	v_cndmask_b32_e32 v15, v26, v15, vcc_lo
	v_lshlrev_b32_e32 v24, 2, v15
	ds_bpermute_b32 v15, v24, v9
	ds_bpermute_b32 v16, v24, v10
	;; [unrolled: 1-line block ×8, first 2 shown]
	s_waitcnt lgkmcnt(6)
	v_add_f64 v[9:10], v[9:10], v[15:16]
	s_waitcnt lgkmcnt(4)
	v_add_f64 v[15:16], v[11:12], v[19:20]
	;; [unrolled: 2-line block ×4, first 2 shown]
	v_xor_b32_e32 v17, 1, v26
	s_delay_alu instid0(VALU_DEP_1) | instskip(SKIP_2) | instid1(VALU_DEP_2)
	v_cmp_gt_i32_e32 vcc_lo, 32, v17
	v_cndmask_b32_e32 v17, v26, v17, vcc_lo
	v_cmp_eq_u32_e32 vcc_lo, 15, v25
	v_lshlrev_b32_e32 v20, 2, v17
	ds_bpermute_b32 v23, v20, v9
	ds_bpermute_b32 v24, v20, v10
	;; [unrolled: 1-line block ×8, first 2 shown]
	s_and_b32 exec_lo, exec_lo, vcc_lo
	s_cbranch_execz .LBB240_25
; %bb.21:
	v_cmp_eq_f64_e32 vcc_lo, 0, v[4:5]
	v_cmp_eq_f64_e64 s0, 0, v[6:7]
	s_waitcnt lgkmcnt(6)
	v_add_f64 v[9:10], v[9:10], v[23:24]
	s_waitcnt lgkmcnt(4)
	v_add_f64 v[15:16], v[15:16], v[21:22]
	s_waitcnt lgkmcnt(2)
	v_add_f64 v[11:12], v[11:12], v[17:18]
	s_waitcnt lgkmcnt(0)
	v_add_f64 v[13:14], v[13:14], v[19:20]
	s_load_b64 s[2:3], s[2:3], 0x48
	s_and_b32 s0, vcc_lo, s0
	s_delay_alu instid0(SALU_CYCLE_1) | instskip(NEXT) | instid1(SALU_CYCLE_1)
	s_and_saveexec_b32 s1, s0
	s_xor_b32 s0, exec_lo, s1
	s_cbranch_execz .LBB240_23
; %bb.22:
	s_delay_alu instid0(VALU_DEP_3) | instskip(SKIP_1) | instid1(VALU_DEP_3)
	v_mul_f64 v[4:5], v[15:16], -v[2:3]
	v_mul_f64 v[6:7], v[0:1], v[15:16]
	v_mul_f64 v[15:16], v[13:14], -v[2:3]
	v_mul_f64 v[13:14], v[0:1], v[13:14]
	v_lshlrev_b32_e32 v8, 1, v8
	v_fma_f64 v[4:5], v[0:1], v[9:10], v[4:5]
	v_fma_f64 v[6:7], v[2:3], v[9:10], v[6:7]
	;; [unrolled: 1-line block ×4, first 2 shown]
	v_ashrrev_i32_e32 v9, 31, v8
                                        ; implicit-def: $vgpr15_vgpr16
                                        ; implicit-def: $vgpr11_vgpr12
                                        ; implicit-def: $vgpr13_vgpr14
	s_delay_alu instid0(VALU_DEP_1) | instskip(SKIP_1) | instid1(VALU_DEP_1)
	v_lshlrev_b64 v[8:9], 4, v[8:9]
	s_waitcnt lgkmcnt(0)
	v_add_co_u32 v8, vcc_lo, s2, v8
	s_delay_alu instid0(VALU_DEP_2)
	v_add_co_ci_u32_e32 v9, vcc_lo, s3, v9, vcc_lo
	s_clause 0x1
	global_store_b128 v[8:9], v[4:7], off
	global_store_b128 v[8:9], v[0:3], off offset:16
                                        ; implicit-def: $vgpr0_vgpr1
                                        ; implicit-def: $vgpr2_vgpr3
                                        ; implicit-def: $vgpr4_vgpr5
                                        ; implicit-def: $vgpr6_vgpr7
                                        ; implicit-def: $vgpr8
                                        ; implicit-def: $vgpr9_vgpr10
.LBB240_23:
	s_and_not1_saveexec_b32 s0, s0
	s_cbranch_execz .LBB240_25
; %bb.24:
	v_lshlrev_b32_e32 v17, 1, v8
	s_delay_alu instid0(VALU_DEP_4) | instskip(SKIP_1) | instid1(VALU_DEP_4)
	v_mul_f64 v[27:28], v[15:16], -v[2:3]
	v_mul_f64 v[15:16], v[0:1], v[15:16]
	v_mul_f64 v[29:30], v[13:14], -v[2:3]
	v_mul_f64 v[13:14], v[0:1], v[13:14]
	v_ashrrev_i32_e32 v18, 31, v17
	s_delay_alu instid0(VALU_DEP_1) | instskip(SKIP_1) | instid1(VALU_DEP_1)
	v_lshlrev_b64 v[17:18], 4, v[17:18]
	s_waitcnt lgkmcnt(0)
	v_add_co_u32 v25, vcc_lo, s2, v17
	s_delay_alu instid0(VALU_DEP_2)
	v_add_co_ci_u32_e32 v26, vcc_lo, s3, v18, vcc_lo
	s_clause 0x1
	global_load_b128 v[17:20], v[25:26], off
	global_load_b128 v[21:24], v[25:26], off offset:16
	v_fma_f64 v[27:28], v[0:1], v[9:10], v[27:28]
	v_fma_f64 v[8:9], v[2:3], v[9:10], v[15:16]
	;; [unrolled: 1-line block ×4, first 2 shown]
	s_waitcnt vmcnt(1)
	s_delay_alu instid0(VALU_DEP_4) | instskip(NEXT) | instid1(VALU_DEP_4)
	v_fma_f64 v[10:11], v[4:5], v[17:18], v[27:28]
	v_fma_f64 v[8:9], v[6:7], v[17:18], v[8:9]
	s_waitcnt vmcnt(0)
	s_delay_alu instid0(VALU_DEP_4) | instskip(NEXT) | instid1(VALU_DEP_4)
	v_fma_f64 v[12:13], v[4:5], v[21:22], v[0:1]
	v_fma_f64 v[14:15], v[6:7], v[21:22], v[2:3]
	s_delay_alu instid0(VALU_DEP_4) | instskip(NEXT) | instid1(VALU_DEP_4)
	v_fma_f64 v[0:1], -v[6:7], v[19:20], v[10:11]
	v_fma_f64 v[2:3], v[4:5], v[19:20], v[8:9]
	s_delay_alu instid0(VALU_DEP_4) | instskip(NEXT) | instid1(VALU_DEP_4)
	v_fma_f64 v[6:7], -v[6:7], v[23:24], v[12:13]
	v_fma_f64 v[8:9], v[4:5], v[23:24], v[14:15]
	s_clause 0x1
	global_store_b128 v[25:26], v[0:3], off
	global_store_b128 v[25:26], v[6:9], off offset:16
.LBB240_25:
	s_nop 0
	s_sendmsg sendmsg(MSG_DEALLOC_VGPRS)
	s_endpgm
	.section	.rodata,"a",@progbits
	.p2align	6, 0x0
	.amdhsa_kernel _ZN9rocsparseL19gebsrmvn_2xn_kernelILj128ELj4ELj16E21rocsparse_complex_numIdEEEvi20rocsparse_direction_NS_24const_host_device_scalarIT2_EEPKiS8_PKS5_SA_S6_PS5_21rocsparse_index_base_b
		.amdhsa_group_segment_fixed_size 2048
		.amdhsa_private_segment_fixed_size 0
		.amdhsa_kernarg_size 88
		.amdhsa_user_sgpr_count 15
		.amdhsa_user_sgpr_dispatch_ptr 1
		.amdhsa_user_sgpr_queue_ptr 0
		.amdhsa_user_sgpr_kernarg_segment_ptr 1
		.amdhsa_user_sgpr_dispatch_id 0
		.amdhsa_user_sgpr_private_segment_size 0
		.amdhsa_wavefront_size32 1
		.amdhsa_uses_dynamic_stack 0
		.amdhsa_enable_private_segment 0
		.amdhsa_system_sgpr_workgroup_id_x 1
		.amdhsa_system_sgpr_workgroup_id_y 0
		.amdhsa_system_sgpr_workgroup_id_z 0
		.amdhsa_system_sgpr_workgroup_info 0
		.amdhsa_system_vgpr_workitem_id 2
		.amdhsa_next_free_vgpr 74
		.amdhsa_next_free_sgpr 18
		.amdhsa_reserve_vcc 1
		.amdhsa_float_round_mode_32 0
		.amdhsa_float_round_mode_16_64 0
		.amdhsa_float_denorm_mode_32 3
		.amdhsa_float_denorm_mode_16_64 3
		.amdhsa_dx10_clamp 1
		.amdhsa_ieee_mode 1
		.amdhsa_fp16_overflow 0
		.amdhsa_workgroup_processor_mode 1
		.amdhsa_memory_ordered 1
		.amdhsa_forward_progress 0
		.amdhsa_shared_vgpr_count 0
		.amdhsa_exception_fp_ieee_invalid_op 0
		.amdhsa_exception_fp_denorm_src 0
		.amdhsa_exception_fp_ieee_div_zero 0
		.amdhsa_exception_fp_ieee_overflow 0
		.amdhsa_exception_fp_ieee_underflow 0
		.amdhsa_exception_fp_ieee_inexact 0
		.amdhsa_exception_int_div_zero 0
	.end_amdhsa_kernel
	.section	.text._ZN9rocsparseL19gebsrmvn_2xn_kernelILj128ELj4ELj16E21rocsparse_complex_numIdEEEvi20rocsparse_direction_NS_24const_host_device_scalarIT2_EEPKiS8_PKS5_SA_S6_PS5_21rocsparse_index_base_b,"axG",@progbits,_ZN9rocsparseL19gebsrmvn_2xn_kernelILj128ELj4ELj16E21rocsparse_complex_numIdEEEvi20rocsparse_direction_NS_24const_host_device_scalarIT2_EEPKiS8_PKS5_SA_S6_PS5_21rocsparse_index_base_b,comdat
.Lfunc_end240:
	.size	_ZN9rocsparseL19gebsrmvn_2xn_kernelILj128ELj4ELj16E21rocsparse_complex_numIdEEEvi20rocsparse_direction_NS_24const_host_device_scalarIT2_EEPKiS8_PKS5_SA_S6_PS5_21rocsparse_index_base_b, .Lfunc_end240-_ZN9rocsparseL19gebsrmvn_2xn_kernelILj128ELj4ELj16E21rocsparse_complex_numIdEEEvi20rocsparse_direction_NS_24const_host_device_scalarIT2_EEPKiS8_PKS5_SA_S6_PS5_21rocsparse_index_base_b
                                        ; -- End function
	.section	.AMDGPU.csdata,"",@progbits
; Kernel info:
; codeLenInByte = 2824
; NumSgprs: 20
; NumVgprs: 74
; ScratchSize: 0
; MemoryBound: 1
; FloatMode: 240
; IeeeMode: 1
; LDSByteSize: 2048 bytes/workgroup (compile time only)
; SGPRBlocks: 2
; VGPRBlocks: 9
; NumSGPRsForWavesPerEU: 20
; NumVGPRsForWavesPerEU: 74
; Occupancy: 16
; WaveLimiterHint : 1
; COMPUTE_PGM_RSRC2:SCRATCH_EN: 0
; COMPUTE_PGM_RSRC2:USER_SGPR: 15
; COMPUTE_PGM_RSRC2:TRAP_HANDLER: 0
; COMPUTE_PGM_RSRC2:TGID_X_EN: 1
; COMPUTE_PGM_RSRC2:TGID_Y_EN: 0
; COMPUTE_PGM_RSRC2:TGID_Z_EN: 0
; COMPUTE_PGM_RSRC2:TIDIG_COMP_CNT: 2
	.section	.text._ZN9rocsparseL19gebsrmvn_2xn_kernelILj128ELj4ELj32E21rocsparse_complex_numIdEEEvi20rocsparse_direction_NS_24const_host_device_scalarIT2_EEPKiS8_PKS5_SA_S6_PS5_21rocsparse_index_base_b,"axG",@progbits,_ZN9rocsparseL19gebsrmvn_2xn_kernelILj128ELj4ELj32E21rocsparse_complex_numIdEEEvi20rocsparse_direction_NS_24const_host_device_scalarIT2_EEPKiS8_PKS5_SA_S6_PS5_21rocsparse_index_base_b,comdat
	.globl	_ZN9rocsparseL19gebsrmvn_2xn_kernelILj128ELj4ELj32E21rocsparse_complex_numIdEEEvi20rocsparse_direction_NS_24const_host_device_scalarIT2_EEPKiS8_PKS5_SA_S6_PS5_21rocsparse_index_base_b ; -- Begin function _ZN9rocsparseL19gebsrmvn_2xn_kernelILj128ELj4ELj32E21rocsparse_complex_numIdEEEvi20rocsparse_direction_NS_24const_host_device_scalarIT2_EEPKiS8_PKS5_SA_S6_PS5_21rocsparse_index_base_b
	.p2align	8
	.type	_ZN9rocsparseL19gebsrmvn_2xn_kernelILj128ELj4ELj32E21rocsparse_complex_numIdEEEvi20rocsparse_direction_NS_24const_host_device_scalarIT2_EEPKiS8_PKS5_SA_S6_PS5_21rocsparse_index_base_b,@function
_ZN9rocsparseL19gebsrmvn_2xn_kernelILj128ELj4ELj32E21rocsparse_complex_numIdEEEvi20rocsparse_direction_NS_24const_host_device_scalarIT2_EEPKiS8_PKS5_SA_S6_PS5_21rocsparse_index_base_b: ; @_ZN9rocsparseL19gebsrmvn_2xn_kernelILj128ELj4ELj32E21rocsparse_complex_numIdEEEvi20rocsparse_direction_NS_24const_host_device_scalarIT2_EEPKiS8_PKS5_SA_S6_PS5_21rocsparse_index_base_b
; %bb.0:
	s_load_b64 s[12:13], s[2:3], 0x50
	s_load_b64 s[16:17], s[0:1], 0x4
	s_load_b128 s[8:11], s[2:3], 0x8
	v_bfe_u32 v1, v0, 10, 10
	s_mov_b64 s[0:1], src_shared_base
	s_load_b128 s[4:7], s[2:3], 0x38
	v_and_b32_e32 v10, 0x3ff, v0
	v_bfe_u32 v0, v0, 20, 10
	s_waitcnt lgkmcnt(0)
	s_bitcmp1_b32 s13, 0
	v_mul_u32_u24_e32 v1, s17, v1
	s_cselect_b32 s0, -1, 0
	s_delay_alu instid0(SALU_CYCLE_1)
	s_and_b32 vcc_lo, s0, exec_lo
	s_cselect_b32 s13, s1, s9
	s_lshr_b32 s14, s16, 16
	v_dual_mov_b32 v2, s4 :: v_dual_mov_b32 v3, s5
	s_mul_i32 s14, s14, s17
	v_mov_b32_e32 v6, s13
	v_mad_u32_u24 v1, s14, v10, v1
	s_delay_alu instid0(VALU_DEP_1) | instskip(SKIP_1) | instid1(VALU_DEP_2)
	v_add_lshl_u32 v4, v1, v0, 3
	v_dual_mov_b32 v0, s8 :: v_dual_mov_b32 v1, s9
	v_add_nc_u32_e32 v5, 0x400, v4
	ds_store_2addr_stride64_b64 v4, v[2:3], v[0:1] offset1:2
	v_dual_mov_b32 v2, s10 :: v_dual_mov_b32 v3, s11
	v_cndmask_b32_e64 v5, s8, v5, s0
	s_xor_b32 s10, s0, -1
	flat_load_b64 v[0:1], v[5:6]
	s_cbranch_vccnz .LBB241_2
; %bb.1:
	v_dual_mov_b32 v2, s8 :: v_dual_mov_b32 v3, s9
	flat_load_b64 v[2:3], v[2:3] offset:8
.LBB241_2:
	s_and_b32 s8, s0, exec_lo
	s_cselect_b32 s1, s1, s5
	v_cndmask_b32_e64 v4, s4, v4, s0
	v_dual_mov_b32 v5, s1 :: v_dual_mov_b32 v6, s6
	v_mov_b32_e32 v7, s7
	s_and_not1_b32 vcc_lo, exec_lo, s10
	flat_load_b64 v[4:5], v[4:5]
	s_cbranch_vccnz .LBB241_4
; %bb.3:
	v_dual_mov_b32 v7, s5 :: v_dual_mov_b32 v6, s4
	flat_load_b64 v[6:7], v[6:7] offset:8
.LBB241_4:
	s_waitcnt vmcnt(1) lgkmcnt(1)
	v_cmp_eq_f64_e32 vcc_lo, 0, v[0:1]
	v_cmp_eq_f64_e64 s0, 0, v[2:3]
	s_delay_alu instid0(VALU_DEP_1)
	s_and_b32 s4, vcc_lo, s0
	s_mov_b32 s0, -1
	s_and_saveexec_b32 s1, s4
	s_cbranch_execz .LBB241_6
; %bb.5:
	s_waitcnt vmcnt(0) lgkmcnt(0)
	v_cmp_neq_f64_e32 vcc_lo, 1.0, v[4:5]
	v_cmp_neq_f64_e64 s0, 0, v[6:7]
	s_delay_alu instid0(VALU_DEP_1) | instskip(NEXT) | instid1(SALU_CYCLE_1)
	s_or_b32 s0, vcc_lo, s0
	s_or_not1_b32 s0, s0, exec_lo
.LBB241_6:
	s_or_b32 exec_lo, exec_lo, s1
	s_and_saveexec_b32 s1, s0
	s_cbranch_execz .LBB241_25
; %bb.7:
	s_load_b64 s[0:1], s[2:3], 0x0
	v_lshrrev_b32_e32 v8, 5, v10
	s_delay_alu instid0(VALU_DEP_1) | instskip(SKIP_1) | instid1(VALU_DEP_1)
	v_lshl_or_b32 v8, s15, 2, v8
	s_waitcnt lgkmcnt(0)
	v_cmp_gt_i32_e32 vcc_lo, s0, v8
	s_and_b32 exec_lo, exec_lo, vcc_lo
	s_cbranch_execz .LBB241_25
; %bb.8:
	s_load_b256 s[4:11], s[2:3], 0x18
	v_ashrrev_i32_e32 v9, 31, v8
	v_and_b32_e32 v25, 31, v10
	s_cmp_lg_u32 s1, 0
	s_delay_alu instid0(VALU_DEP_2) | instskip(SKIP_1) | instid1(VALU_DEP_1)
	v_lshlrev_b64 v[11:12], 2, v[8:9]
	s_waitcnt lgkmcnt(0)
	v_add_co_u32 v11, vcc_lo, s4, v11
	s_delay_alu instid0(VALU_DEP_2) | instskip(SKIP_4) | instid1(VALU_DEP_2)
	v_add_co_ci_u32_e32 v12, vcc_lo, s5, v12, vcc_lo
	global_load_b64 v[11:12], v[11:12], off
	s_waitcnt vmcnt(0)
	v_subrev_nc_u32_e32 v9, s12, v11
	v_subrev_nc_u32_e32 v23, s12, v12
	v_add_nc_u32_e32 v9, v9, v25
	s_delay_alu instid0(VALU_DEP_1)
	v_cmp_lt_i32_e64 s0, v9, v23
	s_cbranch_scc0 .LBB241_14
; %bb.9:
	v_mov_b32_e32 v11, 0
	v_mov_b32_e32 v12, 0
	s_delay_alu instid0(VALU_DEP_1)
	v_dual_mov_b32 v18, v12 :: v_dual_mov_b32 v17, v11
	v_dual_mov_b32 v14, v12 :: v_dual_mov_b32 v13, v11
	;; [unrolled: 1-line block ×3, first 2 shown]
	s_and_saveexec_b32 s1, s0
	s_cbranch_execz .LBB241_13
; %bb.10:
	v_dual_mov_b32 v11, 0 :: v_dual_mov_b32 v20, 0
	v_dual_mov_b32 v12, 0 :: v_dual_lshlrev_b32 v19, 3, v9
	v_mov_b32_e32 v21, v9
	s_mov_b32 s4, 0
	s_delay_alu instid0(VALU_DEP_2)
	v_dual_mov_b32 v18, v12 :: v_dual_mov_b32 v17, v11
	v_dual_mov_b32 v14, v12 :: v_dual_mov_b32 v13, v11
	;; [unrolled: 1-line block ×3, first 2 shown]
.LBB241_11:                             ; =>This Inner Loop Header: Depth=1
	v_ashrrev_i32_e32 v22, 31, v21
	s_delay_alu instid0(VALU_DEP_1) | instskip(SKIP_1) | instid1(VALU_DEP_2)
	v_lshlrev_b64 v[26:27], 2, v[21:22]
	v_add_nc_u32_e32 v21, 32, v21
	v_add_co_u32 v26, vcc_lo, s6, v26
	s_delay_alu instid0(VALU_DEP_3) | instskip(SKIP_3) | instid1(VALU_DEP_2)
	v_add_co_ci_u32_e32 v27, vcc_lo, s7, v27, vcc_lo
	global_load_b32 v10, v[26:27], off
	v_lshlrev_b64 v[26:27], 4, v[19:20]
	v_add_nc_u32_e32 v19, 0x100, v19
	v_add_co_u32 v70, vcc_lo, s8, v26
	s_delay_alu instid0(VALU_DEP_3) | instskip(SKIP_3) | instid1(VALU_DEP_1)
	v_add_co_ci_u32_e32 v71, vcc_lo, s9, v27, vcc_lo
	global_load_b128 v[26:29], v[70:71], off offset:16
	s_waitcnt vmcnt(1)
	v_subrev_nc_u32_e32 v10, s12, v10
	v_dual_mov_b32 v31, v20 :: v_dual_lshlrev_b32 v30, 2, v10
	s_delay_alu instid0(VALU_DEP_1) | instskip(NEXT) | instid1(VALU_DEP_1)
	v_lshlrev_b64 v[30:31], 4, v[30:31]
	v_add_co_u32 v62, vcc_lo, s10, v30
	s_delay_alu instid0(VALU_DEP_2)
	v_add_co_ci_u32_e32 v63, vcc_lo, s11, v31, vcc_lo
	v_cmp_ge_i32_e32 vcc_lo, v21, v23
	global_load_b128 v[30:33], v[70:71], off
	s_clause 0x1
	global_load_b128 v[34:37], v[62:63], off
	global_load_b128 v[38:41], v[62:63], off offset:16
	s_clause 0x3
	global_load_b128 v[42:45], v[70:71], off offset:32
	global_load_b128 v[46:49], v[70:71], off offset:48
	;; [unrolled: 1-line block ×4, first 2 shown]
	s_clause 0x1
	global_load_b128 v[58:61], v[62:63], off offset:32
	global_load_b128 v[62:65], v[62:63], off offset:48
	s_clause 0x1
	global_load_b128 v[66:69], v[70:71], off offset:96
	global_load_b128 v[70:73], v[70:71], off offset:112
	s_or_b32 s4, vcc_lo, s4
	s_waitcnt vmcnt(9)
	v_fma_f64 v[17:18], v[30:31], v[34:35], v[17:18]
	v_fma_f64 v[10:11], v[32:33], v[34:35], v[11:12]
	;; [unrolled: 1-line block ×4, first 2 shown]
	s_delay_alu instid0(VALU_DEP_4) | instskip(NEXT) | instid1(VALU_DEP_4)
	v_fma_f64 v[16:17], -v[32:33], v[36:37], v[17:18]
	v_fma_f64 v[10:11], v[30:31], v[36:37], v[10:11]
	s_delay_alu instid0(VALU_DEP_4) | instskip(NEXT) | instid1(VALU_DEP_4)
	v_fma_f64 v[12:13], -v[28:29], v[36:37], v[12:13]
	v_fma_f64 v[14:15], v[26:27], v[36:37], v[14:15]
	s_waitcnt vmcnt(7)
	s_delay_alu instid0(VALU_DEP_4) | instskip(NEXT) | instid1(VALU_DEP_4)
	v_fma_f64 v[16:17], v[42:43], v[38:39], v[16:17]
	v_fma_f64 v[10:11], v[44:45], v[38:39], v[10:11]
	s_waitcnt vmcnt(6)
	s_delay_alu instid0(VALU_DEP_4) | instskip(NEXT) | instid1(VALU_DEP_4)
	v_fma_f64 v[12:13], v[46:47], v[38:39], v[12:13]
	v_fma_f64 v[14:15], v[48:49], v[38:39], v[14:15]
	s_delay_alu instid0(VALU_DEP_4) | instskip(NEXT) | instid1(VALU_DEP_4)
	v_fma_f64 v[16:17], -v[44:45], v[40:41], v[16:17]
	v_fma_f64 v[10:11], v[42:43], v[40:41], v[10:11]
	s_delay_alu instid0(VALU_DEP_4) | instskip(NEXT) | instid1(VALU_DEP_4)
	v_fma_f64 v[12:13], -v[48:49], v[40:41], v[12:13]
	v_fma_f64 v[14:15], v[46:47], v[40:41], v[14:15]
	s_waitcnt vmcnt(3)
	s_delay_alu instid0(VALU_DEP_4) | instskip(NEXT) | instid1(VALU_DEP_4)
	v_fma_f64 v[16:17], v[54:55], v[58:59], v[16:17]
	v_fma_f64 v[10:11], v[56:57], v[58:59], v[10:11]
	s_delay_alu instid0(VALU_DEP_4) | instskip(NEXT) | instid1(VALU_DEP_4)
	v_fma_f64 v[12:13], v[50:51], v[58:59], v[12:13]
	v_fma_f64 v[14:15], v[52:53], v[58:59], v[14:15]
	s_delay_alu instid0(VALU_DEP_4) | instskip(NEXT) | instid1(VALU_DEP_4)
	v_fma_f64 v[16:17], -v[56:57], v[60:61], v[16:17]
	v_fma_f64 v[10:11], v[54:55], v[60:61], v[10:11]
	s_delay_alu instid0(VALU_DEP_4) | instskip(NEXT) | instid1(VALU_DEP_4)
	v_fma_f64 v[12:13], -v[52:53], v[60:61], v[12:13]
	v_fma_f64 v[14:15], v[50:51], v[60:61], v[14:15]
	s_waitcnt vmcnt(1)
	s_delay_alu instid0(VALU_DEP_4) | instskip(NEXT) | instid1(VALU_DEP_4)
	v_fma_f64 v[16:17], v[66:67], v[62:63], v[16:17]
	v_fma_f64 v[10:11], v[68:69], v[62:63], v[10:11]
	s_waitcnt vmcnt(0)
	s_delay_alu instid0(VALU_DEP_4) | instskip(NEXT) | instid1(VALU_DEP_4)
	v_fma_f64 v[26:27], v[70:71], v[62:63], v[12:13]
	v_fma_f64 v[28:29], v[72:73], v[62:63], v[14:15]
	s_delay_alu instid0(VALU_DEP_4) | instskip(NEXT) | instid1(VALU_DEP_4)
	v_fma_f64 v[17:18], -v[68:69], v[64:65], v[16:17]
	v_fma_f64 v[11:12], v[66:67], v[64:65], v[10:11]
	s_delay_alu instid0(VALU_DEP_4) | instskip(NEXT) | instid1(VALU_DEP_4)
	v_fma_f64 v[13:14], -v[72:73], v[64:65], v[26:27]
	v_fma_f64 v[15:16], v[70:71], v[64:65], v[28:29]
	s_and_not1_b32 exec_lo, exec_lo, s4
	s_cbranch_execnz .LBB241_11
; %bb.12:
	s_or_b32 exec_lo, exec_lo, s4
.LBB241_13:
	s_delay_alu instid0(SALU_CYCLE_1)
	s_or_b32 exec_lo, exec_lo, s1
	s_cbranch_execz .LBB241_15
	s_branch .LBB241_20
.LBB241_14:
                                        ; implicit-def: $vgpr11_vgpr12
                                        ; implicit-def: $vgpr17_vgpr18
                                        ; implicit-def: $vgpr13_vgpr14
                                        ; implicit-def: $vgpr15_vgpr16
.LBB241_15:
	v_mov_b32_e32 v11, 0
	v_mov_b32_e32 v12, 0
	s_delay_alu instid0(VALU_DEP_1)
	v_dual_mov_b32 v18, v12 :: v_dual_mov_b32 v17, v11
	v_dual_mov_b32 v14, v12 :: v_dual_mov_b32 v13, v11
	;; [unrolled: 1-line block ×3, first 2 shown]
	s_and_saveexec_b32 s1, s0
	s_cbranch_execz .LBB241_19
; %bb.16:
	v_dual_mov_b32 v11, 0 :: v_dual_mov_b32 v20, 0
	v_dual_mov_b32 v12, 0 :: v_dual_lshlrev_b32 v19, 3, v9
	s_mov_b32 s0, 0
	s_delay_alu instid0(VALU_DEP_1)
	v_dual_mov_b32 v18, v12 :: v_dual_mov_b32 v17, v11
	v_dual_mov_b32 v14, v12 :: v_dual_mov_b32 v13, v11
	;; [unrolled: 1-line block ×3, first 2 shown]
.LBB241_17:                             ; =>This Inner Loop Header: Depth=1
	v_ashrrev_i32_e32 v10, 31, v9
	s_delay_alu instid0(VALU_DEP_1) | instskip(SKIP_1) | instid1(VALU_DEP_2)
	v_lshlrev_b64 v[21:22], 2, v[9:10]
	v_add_nc_u32_e32 v9, 32, v9
	v_add_co_u32 v21, vcc_lo, s6, v21
	s_delay_alu instid0(VALU_DEP_3) | instskip(SKIP_3) | instid1(VALU_DEP_2)
	v_add_co_ci_u32_e32 v22, vcc_lo, s7, v22, vcc_lo
	global_load_b32 v10, v[21:22], off
	v_lshlrev_b64 v[21:22], 4, v[19:20]
	v_add_nc_u32_e32 v19, 0x100, v19
	v_add_co_u32 v21, vcc_lo, s8, v21
	s_delay_alu instid0(VALU_DEP_3)
	v_add_co_ci_u32_e32 v22, vcc_lo, s9, v22, vcc_lo
	s_clause 0x2
	global_load_b128 v[26:29], v[21:22], off offset:16
	global_load_b128 v[30:33], v[21:22], off
	global_load_b128 v[34:37], v[21:22], off offset:80
	s_waitcnt vmcnt(3)
	v_subrev_nc_u32_e32 v10, s12, v10
	s_delay_alu instid0(VALU_DEP_1) | instskip(NEXT) | instid1(VALU_DEP_1)
	v_dual_mov_b32 v39, v20 :: v_dual_lshlrev_b32 v38, 2, v10
	v_lshlrev_b64 v[38:39], 4, v[38:39]
	s_delay_alu instid0(VALU_DEP_1) | instskip(NEXT) | instid1(VALU_DEP_2)
	v_add_co_u32 v70, vcc_lo, s10, v38
	v_add_co_ci_u32_e32 v71, vcc_lo, s11, v39, vcc_lo
	v_cmp_ge_i32_e32 vcc_lo, v9, v23
	global_load_b128 v[38:41], v[21:22], off offset:64
	s_clause 0x1
	global_load_b128 v[42:45], v[70:71], off
	global_load_b128 v[46:49], v[70:71], off offset:16
	s_clause 0x3
	global_load_b128 v[50:53], v[21:22], off offset:48
	global_load_b128 v[54:57], v[21:22], off offset:32
	;; [unrolled: 1-line block ×4, first 2 shown]
	s_clause 0x1
	global_load_b128 v[66:69], v[70:71], off offset:32
	global_load_b128 v[70:73], v[70:71], off offset:48
	s_or_b32 s0, vcc_lo, s0
	s_waitcnt vmcnt(7)
	v_fma_f64 v[17:18], v[30:31], v[42:43], v[17:18]
	v_fma_f64 v[10:11], v[32:33], v[42:43], v[11:12]
	;; [unrolled: 1-line block ×4, first 2 shown]
	s_delay_alu instid0(VALU_DEP_4) | instskip(NEXT) | instid1(VALU_DEP_4)
	v_fma_f64 v[16:17], -v[32:33], v[44:45], v[17:18]
	v_fma_f64 v[10:11], v[30:31], v[44:45], v[10:11]
	s_delay_alu instid0(VALU_DEP_4) | instskip(NEXT) | instid1(VALU_DEP_4)
	v_fma_f64 v[12:13], -v[40:41], v[44:45], v[12:13]
	v_fma_f64 v[14:15], v[38:39], v[44:45], v[14:15]
	s_waitcnt vmcnt(6)
	s_delay_alu instid0(VALU_DEP_4) | instskip(NEXT) | instid1(VALU_DEP_4)
	v_fma_f64 v[16:17], v[26:27], v[46:47], v[16:17]
	v_fma_f64 v[10:11], v[28:29], v[46:47], v[10:11]
	s_delay_alu instid0(VALU_DEP_4) | instskip(NEXT) | instid1(VALU_DEP_4)
	v_fma_f64 v[12:13], v[34:35], v[46:47], v[12:13]
	v_fma_f64 v[14:15], v[36:37], v[46:47], v[14:15]
	s_delay_alu instid0(VALU_DEP_4) | instskip(NEXT) | instid1(VALU_DEP_4)
	v_fma_f64 v[16:17], -v[28:29], v[48:49], v[16:17]
	v_fma_f64 v[10:11], v[26:27], v[48:49], v[10:11]
	s_delay_alu instid0(VALU_DEP_4) | instskip(NEXT) | instid1(VALU_DEP_4)
	v_fma_f64 v[12:13], -v[36:37], v[48:49], v[12:13]
	v_fma_f64 v[14:15], v[34:35], v[48:49], v[14:15]
	s_waitcnt vmcnt(1)
	s_delay_alu instid0(VALU_DEP_4) | instskip(NEXT) | instid1(VALU_DEP_4)
	v_fma_f64 v[16:17], v[54:55], v[66:67], v[16:17]
	v_fma_f64 v[10:11], v[56:57], v[66:67], v[10:11]
	s_delay_alu instid0(VALU_DEP_4) | instskip(NEXT) | instid1(VALU_DEP_4)
	v_fma_f64 v[12:13], v[62:63], v[66:67], v[12:13]
	v_fma_f64 v[14:15], v[64:65], v[66:67], v[14:15]
	;; [unrolled: 13-line block ×3, first 2 shown]
	s_delay_alu instid0(VALU_DEP_4) | instskip(NEXT) | instid1(VALU_DEP_4)
	v_fma_f64 v[17:18], -v[52:53], v[72:73], v[16:17]
	v_fma_f64 v[11:12], v[50:51], v[72:73], v[10:11]
	s_delay_alu instid0(VALU_DEP_4) | instskip(NEXT) | instid1(VALU_DEP_4)
	v_fma_f64 v[13:14], -v[60:61], v[72:73], v[21:22]
	v_fma_f64 v[15:16], v[58:59], v[72:73], v[26:27]
	s_and_not1_b32 exec_lo, exec_lo, s0
	s_cbranch_execnz .LBB241_17
; %bb.18:
	s_or_b32 exec_lo, exec_lo, s0
.LBB241_19:
	s_delay_alu instid0(SALU_CYCLE_1)
	s_or_b32 exec_lo, exec_lo, s1
.LBB241_20:
	v_mbcnt_lo_u32_b32 v26, -1, 0
	s_delay_alu instid0(VALU_DEP_1) | instskip(NEXT) | instid1(VALU_DEP_1)
	v_xor_b32_e32 v9, 16, v26
	v_cmp_gt_i32_e32 vcc_lo, 32, v9
	v_cndmask_b32_e32 v9, v26, v9, vcc_lo
	s_delay_alu instid0(VALU_DEP_1)
	v_lshlrev_b32_e32 v24, 2, v9
	ds_bpermute_b32 v9, v24, v17
	ds_bpermute_b32 v10, v24, v18
	;; [unrolled: 1-line block ×8, first 2 shown]
	s_waitcnt lgkmcnt(6)
	v_add_f64 v[9:10], v[17:18], v[9:10]
	v_xor_b32_e32 v17, 8, v26
	s_waitcnt lgkmcnt(4)
	v_add_f64 v[11:12], v[11:12], v[19:20]
	s_waitcnt lgkmcnt(2)
	v_add_f64 v[13:14], v[13:14], v[21:22]
	;; [unrolled: 2-line block ×3, first 2 shown]
	v_cmp_gt_i32_e32 vcc_lo, 32, v17
	v_cndmask_b32_e32 v17, v26, v17, vcc_lo
	s_delay_alu instid0(VALU_DEP_1)
	v_lshlrev_b32_e32 v24, 2, v17
	ds_bpermute_b32 v17, v24, v9
	ds_bpermute_b32 v18, v24, v10
	;; [unrolled: 1-line block ×8, first 2 shown]
	s_waitcnt lgkmcnt(6)
	v_add_f64 v[9:10], v[9:10], v[17:18]
	v_xor_b32_e32 v17, 4, v26
	s_waitcnt lgkmcnt(4)
	v_add_f64 v[11:12], v[11:12], v[19:20]
	s_waitcnt lgkmcnt(2)
	v_add_f64 v[13:14], v[13:14], v[21:22]
	;; [unrolled: 2-line block ×3, first 2 shown]
	v_cmp_gt_i32_e32 vcc_lo, 32, v17
	v_cndmask_b32_e32 v17, v26, v17, vcc_lo
	s_delay_alu instid0(VALU_DEP_1)
	v_lshlrev_b32_e32 v24, 2, v17
	ds_bpermute_b32 v17, v24, v9
	ds_bpermute_b32 v18, v24, v10
	;; [unrolled: 1-line block ×8, first 2 shown]
	s_waitcnt lgkmcnt(6)
	v_add_f64 v[9:10], v[9:10], v[17:18]
	s_waitcnt lgkmcnt(4)
	v_add_f64 v[11:12], v[11:12], v[19:20]
	;; [unrolled: 2-line block ×4, first 2 shown]
	v_xor_b32_e32 v15, 2, v26
	s_delay_alu instid0(VALU_DEP_1) | instskip(SKIP_1) | instid1(VALU_DEP_1)
	v_cmp_gt_i32_e32 vcc_lo, 32, v15
	v_cndmask_b32_e32 v15, v26, v15, vcc_lo
	v_lshlrev_b32_e32 v24, 2, v15
	ds_bpermute_b32 v15, v24, v9
	ds_bpermute_b32 v16, v24, v10
	;; [unrolled: 1-line block ×8, first 2 shown]
	s_waitcnt lgkmcnt(6)
	v_add_f64 v[9:10], v[9:10], v[15:16]
	s_waitcnt lgkmcnt(4)
	v_add_f64 v[15:16], v[11:12], v[19:20]
	;; [unrolled: 2-line block ×4, first 2 shown]
	v_xor_b32_e32 v17, 1, v26
	s_delay_alu instid0(VALU_DEP_1) | instskip(SKIP_2) | instid1(VALU_DEP_2)
	v_cmp_gt_i32_e32 vcc_lo, 32, v17
	v_cndmask_b32_e32 v17, v26, v17, vcc_lo
	v_cmp_eq_u32_e32 vcc_lo, 31, v25
	v_lshlrev_b32_e32 v20, 2, v17
	ds_bpermute_b32 v23, v20, v9
	ds_bpermute_b32 v24, v20, v10
	;; [unrolled: 1-line block ×8, first 2 shown]
	s_and_b32 exec_lo, exec_lo, vcc_lo
	s_cbranch_execz .LBB241_25
; %bb.21:
	v_cmp_eq_f64_e32 vcc_lo, 0, v[4:5]
	v_cmp_eq_f64_e64 s0, 0, v[6:7]
	s_waitcnt lgkmcnt(6)
	v_add_f64 v[9:10], v[9:10], v[23:24]
	s_waitcnt lgkmcnt(4)
	v_add_f64 v[15:16], v[15:16], v[21:22]
	;; [unrolled: 2-line block ×4, first 2 shown]
	s_load_b64 s[2:3], s[2:3], 0x48
	s_and_b32 s0, vcc_lo, s0
	s_delay_alu instid0(SALU_CYCLE_1) | instskip(NEXT) | instid1(SALU_CYCLE_1)
	s_and_saveexec_b32 s1, s0
	s_xor_b32 s0, exec_lo, s1
	s_cbranch_execz .LBB241_23
; %bb.22:
	s_delay_alu instid0(VALU_DEP_3) | instskip(SKIP_1) | instid1(VALU_DEP_3)
	v_mul_f64 v[4:5], v[15:16], -v[2:3]
	v_mul_f64 v[6:7], v[0:1], v[15:16]
	v_mul_f64 v[15:16], v[13:14], -v[2:3]
	v_mul_f64 v[13:14], v[0:1], v[13:14]
	v_lshlrev_b32_e32 v8, 1, v8
	v_fma_f64 v[4:5], v[0:1], v[9:10], v[4:5]
	v_fma_f64 v[6:7], v[2:3], v[9:10], v[6:7]
	;; [unrolled: 1-line block ×4, first 2 shown]
	v_ashrrev_i32_e32 v9, 31, v8
                                        ; implicit-def: $vgpr15_vgpr16
                                        ; implicit-def: $vgpr11_vgpr12
                                        ; implicit-def: $vgpr13_vgpr14
	s_delay_alu instid0(VALU_DEP_1) | instskip(SKIP_1) | instid1(VALU_DEP_1)
	v_lshlrev_b64 v[8:9], 4, v[8:9]
	s_waitcnt lgkmcnt(0)
	v_add_co_u32 v8, vcc_lo, s2, v8
	s_delay_alu instid0(VALU_DEP_2)
	v_add_co_ci_u32_e32 v9, vcc_lo, s3, v9, vcc_lo
	s_clause 0x1
	global_store_b128 v[8:9], v[4:7], off
	global_store_b128 v[8:9], v[0:3], off offset:16
                                        ; implicit-def: $vgpr0_vgpr1
                                        ; implicit-def: $vgpr2_vgpr3
                                        ; implicit-def: $vgpr4_vgpr5
                                        ; implicit-def: $vgpr6_vgpr7
                                        ; implicit-def: $vgpr8
                                        ; implicit-def: $vgpr9_vgpr10
.LBB241_23:
	s_and_not1_saveexec_b32 s0, s0
	s_cbranch_execz .LBB241_25
; %bb.24:
	v_lshlrev_b32_e32 v17, 1, v8
	s_delay_alu instid0(VALU_DEP_4) | instskip(SKIP_1) | instid1(VALU_DEP_4)
	v_mul_f64 v[27:28], v[15:16], -v[2:3]
	v_mul_f64 v[15:16], v[0:1], v[15:16]
	v_mul_f64 v[29:30], v[13:14], -v[2:3]
	v_mul_f64 v[13:14], v[0:1], v[13:14]
	v_ashrrev_i32_e32 v18, 31, v17
	s_delay_alu instid0(VALU_DEP_1) | instskip(SKIP_1) | instid1(VALU_DEP_1)
	v_lshlrev_b64 v[17:18], 4, v[17:18]
	s_waitcnt lgkmcnt(0)
	v_add_co_u32 v25, vcc_lo, s2, v17
	s_delay_alu instid0(VALU_DEP_2)
	v_add_co_ci_u32_e32 v26, vcc_lo, s3, v18, vcc_lo
	s_clause 0x1
	global_load_b128 v[17:20], v[25:26], off
	global_load_b128 v[21:24], v[25:26], off offset:16
	v_fma_f64 v[27:28], v[0:1], v[9:10], v[27:28]
	v_fma_f64 v[8:9], v[2:3], v[9:10], v[15:16]
	;; [unrolled: 1-line block ×4, first 2 shown]
	s_waitcnt vmcnt(1)
	s_delay_alu instid0(VALU_DEP_4) | instskip(NEXT) | instid1(VALU_DEP_4)
	v_fma_f64 v[10:11], v[4:5], v[17:18], v[27:28]
	v_fma_f64 v[8:9], v[6:7], v[17:18], v[8:9]
	s_waitcnt vmcnt(0)
	s_delay_alu instid0(VALU_DEP_4) | instskip(NEXT) | instid1(VALU_DEP_4)
	v_fma_f64 v[12:13], v[4:5], v[21:22], v[0:1]
	v_fma_f64 v[14:15], v[6:7], v[21:22], v[2:3]
	s_delay_alu instid0(VALU_DEP_4) | instskip(NEXT) | instid1(VALU_DEP_4)
	v_fma_f64 v[0:1], -v[6:7], v[19:20], v[10:11]
	v_fma_f64 v[2:3], v[4:5], v[19:20], v[8:9]
	s_delay_alu instid0(VALU_DEP_4) | instskip(NEXT) | instid1(VALU_DEP_4)
	v_fma_f64 v[6:7], -v[6:7], v[23:24], v[12:13]
	v_fma_f64 v[8:9], v[4:5], v[23:24], v[14:15]
	s_clause 0x1
	global_store_b128 v[25:26], v[0:3], off
	global_store_b128 v[25:26], v[6:9], off offset:16
.LBB241_25:
	s_nop 0
	s_sendmsg sendmsg(MSG_DEALLOC_VGPRS)
	s_endpgm
	.section	.rodata,"a",@progbits
	.p2align	6, 0x0
	.amdhsa_kernel _ZN9rocsparseL19gebsrmvn_2xn_kernelILj128ELj4ELj32E21rocsparse_complex_numIdEEEvi20rocsparse_direction_NS_24const_host_device_scalarIT2_EEPKiS8_PKS5_SA_S6_PS5_21rocsparse_index_base_b
		.amdhsa_group_segment_fixed_size 2048
		.amdhsa_private_segment_fixed_size 0
		.amdhsa_kernarg_size 88
		.amdhsa_user_sgpr_count 15
		.amdhsa_user_sgpr_dispatch_ptr 1
		.amdhsa_user_sgpr_queue_ptr 0
		.amdhsa_user_sgpr_kernarg_segment_ptr 1
		.amdhsa_user_sgpr_dispatch_id 0
		.amdhsa_user_sgpr_private_segment_size 0
		.amdhsa_wavefront_size32 1
		.amdhsa_uses_dynamic_stack 0
		.amdhsa_enable_private_segment 0
		.amdhsa_system_sgpr_workgroup_id_x 1
		.amdhsa_system_sgpr_workgroup_id_y 0
		.amdhsa_system_sgpr_workgroup_id_z 0
		.amdhsa_system_sgpr_workgroup_info 0
		.amdhsa_system_vgpr_workitem_id 2
		.amdhsa_next_free_vgpr 74
		.amdhsa_next_free_sgpr 18
		.amdhsa_reserve_vcc 1
		.amdhsa_float_round_mode_32 0
		.amdhsa_float_round_mode_16_64 0
		.amdhsa_float_denorm_mode_32 3
		.amdhsa_float_denorm_mode_16_64 3
		.amdhsa_dx10_clamp 1
		.amdhsa_ieee_mode 1
		.amdhsa_fp16_overflow 0
		.amdhsa_workgroup_processor_mode 1
		.amdhsa_memory_ordered 1
		.amdhsa_forward_progress 0
		.amdhsa_shared_vgpr_count 0
		.amdhsa_exception_fp_ieee_invalid_op 0
		.amdhsa_exception_fp_denorm_src 0
		.amdhsa_exception_fp_ieee_div_zero 0
		.amdhsa_exception_fp_ieee_overflow 0
		.amdhsa_exception_fp_ieee_underflow 0
		.amdhsa_exception_fp_ieee_inexact 0
		.amdhsa_exception_int_div_zero 0
	.end_amdhsa_kernel
	.section	.text._ZN9rocsparseL19gebsrmvn_2xn_kernelILj128ELj4ELj32E21rocsparse_complex_numIdEEEvi20rocsparse_direction_NS_24const_host_device_scalarIT2_EEPKiS8_PKS5_SA_S6_PS5_21rocsparse_index_base_b,"axG",@progbits,_ZN9rocsparseL19gebsrmvn_2xn_kernelILj128ELj4ELj32E21rocsparse_complex_numIdEEEvi20rocsparse_direction_NS_24const_host_device_scalarIT2_EEPKiS8_PKS5_SA_S6_PS5_21rocsparse_index_base_b,comdat
.Lfunc_end241:
	.size	_ZN9rocsparseL19gebsrmvn_2xn_kernelILj128ELj4ELj32E21rocsparse_complex_numIdEEEvi20rocsparse_direction_NS_24const_host_device_scalarIT2_EEPKiS8_PKS5_SA_S6_PS5_21rocsparse_index_base_b, .Lfunc_end241-_ZN9rocsparseL19gebsrmvn_2xn_kernelILj128ELj4ELj32E21rocsparse_complex_numIdEEEvi20rocsparse_direction_NS_24const_host_device_scalarIT2_EEPKiS8_PKS5_SA_S6_PS5_21rocsparse_index_base_b
                                        ; -- End function
	.section	.AMDGPU.csdata,"",@progbits
; Kernel info:
; codeLenInByte = 2956
; NumSgprs: 20
; NumVgprs: 74
; ScratchSize: 0
; MemoryBound: 1
; FloatMode: 240
; IeeeMode: 1
; LDSByteSize: 2048 bytes/workgroup (compile time only)
; SGPRBlocks: 2
; VGPRBlocks: 9
; NumSGPRsForWavesPerEU: 20
; NumVGPRsForWavesPerEU: 74
; Occupancy: 16
; WaveLimiterHint : 1
; COMPUTE_PGM_RSRC2:SCRATCH_EN: 0
; COMPUTE_PGM_RSRC2:USER_SGPR: 15
; COMPUTE_PGM_RSRC2:TRAP_HANDLER: 0
; COMPUTE_PGM_RSRC2:TGID_X_EN: 1
; COMPUTE_PGM_RSRC2:TGID_Y_EN: 0
; COMPUTE_PGM_RSRC2:TGID_Z_EN: 0
; COMPUTE_PGM_RSRC2:TIDIG_COMP_CNT: 2
	.section	.text._ZN9rocsparseL19gebsrmvn_2xn_kernelILj128ELj4ELj64E21rocsparse_complex_numIdEEEvi20rocsparse_direction_NS_24const_host_device_scalarIT2_EEPKiS8_PKS5_SA_S6_PS5_21rocsparse_index_base_b,"axG",@progbits,_ZN9rocsparseL19gebsrmvn_2xn_kernelILj128ELj4ELj64E21rocsparse_complex_numIdEEEvi20rocsparse_direction_NS_24const_host_device_scalarIT2_EEPKiS8_PKS5_SA_S6_PS5_21rocsparse_index_base_b,comdat
	.globl	_ZN9rocsparseL19gebsrmvn_2xn_kernelILj128ELj4ELj64E21rocsparse_complex_numIdEEEvi20rocsparse_direction_NS_24const_host_device_scalarIT2_EEPKiS8_PKS5_SA_S6_PS5_21rocsparse_index_base_b ; -- Begin function _ZN9rocsparseL19gebsrmvn_2xn_kernelILj128ELj4ELj64E21rocsparse_complex_numIdEEEvi20rocsparse_direction_NS_24const_host_device_scalarIT2_EEPKiS8_PKS5_SA_S6_PS5_21rocsparse_index_base_b
	.p2align	8
	.type	_ZN9rocsparseL19gebsrmvn_2xn_kernelILj128ELj4ELj64E21rocsparse_complex_numIdEEEvi20rocsparse_direction_NS_24const_host_device_scalarIT2_EEPKiS8_PKS5_SA_S6_PS5_21rocsparse_index_base_b,@function
_ZN9rocsparseL19gebsrmvn_2xn_kernelILj128ELj4ELj64E21rocsparse_complex_numIdEEEvi20rocsparse_direction_NS_24const_host_device_scalarIT2_EEPKiS8_PKS5_SA_S6_PS5_21rocsparse_index_base_b: ; @_ZN9rocsparseL19gebsrmvn_2xn_kernelILj128ELj4ELj64E21rocsparse_complex_numIdEEEvi20rocsparse_direction_NS_24const_host_device_scalarIT2_EEPKiS8_PKS5_SA_S6_PS5_21rocsparse_index_base_b
; %bb.0:
	s_load_b64 s[12:13], s[2:3], 0x50
	s_load_b64 s[16:17], s[0:1], 0x4
	s_load_b128 s[8:11], s[2:3], 0x8
	v_bfe_u32 v1, v0, 10, 10
	s_mov_b64 s[0:1], src_shared_base
	s_load_b128 s[4:7], s[2:3], 0x38
	v_and_b32_e32 v10, 0x3ff, v0
	v_bfe_u32 v0, v0, 20, 10
	s_waitcnt lgkmcnt(0)
	s_bitcmp1_b32 s13, 0
	v_mul_u32_u24_e32 v1, s17, v1
	s_cselect_b32 s0, -1, 0
	s_delay_alu instid0(SALU_CYCLE_1)
	s_and_b32 vcc_lo, s0, exec_lo
	s_cselect_b32 s13, s1, s9
	s_lshr_b32 s14, s16, 16
	v_dual_mov_b32 v2, s4 :: v_dual_mov_b32 v3, s5
	s_mul_i32 s14, s14, s17
	v_mov_b32_e32 v6, s13
	v_mad_u32_u24 v1, s14, v10, v1
	s_delay_alu instid0(VALU_DEP_1) | instskip(SKIP_1) | instid1(VALU_DEP_2)
	v_add_lshl_u32 v4, v1, v0, 3
	v_dual_mov_b32 v0, s8 :: v_dual_mov_b32 v1, s9
	v_add_nc_u32_e32 v5, 0x400, v4
	ds_store_2addr_stride64_b64 v4, v[2:3], v[0:1] offset1:2
	v_dual_mov_b32 v2, s10 :: v_dual_mov_b32 v3, s11
	v_cndmask_b32_e64 v5, s8, v5, s0
	s_xor_b32 s10, s0, -1
	flat_load_b64 v[0:1], v[5:6]
	s_cbranch_vccnz .LBB242_2
; %bb.1:
	v_dual_mov_b32 v2, s8 :: v_dual_mov_b32 v3, s9
	flat_load_b64 v[2:3], v[2:3] offset:8
.LBB242_2:
	s_and_b32 s8, s0, exec_lo
	s_cselect_b32 s1, s1, s5
	v_cndmask_b32_e64 v4, s4, v4, s0
	v_dual_mov_b32 v5, s1 :: v_dual_mov_b32 v6, s6
	v_mov_b32_e32 v7, s7
	s_and_not1_b32 vcc_lo, exec_lo, s10
	flat_load_b64 v[4:5], v[4:5]
	s_cbranch_vccnz .LBB242_4
; %bb.3:
	v_dual_mov_b32 v7, s5 :: v_dual_mov_b32 v6, s4
	flat_load_b64 v[6:7], v[6:7] offset:8
.LBB242_4:
	s_waitcnt vmcnt(1) lgkmcnt(1)
	v_cmp_eq_f64_e32 vcc_lo, 0, v[0:1]
	v_cmp_eq_f64_e64 s0, 0, v[2:3]
	s_delay_alu instid0(VALU_DEP_1)
	s_and_b32 s4, vcc_lo, s0
	s_mov_b32 s0, -1
	s_and_saveexec_b32 s1, s4
	s_cbranch_execz .LBB242_6
; %bb.5:
	s_waitcnt vmcnt(0) lgkmcnt(0)
	v_cmp_neq_f64_e32 vcc_lo, 1.0, v[4:5]
	v_cmp_neq_f64_e64 s0, 0, v[6:7]
	s_delay_alu instid0(VALU_DEP_1) | instskip(NEXT) | instid1(SALU_CYCLE_1)
	s_or_b32 s0, vcc_lo, s0
	s_or_not1_b32 s0, s0, exec_lo
.LBB242_6:
	s_or_b32 exec_lo, exec_lo, s1
	s_and_saveexec_b32 s1, s0
	s_cbranch_execz .LBB242_25
; %bb.7:
	s_load_b64 s[0:1], s[2:3], 0x0
	v_lshrrev_b32_e32 v8, 6, v10
	s_delay_alu instid0(VALU_DEP_1) | instskip(SKIP_1) | instid1(VALU_DEP_1)
	v_lshl_or_b32 v8, s15, 1, v8
	s_waitcnt lgkmcnt(0)
	v_cmp_gt_i32_e32 vcc_lo, s0, v8
	s_and_b32 exec_lo, exec_lo, vcc_lo
	s_cbranch_execz .LBB242_25
; %bb.8:
	s_load_b256 s[4:11], s[2:3], 0x18
	v_ashrrev_i32_e32 v9, 31, v8
	v_and_b32_e32 v25, 63, v10
	s_cmp_lg_u32 s1, 0
	s_delay_alu instid0(VALU_DEP_2) | instskip(SKIP_1) | instid1(VALU_DEP_1)
	v_lshlrev_b64 v[11:12], 2, v[8:9]
	s_waitcnt lgkmcnt(0)
	v_add_co_u32 v11, vcc_lo, s4, v11
	s_delay_alu instid0(VALU_DEP_2) | instskip(SKIP_4) | instid1(VALU_DEP_2)
	v_add_co_ci_u32_e32 v12, vcc_lo, s5, v12, vcc_lo
	global_load_b64 v[11:12], v[11:12], off
	s_waitcnt vmcnt(0)
	v_subrev_nc_u32_e32 v9, s12, v11
	v_subrev_nc_u32_e32 v23, s12, v12
	v_add_nc_u32_e32 v15, v9, v25
	s_delay_alu instid0(VALU_DEP_1)
	v_cmp_lt_i32_e64 s0, v15, v23
	s_cbranch_scc0 .LBB242_14
; %bb.9:
	v_mov_b32_e32 v9, 0
	v_mov_b32_e32 v10, 0
	s_delay_alu instid0(VALU_DEP_1)
	v_dual_mov_b32 v18, v10 :: v_dual_mov_b32 v17, v9
	v_dual_mov_b32 v12, v10 :: v_dual_mov_b32 v11, v9
	;; [unrolled: 1-line block ×3, first 2 shown]
	s_and_saveexec_b32 s1, s0
	s_cbranch_execz .LBB242_13
; %bb.10:
	v_dual_mov_b32 v9, 0 :: v_dual_mov_b32 v20, 0
	v_dual_mov_b32 v10, 0 :: v_dual_lshlrev_b32 v19, 3, v15
	v_mov_b32_e32 v21, v15
	s_mov_b32 s4, 0
	s_delay_alu instid0(VALU_DEP_2)
	v_dual_mov_b32 v18, v10 :: v_dual_mov_b32 v17, v9
	v_dual_mov_b32 v12, v10 :: v_dual_mov_b32 v11, v9
	;; [unrolled: 1-line block ×3, first 2 shown]
.LBB242_11:                             ; =>This Inner Loop Header: Depth=1
	v_ashrrev_i32_e32 v22, 31, v21
	s_delay_alu instid0(VALU_DEP_1) | instskip(SKIP_1) | instid1(VALU_DEP_2)
	v_lshlrev_b64 v[26:27], 2, v[21:22]
	v_add_nc_u32_e32 v21, 64, v21
	v_add_co_u32 v26, vcc_lo, s6, v26
	s_delay_alu instid0(VALU_DEP_3) | instskip(SKIP_3) | instid1(VALU_DEP_2)
	v_add_co_ci_u32_e32 v27, vcc_lo, s7, v27, vcc_lo
	global_load_b32 v16, v[26:27], off
	v_lshlrev_b64 v[26:27], 4, v[19:20]
	v_add_nc_u32_e32 v19, 0x200, v19
	v_add_co_u32 v70, vcc_lo, s8, v26
	s_delay_alu instid0(VALU_DEP_3) | instskip(SKIP_3) | instid1(VALU_DEP_1)
	v_add_co_ci_u32_e32 v71, vcc_lo, s9, v27, vcc_lo
	global_load_b128 v[26:29], v[70:71], off offset:16
	s_waitcnt vmcnt(1)
	v_subrev_nc_u32_e32 v16, s12, v16
	v_dual_mov_b32 v31, v20 :: v_dual_lshlrev_b32 v30, 2, v16
	s_delay_alu instid0(VALU_DEP_1) | instskip(NEXT) | instid1(VALU_DEP_1)
	v_lshlrev_b64 v[30:31], 4, v[30:31]
	v_add_co_u32 v62, vcc_lo, s10, v30
	s_delay_alu instid0(VALU_DEP_2)
	v_add_co_ci_u32_e32 v63, vcc_lo, s11, v31, vcc_lo
	v_cmp_ge_i32_e32 vcc_lo, v21, v23
	global_load_b128 v[30:33], v[70:71], off
	s_clause 0x1
	global_load_b128 v[34:37], v[62:63], off
	global_load_b128 v[38:41], v[62:63], off offset:16
	s_clause 0x3
	global_load_b128 v[42:45], v[70:71], off offset:32
	global_load_b128 v[46:49], v[70:71], off offset:48
	;; [unrolled: 1-line block ×4, first 2 shown]
	s_clause 0x1
	global_load_b128 v[58:61], v[62:63], off offset:32
	global_load_b128 v[62:65], v[62:63], off offset:48
	s_clause 0x1
	global_load_b128 v[66:69], v[70:71], off offset:96
	global_load_b128 v[70:73], v[70:71], off offset:112
	s_or_b32 s4, vcc_lo, s4
	s_waitcnt vmcnt(9)
	v_fma_f64 v[16:17], v[30:31], v[34:35], v[17:18]
	v_fma_f64 v[9:10], v[32:33], v[34:35], v[9:10]
	;; [unrolled: 1-line block ×4, first 2 shown]
	s_delay_alu instid0(VALU_DEP_4) | instskip(NEXT) | instid1(VALU_DEP_4)
	v_fma_f64 v[16:17], -v[32:33], v[36:37], v[16:17]
	v_fma_f64 v[9:10], v[30:31], v[36:37], v[9:10]
	s_delay_alu instid0(VALU_DEP_4) | instskip(NEXT) | instid1(VALU_DEP_4)
	v_fma_f64 v[11:12], -v[28:29], v[36:37], v[11:12]
	v_fma_f64 v[13:14], v[26:27], v[36:37], v[13:14]
	s_waitcnt vmcnt(7)
	s_delay_alu instid0(VALU_DEP_4) | instskip(NEXT) | instid1(VALU_DEP_4)
	v_fma_f64 v[16:17], v[42:43], v[38:39], v[16:17]
	v_fma_f64 v[9:10], v[44:45], v[38:39], v[9:10]
	s_waitcnt vmcnt(6)
	s_delay_alu instid0(VALU_DEP_4) | instskip(NEXT) | instid1(VALU_DEP_4)
	v_fma_f64 v[11:12], v[46:47], v[38:39], v[11:12]
	v_fma_f64 v[13:14], v[48:49], v[38:39], v[13:14]
	s_delay_alu instid0(VALU_DEP_4) | instskip(NEXT) | instid1(VALU_DEP_4)
	v_fma_f64 v[16:17], -v[44:45], v[40:41], v[16:17]
	v_fma_f64 v[9:10], v[42:43], v[40:41], v[9:10]
	s_delay_alu instid0(VALU_DEP_4) | instskip(NEXT) | instid1(VALU_DEP_4)
	v_fma_f64 v[11:12], -v[48:49], v[40:41], v[11:12]
	v_fma_f64 v[13:14], v[46:47], v[40:41], v[13:14]
	s_waitcnt vmcnt(3)
	s_delay_alu instid0(VALU_DEP_4) | instskip(NEXT) | instid1(VALU_DEP_4)
	v_fma_f64 v[16:17], v[54:55], v[58:59], v[16:17]
	v_fma_f64 v[9:10], v[56:57], v[58:59], v[9:10]
	s_delay_alu instid0(VALU_DEP_4) | instskip(NEXT) | instid1(VALU_DEP_4)
	v_fma_f64 v[11:12], v[50:51], v[58:59], v[11:12]
	v_fma_f64 v[13:14], v[52:53], v[58:59], v[13:14]
	s_delay_alu instid0(VALU_DEP_4) | instskip(NEXT) | instid1(VALU_DEP_4)
	v_fma_f64 v[16:17], -v[56:57], v[60:61], v[16:17]
	v_fma_f64 v[9:10], v[54:55], v[60:61], v[9:10]
	s_delay_alu instid0(VALU_DEP_4) | instskip(NEXT) | instid1(VALU_DEP_4)
	v_fma_f64 v[11:12], -v[52:53], v[60:61], v[11:12]
	v_fma_f64 v[13:14], v[50:51], v[60:61], v[13:14]
	s_waitcnt vmcnt(1)
	s_delay_alu instid0(VALU_DEP_4) | instskip(NEXT) | instid1(VALU_DEP_4)
	v_fma_f64 v[16:17], v[66:67], v[62:63], v[16:17]
	v_fma_f64 v[9:10], v[68:69], v[62:63], v[9:10]
	s_waitcnt vmcnt(0)
	s_delay_alu instid0(VALU_DEP_4) | instskip(NEXT) | instid1(VALU_DEP_4)
	v_fma_f64 v[11:12], v[70:71], v[62:63], v[11:12]
	v_fma_f64 v[13:14], v[72:73], v[62:63], v[13:14]
	s_delay_alu instid0(VALU_DEP_4) | instskip(NEXT) | instid1(VALU_DEP_4)
	v_fma_f64 v[17:18], -v[68:69], v[64:65], v[16:17]
	v_fma_f64 v[9:10], v[66:67], v[64:65], v[9:10]
	s_delay_alu instid0(VALU_DEP_4) | instskip(NEXT) | instid1(VALU_DEP_4)
	v_fma_f64 v[11:12], -v[72:73], v[64:65], v[11:12]
	v_fma_f64 v[13:14], v[70:71], v[64:65], v[13:14]
	s_and_not1_b32 exec_lo, exec_lo, s4
	s_cbranch_execnz .LBB242_11
; %bb.12:
	s_or_b32 exec_lo, exec_lo, s4
.LBB242_13:
	s_delay_alu instid0(SALU_CYCLE_1)
	s_or_b32 exec_lo, exec_lo, s1
	s_cbranch_execz .LBB242_15
	s_branch .LBB242_20
.LBB242_14:
                                        ; implicit-def: $vgpr9_vgpr10
                                        ; implicit-def: $vgpr17_vgpr18
                                        ; implicit-def: $vgpr11_vgpr12
                                        ; implicit-def: $vgpr13_vgpr14
.LBB242_15:
	v_mov_b32_e32 v9, 0
	v_mov_b32_e32 v10, 0
	s_delay_alu instid0(VALU_DEP_1)
	v_dual_mov_b32 v18, v10 :: v_dual_mov_b32 v17, v9
	v_dual_mov_b32 v12, v10 :: v_dual_mov_b32 v11, v9
	;; [unrolled: 1-line block ×3, first 2 shown]
	s_and_saveexec_b32 s1, s0
	s_cbranch_execz .LBB242_19
; %bb.16:
	v_dual_mov_b32 v9, 0 :: v_dual_mov_b32 v20, 0
	v_dual_mov_b32 v10, 0 :: v_dual_lshlrev_b32 v19, 3, v15
	s_mov_b32 s0, 0
	s_delay_alu instid0(VALU_DEP_1)
	v_dual_mov_b32 v18, v10 :: v_dual_mov_b32 v17, v9
	v_dual_mov_b32 v12, v10 :: v_dual_mov_b32 v11, v9
	;; [unrolled: 1-line block ×3, first 2 shown]
.LBB242_17:                             ; =>This Inner Loop Header: Depth=1
	v_ashrrev_i32_e32 v16, 31, v15
	s_delay_alu instid0(VALU_DEP_1) | instskip(SKIP_1) | instid1(VALU_DEP_2)
	v_lshlrev_b64 v[21:22], 2, v[15:16]
	v_add_nc_u32_e32 v15, 64, v15
	v_add_co_u32 v21, vcc_lo, s6, v21
	s_delay_alu instid0(VALU_DEP_3) | instskip(SKIP_3) | instid1(VALU_DEP_2)
	v_add_co_ci_u32_e32 v22, vcc_lo, s7, v22, vcc_lo
	global_load_b32 v16, v[21:22], off
	v_lshlrev_b64 v[21:22], 4, v[19:20]
	v_add_nc_u32_e32 v19, 0x200, v19
	v_add_co_u32 v21, vcc_lo, s8, v21
	s_delay_alu instid0(VALU_DEP_3)
	v_add_co_ci_u32_e32 v22, vcc_lo, s9, v22, vcc_lo
	s_clause 0x2
	global_load_b128 v[26:29], v[21:22], off offset:16
	global_load_b128 v[30:33], v[21:22], off
	global_load_b128 v[34:37], v[21:22], off offset:80
	s_waitcnt vmcnt(3)
	v_subrev_nc_u32_e32 v16, s12, v16
	s_delay_alu instid0(VALU_DEP_1) | instskip(NEXT) | instid1(VALU_DEP_1)
	v_dual_mov_b32 v39, v20 :: v_dual_lshlrev_b32 v38, 2, v16
	v_lshlrev_b64 v[38:39], 4, v[38:39]
	s_delay_alu instid0(VALU_DEP_1) | instskip(NEXT) | instid1(VALU_DEP_2)
	v_add_co_u32 v70, vcc_lo, s10, v38
	v_add_co_ci_u32_e32 v71, vcc_lo, s11, v39, vcc_lo
	v_cmp_ge_i32_e32 vcc_lo, v15, v23
	global_load_b128 v[38:41], v[21:22], off offset:64
	s_clause 0x1
	global_load_b128 v[42:45], v[70:71], off
	global_load_b128 v[46:49], v[70:71], off offset:16
	s_clause 0x3
	global_load_b128 v[50:53], v[21:22], off offset:48
	global_load_b128 v[54:57], v[21:22], off offset:32
	;; [unrolled: 1-line block ×4, first 2 shown]
	s_clause 0x1
	global_load_b128 v[66:69], v[70:71], off offset:32
	global_load_b128 v[70:73], v[70:71], off offset:48
	s_or_b32 s0, vcc_lo, s0
	s_waitcnt vmcnt(7)
	v_fma_f64 v[16:17], v[30:31], v[42:43], v[17:18]
	v_fma_f64 v[9:10], v[32:33], v[42:43], v[9:10]
	v_fma_f64 v[11:12], v[38:39], v[42:43], v[11:12]
	v_fma_f64 v[13:14], v[40:41], v[42:43], v[13:14]
	s_delay_alu instid0(VALU_DEP_4) | instskip(NEXT) | instid1(VALU_DEP_4)
	v_fma_f64 v[16:17], -v[32:33], v[44:45], v[16:17]
	v_fma_f64 v[9:10], v[30:31], v[44:45], v[9:10]
	s_delay_alu instid0(VALU_DEP_4) | instskip(NEXT) | instid1(VALU_DEP_4)
	v_fma_f64 v[11:12], -v[40:41], v[44:45], v[11:12]
	v_fma_f64 v[13:14], v[38:39], v[44:45], v[13:14]
	s_waitcnt vmcnt(6)
	s_delay_alu instid0(VALU_DEP_4) | instskip(NEXT) | instid1(VALU_DEP_4)
	v_fma_f64 v[16:17], v[26:27], v[46:47], v[16:17]
	v_fma_f64 v[9:10], v[28:29], v[46:47], v[9:10]
	s_delay_alu instid0(VALU_DEP_4) | instskip(NEXT) | instid1(VALU_DEP_4)
	v_fma_f64 v[11:12], v[34:35], v[46:47], v[11:12]
	v_fma_f64 v[13:14], v[36:37], v[46:47], v[13:14]
	s_delay_alu instid0(VALU_DEP_4) | instskip(NEXT) | instid1(VALU_DEP_4)
	v_fma_f64 v[16:17], -v[28:29], v[48:49], v[16:17]
	v_fma_f64 v[9:10], v[26:27], v[48:49], v[9:10]
	s_delay_alu instid0(VALU_DEP_4) | instskip(NEXT) | instid1(VALU_DEP_4)
	v_fma_f64 v[11:12], -v[36:37], v[48:49], v[11:12]
	v_fma_f64 v[13:14], v[34:35], v[48:49], v[13:14]
	s_waitcnt vmcnt(1)
	s_delay_alu instid0(VALU_DEP_4) | instskip(NEXT) | instid1(VALU_DEP_4)
	v_fma_f64 v[16:17], v[54:55], v[66:67], v[16:17]
	v_fma_f64 v[9:10], v[56:57], v[66:67], v[9:10]
	s_delay_alu instid0(VALU_DEP_4) | instskip(NEXT) | instid1(VALU_DEP_4)
	v_fma_f64 v[11:12], v[62:63], v[66:67], v[11:12]
	v_fma_f64 v[13:14], v[64:65], v[66:67], v[13:14]
	;; [unrolled: 13-line block ×3, first 2 shown]
	s_delay_alu instid0(VALU_DEP_4) | instskip(NEXT) | instid1(VALU_DEP_4)
	v_fma_f64 v[17:18], -v[52:53], v[72:73], v[16:17]
	v_fma_f64 v[9:10], v[50:51], v[72:73], v[9:10]
	s_delay_alu instid0(VALU_DEP_4) | instskip(NEXT) | instid1(VALU_DEP_4)
	v_fma_f64 v[11:12], -v[60:61], v[72:73], v[11:12]
	v_fma_f64 v[13:14], v[58:59], v[72:73], v[13:14]
	s_and_not1_b32 exec_lo, exec_lo, s0
	s_cbranch_execnz .LBB242_17
; %bb.18:
	s_or_b32 exec_lo, exec_lo, s0
.LBB242_19:
	s_delay_alu instid0(SALU_CYCLE_1)
	s_or_b32 exec_lo, exec_lo, s1
.LBB242_20:
	v_mbcnt_lo_u32_b32 v26, -1, 0
	s_delay_alu instid0(VALU_DEP_1) | instskip(NEXT) | instid1(VALU_DEP_1)
	v_or_b32_e32 v15, 32, v26
	v_cmp_gt_i32_e32 vcc_lo, 32, v15
	v_cndmask_b32_e32 v15, v26, v15, vcc_lo
	s_delay_alu instid0(VALU_DEP_1)
	v_lshlrev_b32_e32 v24, 2, v15
	ds_bpermute_b32 v15, v24, v17
	ds_bpermute_b32 v16, v24, v18
	s_waitcnt lgkmcnt(0)
	v_add_f64 v[15:16], v[17:18], v[15:16]
	v_xor_b32_e32 v17, 16, v26
	s_delay_alu instid0(VALU_DEP_1)
	v_cmp_gt_i32_e32 vcc_lo, 32, v17
	v_cndmask_b32_e32 v17, v26, v17, vcc_lo
	ds_bpermute_b32 v19, v24, v9
	ds_bpermute_b32 v20, v24, v10
	;; [unrolled: 1-line block ×6, first 2 shown]
	s_waitcnt lgkmcnt(4)
	v_add_f64 v[9:10], v[9:10], v[19:20]
	s_waitcnt lgkmcnt(2)
	v_add_f64 v[11:12], v[11:12], v[21:22]
	s_waitcnt lgkmcnt(0)
	v_add_f64 v[13:14], v[13:14], v[23:24]
	v_lshlrev_b32_e32 v24, 2, v17
	ds_bpermute_b32 v17, v24, v15
	ds_bpermute_b32 v18, v24, v16
	s_waitcnt lgkmcnt(0)
	v_add_f64 v[15:16], v[15:16], v[17:18]
	v_xor_b32_e32 v17, 8, v26
	s_delay_alu instid0(VALU_DEP_1)
	v_cmp_gt_i32_e32 vcc_lo, 32, v17
	ds_bpermute_b32 v19, v24, v9
	ds_bpermute_b32 v20, v24, v10
	;; [unrolled: 1-line block ×6, first 2 shown]
	v_cndmask_b32_e32 v17, v26, v17, vcc_lo
	s_waitcnt lgkmcnt(4)
	v_add_f64 v[9:10], v[9:10], v[19:20]
	s_waitcnt lgkmcnt(2)
	v_add_f64 v[11:12], v[11:12], v[21:22]
	;; [unrolled: 2-line block ×3, first 2 shown]
	v_lshlrev_b32_e32 v24, 2, v17
	ds_bpermute_b32 v17, v24, v15
	ds_bpermute_b32 v18, v24, v16
	s_waitcnt lgkmcnt(0)
	v_add_f64 v[15:16], v[15:16], v[17:18]
	v_xor_b32_e32 v17, 4, v26
	s_delay_alu instid0(VALU_DEP_1)
	v_cmp_gt_i32_e32 vcc_lo, 32, v17
	ds_bpermute_b32 v19, v24, v9
	ds_bpermute_b32 v20, v24, v10
	;; [unrolled: 1-line block ×6, first 2 shown]
	v_cndmask_b32_e32 v17, v26, v17, vcc_lo
	s_waitcnt lgkmcnt(4)
	v_add_f64 v[9:10], v[9:10], v[19:20]
	s_waitcnt lgkmcnt(2)
	v_add_f64 v[11:12], v[11:12], v[21:22]
	;; [unrolled: 2-line block ×3, first 2 shown]
	v_lshlrev_b32_e32 v24, 2, v17
	ds_bpermute_b32 v17, v24, v15
	ds_bpermute_b32 v18, v24, v16
	s_waitcnt lgkmcnt(0)
	v_add_f64 v[15:16], v[15:16], v[17:18]
	ds_bpermute_b32 v19, v24, v9
	ds_bpermute_b32 v20, v24, v10
	;; [unrolled: 1-line block ×6, first 2 shown]
	s_waitcnt lgkmcnt(4)
	v_add_f64 v[17:18], v[9:10], v[19:20]
	v_xor_b32_e32 v9, 2, v26
	s_waitcnt lgkmcnt(2)
	v_add_f64 v[11:12], v[11:12], v[21:22]
	s_waitcnt lgkmcnt(0)
	v_add_f64 v[13:14], v[13:14], v[23:24]
	v_cmp_gt_i32_e32 vcc_lo, 32, v9
	v_cndmask_b32_e32 v9, v26, v9, vcc_lo
	s_delay_alu instid0(VALU_DEP_1)
	v_lshlrev_b32_e32 v24, 2, v9
	ds_bpermute_b32 v9, v24, v15
	ds_bpermute_b32 v10, v24, v16
	;; [unrolled: 1-line block ×8, first 2 shown]
	s_waitcnt lgkmcnt(6)
	v_add_f64 v[9:10], v[15:16], v[9:10]
	s_waitcnt lgkmcnt(4)
	v_add_f64 v[15:16], v[17:18], v[19:20]
	v_xor_b32_e32 v17, 1, v26
	s_waitcnt lgkmcnt(2)
	v_add_f64 v[11:12], v[11:12], v[21:22]
	s_waitcnt lgkmcnt(0)
	v_add_f64 v[13:14], v[13:14], v[23:24]
	v_cmp_gt_i32_e32 vcc_lo, 32, v17
	v_cndmask_b32_e32 v17, v26, v17, vcc_lo
	v_cmp_eq_u32_e32 vcc_lo, 63, v25
	s_delay_alu instid0(VALU_DEP_2)
	v_lshlrev_b32_e32 v20, 2, v17
	ds_bpermute_b32 v23, v20, v9
	ds_bpermute_b32 v24, v20, v10
	;; [unrolled: 1-line block ×8, first 2 shown]
	s_and_b32 exec_lo, exec_lo, vcc_lo
	s_cbranch_execz .LBB242_25
; %bb.21:
	v_cmp_eq_f64_e32 vcc_lo, 0, v[4:5]
	v_cmp_eq_f64_e64 s0, 0, v[6:7]
	s_waitcnt lgkmcnt(6)
	v_add_f64 v[9:10], v[9:10], v[23:24]
	s_waitcnt lgkmcnt(4)
	v_add_f64 v[15:16], v[15:16], v[21:22]
	;; [unrolled: 2-line block ×4, first 2 shown]
	s_load_b64 s[2:3], s[2:3], 0x48
	s_and_b32 s0, vcc_lo, s0
	s_delay_alu instid0(SALU_CYCLE_1) | instskip(NEXT) | instid1(SALU_CYCLE_1)
	s_and_saveexec_b32 s1, s0
	s_xor_b32 s0, exec_lo, s1
	s_cbranch_execz .LBB242_23
; %bb.22:
	s_delay_alu instid0(VALU_DEP_3) | instskip(SKIP_1) | instid1(VALU_DEP_3)
	v_mul_f64 v[4:5], v[15:16], -v[2:3]
	v_mul_f64 v[6:7], v[0:1], v[15:16]
	v_mul_f64 v[15:16], v[13:14], -v[2:3]
	v_mul_f64 v[13:14], v[0:1], v[13:14]
	v_lshlrev_b32_e32 v8, 1, v8
	v_fma_f64 v[4:5], v[0:1], v[9:10], v[4:5]
	v_fma_f64 v[6:7], v[2:3], v[9:10], v[6:7]
	;; [unrolled: 1-line block ×4, first 2 shown]
	v_ashrrev_i32_e32 v9, 31, v8
                                        ; implicit-def: $vgpr15_vgpr16
                                        ; implicit-def: $vgpr11_vgpr12
                                        ; implicit-def: $vgpr13_vgpr14
	s_delay_alu instid0(VALU_DEP_1) | instskip(SKIP_1) | instid1(VALU_DEP_1)
	v_lshlrev_b64 v[8:9], 4, v[8:9]
	s_waitcnt lgkmcnt(0)
	v_add_co_u32 v8, vcc_lo, s2, v8
	s_delay_alu instid0(VALU_DEP_2)
	v_add_co_ci_u32_e32 v9, vcc_lo, s3, v9, vcc_lo
	s_clause 0x1
	global_store_b128 v[8:9], v[4:7], off
	global_store_b128 v[8:9], v[0:3], off offset:16
                                        ; implicit-def: $vgpr0_vgpr1
                                        ; implicit-def: $vgpr2_vgpr3
                                        ; implicit-def: $vgpr4_vgpr5
                                        ; implicit-def: $vgpr6_vgpr7
                                        ; implicit-def: $vgpr8
                                        ; implicit-def: $vgpr9_vgpr10
.LBB242_23:
	s_and_not1_saveexec_b32 s0, s0
	s_cbranch_execz .LBB242_25
; %bb.24:
	v_lshlrev_b32_e32 v17, 1, v8
	s_delay_alu instid0(VALU_DEP_4) | instskip(SKIP_1) | instid1(VALU_DEP_4)
	v_mul_f64 v[27:28], v[15:16], -v[2:3]
	v_mul_f64 v[15:16], v[0:1], v[15:16]
	v_mul_f64 v[29:30], v[13:14], -v[2:3]
	v_mul_f64 v[13:14], v[0:1], v[13:14]
	v_ashrrev_i32_e32 v18, 31, v17
	s_delay_alu instid0(VALU_DEP_1) | instskip(SKIP_1) | instid1(VALU_DEP_1)
	v_lshlrev_b64 v[17:18], 4, v[17:18]
	s_waitcnt lgkmcnt(0)
	v_add_co_u32 v25, vcc_lo, s2, v17
	s_delay_alu instid0(VALU_DEP_2)
	v_add_co_ci_u32_e32 v26, vcc_lo, s3, v18, vcc_lo
	s_clause 0x1
	global_load_b128 v[17:20], v[25:26], off
	global_load_b128 v[21:24], v[25:26], off offset:16
	v_fma_f64 v[27:28], v[0:1], v[9:10], v[27:28]
	v_fma_f64 v[8:9], v[2:3], v[9:10], v[15:16]
	v_fma_f64 v[0:1], v[0:1], v[11:12], v[29:30]
	v_fma_f64 v[2:3], v[2:3], v[11:12], v[13:14]
	s_waitcnt vmcnt(1)
	s_delay_alu instid0(VALU_DEP_4) | instskip(NEXT) | instid1(VALU_DEP_4)
	v_fma_f64 v[10:11], v[4:5], v[17:18], v[27:28]
	v_fma_f64 v[8:9], v[6:7], v[17:18], v[8:9]
	s_waitcnt vmcnt(0)
	s_delay_alu instid0(VALU_DEP_4) | instskip(NEXT) | instid1(VALU_DEP_4)
	v_fma_f64 v[12:13], v[4:5], v[21:22], v[0:1]
	v_fma_f64 v[14:15], v[6:7], v[21:22], v[2:3]
	s_delay_alu instid0(VALU_DEP_4) | instskip(NEXT) | instid1(VALU_DEP_4)
	v_fma_f64 v[0:1], -v[6:7], v[19:20], v[10:11]
	v_fma_f64 v[2:3], v[4:5], v[19:20], v[8:9]
	s_delay_alu instid0(VALU_DEP_4) | instskip(NEXT) | instid1(VALU_DEP_4)
	v_fma_f64 v[6:7], -v[6:7], v[23:24], v[12:13]
	v_fma_f64 v[8:9], v[4:5], v[23:24], v[14:15]
	s_clause 0x1
	global_store_b128 v[25:26], v[0:3], off
	global_store_b128 v[25:26], v[6:9], off offset:16
.LBB242_25:
	s_nop 0
	s_sendmsg sendmsg(MSG_DEALLOC_VGPRS)
	s_endpgm
	.section	.rodata,"a",@progbits
	.p2align	6, 0x0
	.amdhsa_kernel _ZN9rocsparseL19gebsrmvn_2xn_kernelILj128ELj4ELj64E21rocsparse_complex_numIdEEEvi20rocsparse_direction_NS_24const_host_device_scalarIT2_EEPKiS8_PKS5_SA_S6_PS5_21rocsparse_index_base_b
		.amdhsa_group_segment_fixed_size 2048
		.amdhsa_private_segment_fixed_size 0
		.amdhsa_kernarg_size 88
		.amdhsa_user_sgpr_count 15
		.amdhsa_user_sgpr_dispatch_ptr 1
		.amdhsa_user_sgpr_queue_ptr 0
		.amdhsa_user_sgpr_kernarg_segment_ptr 1
		.amdhsa_user_sgpr_dispatch_id 0
		.amdhsa_user_sgpr_private_segment_size 0
		.amdhsa_wavefront_size32 1
		.amdhsa_uses_dynamic_stack 0
		.amdhsa_enable_private_segment 0
		.amdhsa_system_sgpr_workgroup_id_x 1
		.amdhsa_system_sgpr_workgroup_id_y 0
		.amdhsa_system_sgpr_workgroup_id_z 0
		.amdhsa_system_sgpr_workgroup_info 0
		.amdhsa_system_vgpr_workitem_id 2
		.amdhsa_next_free_vgpr 74
		.amdhsa_next_free_sgpr 18
		.amdhsa_reserve_vcc 1
		.amdhsa_float_round_mode_32 0
		.amdhsa_float_round_mode_16_64 0
		.amdhsa_float_denorm_mode_32 3
		.amdhsa_float_denorm_mode_16_64 3
		.amdhsa_dx10_clamp 1
		.amdhsa_ieee_mode 1
		.amdhsa_fp16_overflow 0
		.amdhsa_workgroup_processor_mode 1
		.amdhsa_memory_ordered 1
		.amdhsa_forward_progress 0
		.amdhsa_shared_vgpr_count 0
		.amdhsa_exception_fp_ieee_invalid_op 0
		.amdhsa_exception_fp_denorm_src 0
		.amdhsa_exception_fp_ieee_div_zero 0
		.amdhsa_exception_fp_ieee_overflow 0
		.amdhsa_exception_fp_ieee_underflow 0
		.amdhsa_exception_fp_ieee_inexact 0
		.amdhsa_exception_int_div_zero 0
	.end_amdhsa_kernel
	.section	.text._ZN9rocsparseL19gebsrmvn_2xn_kernelILj128ELj4ELj64E21rocsparse_complex_numIdEEEvi20rocsparse_direction_NS_24const_host_device_scalarIT2_EEPKiS8_PKS5_SA_S6_PS5_21rocsparse_index_base_b,"axG",@progbits,_ZN9rocsparseL19gebsrmvn_2xn_kernelILj128ELj4ELj64E21rocsparse_complex_numIdEEEvi20rocsparse_direction_NS_24const_host_device_scalarIT2_EEPKiS8_PKS5_SA_S6_PS5_21rocsparse_index_base_b,comdat
.Lfunc_end242:
	.size	_ZN9rocsparseL19gebsrmvn_2xn_kernelILj128ELj4ELj64E21rocsparse_complex_numIdEEEvi20rocsparse_direction_NS_24const_host_device_scalarIT2_EEPKiS8_PKS5_SA_S6_PS5_21rocsparse_index_base_b, .Lfunc_end242-_ZN9rocsparseL19gebsrmvn_2xn_kernelILj128ELj4ELj64E21rocsparse_complex_numIdEEEvi20rocsparse_direction_NS_24const_host_device_scalarIT2_EEPKiS8_PKS5_SA_S6_PS5_21rocsparse_index_base_b
                                        ; -- End function
	.section	.AMDGPU.csdata,"",@progbits
; Kernel info:
; codeLenInByte = 3088
; NumSgprs: 20
; NumVgprs: 74
; ScratchSize: 0
; MemoryBound: 1
; FloatMode: 240
; IeeeMode: 1
; LDSByteSize: 2048 bytes/workgroup (compile time only)
; SGPRBlocks: 2
; VGPRBlocks: 9
; NumSGPRsForWavesPerEU: 20
; NumVGPRsForWavesPerEU: 74
; Occupancy: 16
; WaveLimiterHint : 1
; COMPUTE_PGM_RSRC2:SCRATCH_EN: 0
; COMPUTE_PGM_RSRC2:USER_SGPR: 15
; COMPUTE_PGM_RSRC2:TRAP_HANDLER: 0
; COMPUTE_PGM_RSRC2:TGID_X_EN: 1
; COMPUTE_PGM_RSRC2:TGID_Y_EN: 0
; COMPUTE_PGM_RSRC2:TGID_Z_EN: 0
; COMPUTE_PGM_RSRC2:TIDIG_COMP_CNT: 2
	.section	.text._ZN9rocsparseL19gebsrmvn_2xn_kernelILj128ELj5ELj4E21rocsparse_complex_numIdEEEvi20rocsparse_direction_NS_24const_host_device_scalarIT2_EEPKiS8_PKS5_SA_S6_PS5_21rocsparse_index_base_b,"axG",@progbits,_ZN9rocsparseL19gebsrmvn_2xn_kernelILj128ELj5ELj4E21rocsparse_complex_numIdEEEvi20rocsparse_direction_NS_24const_host_device_scalarIT2_EEPKiS8_PKS5_SA_S6_PS5_21rocsparse_index_base_b,comdat
	.globl	_ZN9rocsparseL19gebsrmvn_2xn_kernelILj128ELj5ELj4E21rocsparse_complex_numIdEEEvi20rocsparse_direction_NS_24const_host_device_scalarIT2_EEPKiS8_PKS5_SA_S6_PS5_21rocsparse_index_base_b ; -- Begin function _ZN9rocsparseL19gebsrmvn_2xn_kernelILj128ELj5ELj4E21rocsparse_complex_numIdEEEvi20rocsparse_direction_NS_24const_host_device_scalarIT2_EEPKiS8_PKS5_SA_S6_PS5_21rocsparse_index_base_b
	.p2align	8
	.type	_ZN9rocsparseL19gebsrmvn_2xn_kernelILj128ELj5ELj4E21rocsparse_complex_numIdEEEvi20rocsparse_direction_NS_24const_host_device_scalarIT2_EEPKiS8_PKS5_SA_S6_PS5_21rocsparse_index_base_b,@function
_ZN9rocsparseL19gebsrmvn_2xn_kernelILj128ELj5ELj4E21rocsparse_complex_numIdEEEvi20rocsparse_direction_NS_24const_host_device_scalarIT2_EEPKiS8_PKS5_SA_S6_PS5_21rocsparse_index_base_b: ; @_ZN9rocsparseL19gebsrmvn_2xn_kernelILj128ELj5ELj4E21rocsparse_complex_numIdEEEvi20rocsparse_direction_NS_24const_host_device_scalarIT2_EEPKiS8_PKS5_SA_S6_PS5_21rocsparse_index_base_b
; %bb.0:
	s_load_b64 s[12:13], s[2:3], 0x50
	s_load_b64 s[16:17], s[0:1], 0x4
	s_load_b128 s[8:11], s[2:3], 0x8
	v_bfe_u32 v1, v0, 10, 10
	s_mov_b64 s[0:1], src_shared_base
	s_load_b128 s[4:7], s[2:3], 0x38
	v_and_b32_e32 v10, 0x3ff, v0
	v_bfe_u32 v0, v0, 20, 10
	s_waitcnt lgkmcnt(0)
	s_bitcmp1_b32 s13, 0
	v_mul_u32_u24_e32 v1, s17, v1
	s_cselect_b32 s0, -1, 0
	s_delay_alu instid0(SALU_CYCLE_1)
	s_and_b32 vcc_lo, s0, exec_lo
	s_cselect_b32 s13, s1, s9
	s_lshr_b32 s14, s16, 16
	v_dual_mov_b32 v2, s4 :: v_dual_mov_b32 v3, s5
	s_mul_i32 s14, s14, s17
	v_mov_b32_e32 v6, s13
	v_mad_u32_u24 v1, s14, v10, v1
	s_delay_alu instid0(VALU_DEP_1) | instskip(SKIP_1) | instid1(VALU_DEP_2)
	v_add_lshl_u32 v4, v1, v0, 3
	v_dual_mov_b32 v0, s8 :: v_dual_mov_b32 v1, s9
	v_add_nc_u32_e32 v5, 0x400, v4
	ds_store_2addr_stride64_b64 v4, v[2:3], v[0:1] offset1:2
	v_dual_mov_b32 v2, s10 :: v_dual_mov_b32 v3, s11
	v_cndmask_b32_e64 v5, s8, v5, s0
	s_xor_b32 s10, s0, -1
	flat_load_b64 v[0:1], v[5:6]
	s_cbranch_vccnz .LBB243_2
; %bb.1:
	v_dual_mov_b32 v2, s8 :: v_dual_mov_b32 v3, s9
	flat_load_b64 v[2:3], v[2:3] offset:8
.LBB243_2:
	s_and_b32 s8, s0, exec_lo
	s_cselect_b32 s1, s1, s5
	v_cndmask_b32_e64 v4, s4, v4, s0
	v_dual_mov_b32 v5, s1 :: v_dual_mov_b32 v6, s6
	v_mov_b32_e32 v7, s7
	s_and_not1_b32 vcc_lo, exec_lo, s10
	flat_load_b64 v[4:5], v[4:5]
	s_cbranch_vccnz .LBB243_4
; %bb.3:
	v_dual_mov_b32 v7, s5 :: v_dual_mov_b32 v6, s4
	flat_load_b64 v[6:7], v[6:7] offset:8
.LBB243_4:
	s_waitcnt vmcnt(1) lgkmcnt(1)
	v_cmp_eq_f64_e32 vcc_lo, 0, v[0:1]
	v_cmp_eq_f64_e64 s0, 0, v[2:3]
	s_delay_alu instid0(VALU_DEP_1)
	s_and_b32 s4, vcc_lo, s0
	s_mov_b32 s0, -1
	s_and_saveexec_b32 s1, s4
	s_cbranch_execz .LBB243_6
; %bb.5:
	s_waitcnt vmcnt(0) lgkmcnt(0)
	v_cmp_neq_f64_e32 vcc_lo, 1.0, v[4:5]
	v_cmp_neq_f64_e64 s0, 0, v[6:7]
	s_delay_alu instid0(VALU_DEP_1) | instskip(NEXT) | instid1(SALU_CYCLE_1)
	s_or_b32 s0, vcc_lo, s0
	s_or_not1_b32 s0, s0, exec_lo
.LBB243_6:
	s_or_b32 exec_lo, exec_lo, s1
	s_and_saveexec_b32 s1, s0
	s_cbranch_execz .LBB243_25
; %bb.7:
	s_load_b64 s[0:1], s[2:3], 0x0
	v_lshrrev_b32_e32 v8, 2, v10
	s_delay_alu instid0(VALU_DEP_1) | instskip(SKIP_1) | instid1(VALU_DEP_1)
	v_lshl_or_b32 v8, s15, 5, v8
	s_waitcnt lgkmcnt(0)
	v_cmp_gt_i32_e32 vcc_lo, s0, v8
	s_and_b32 exec_lo, exec_lo, vcc_lo
	s_cbranch_execz .LBB243_25
; %bb.8:
	s_load_b256 s[4:11], s[2:3], 0x18
	v_ashrrev_i32_e32 v9, 31, v8
	v_and_b32_e32 v25, 3, v10
	s_cmp_lg_u32 s1, 0
	s_delay_alu instid0(VALU_DEP_2) | instskip(SKIP_1) | instid1(VALU_DEP_1)
	v_lshlrev_b64 v[11:12], 2, v[8:9]
	s_waitcnt lgkmcnt(0)
	v_add_co_u32 v11, vcc_lo, s4, v11
	s_delay_alu instid0(VALU_DEP_2) | instskip(SKIP_4) | instid1(VALU_DEP_2)
	v_add_co_ci_u32_e32 v12, vcc_lo, s5, v12, vcc_lo
	global_load_b64 v[11:12], v[11:12], off
	s_waitcnt vmcnt(0)
	v_subrev_nc_u32_e32 v9, s12, v11
	v_subrev_nc_u32_e32 v24, s12, v12
	v_add_nc_u32_e32 v9, v9, v25
	s_delay_alu instid0(VALU_DEP_1)
	v_cmp_lt_i32_e64 s0, v9, v24
	s_cbranch_scc0 .LBB243_14
; %bb.9:
	v_mov_b32_e32 v11, 0
	v_mov_b32_e32 v12, 0
	s_delay_alu instid0(VALU_DEP_1)
	v_dual_mov_b32 v14, v12 :: v_dual_mov_b32 v13, v11
	v_dual_mov_b32 v16, v12 :: v_dual_mov_b32 v15, v11
	;; [unrolled: 1-line block ×3, first 2 shown]
	s_and_saveexec_b32 s1, s0
	s_cbranch_execz .LBB243_13
; %bb.10:
	v_dual_mov_b32 v11, 0 :: v_dual_mov_b32 v22, v9
	v_dual_mov_b32 v12, 0 :: v_dual_mov_b32 v21, 0
	v_mad_u64_u32 v[19:20], null, v9, 10, 8
	s_mov_b32 s4, 0
	s_delay_alu instid0(VALU_DEP_2)
	v_dual_mov_b32 v14, v12 :: v_dual_mov_b32 v13, v11
	v_dual_mov_b32 v16, v12 :: v_dual_mov_b32 v15, v11
	;; [unrolled: 1-line block ×3, first 2 shown]
.LBB243_11:                             ; =>This Inner Loop Header: Depth=1
	v_ashrrev_i32_e32 v23, 31, v22
	v_dual_mov_b32 v79, v21 :: v_dual_add_nc_u32 v20, -8, v19
	s_delay_alu instid0(VALU_DEP_2) | instskip(SKIP_1) | instid1(VALU_DEP_2)
	v_lshlrev_b64 v[26:27], 2, v[22:23]
	v_add_nc_u32_e32 v22, 4, v22
	v_add_co_u32 v26, vcc_lo, s6, v26
	s_delay_alu instid0(VALU_DEP_3) | instskip(SKIP_3) | instid1(VALU_DEP_1)
	v_add_co_ci_u32_e32 v27, vcc_lo, s7, v27, vcc_lo
	global_load_b32 v10, v[26:27], off
	v_lshlrev_b64 v[26:27], 4, v[20:21]
	v_add_nc_u32_e32 v20, -6, v19
	v_lshlrev_b64 v[38:39], 4, v[20:21]
	s_delay_alu instid0(VALU_DEP_3) | instskip(NEXT) | instid1(VALU_DEP_4)
	v_add_co_u32 v30, vcc_lo, s8, v26
	v_add_co_ci_u32_e32 v31, vcc_lo, s9, v27, vcc_lo
	global_load_b128 v[26:29], v[30:31], off offset:16
	s_waitcnt vmcnt(1)
	v_subrev_nc_u32_e32 v10, s12, v10
	s_delay_alu instid0(VALU_DEP_1) | instskip(NEXT) | instid1(VALU_DEP_1)
	v_lshl_add_u32 v78, v10, 2, v10
	v_lshlrev_b64 v[32:33], 4, v[78:79]
	v_add_nc_u32_e32 v20, 1, v78
	s_delay_alu instid0(VALU_DEP_1) | instskip(NEXT) | instid1(VALU_DEP_3)
	v_lshlrev_b64 v[44:45], 4, v[20:21]
	v_add_co_u32 v34, vcc_lo, s10, v32
	s_delay_alu instid0(VALU_DEP_4)
	v_add_co_ci_u32_e32 v35, vcc_lo, s11, v33, vcc_lo
	v_add_co_u32 v42, vcc_lo, s8, v38
	global_load_b128 v[30:33], v[30:31], off
	global_load_b128 v[34:37], v[34:35], off
	v_add_co_ci_u32_e32 v43, vcc_lo, s9, v39, vcc_lo
	v_add_co_u32 v46, vcc_lo, s10, v44
	v_add_co_ci_u32_e32 v47, vcc_lo, s11, v45, vcc_lo
	s_clause 0x1
	global_load_b128 v[38:41], v[42:43], off offset:16
	global_load_b128 v[42:45], v[42:43], off
	global_load_b128 v[46:49], v[46:47], off
	v_add_nc_u32_e32 v20, -4, v19
	s_delay_alu instid0(VALU_DEP_1) | instskip(SKIP_1) | instid1(VALU_DEP_1)
	v_lshlrev_b64 v[50:51], 4, v[20:21]
	v_add_nc_u32_e32 v20, 2, v78
	v_lshlrev_b64 v[52:53], 4, v[20:21]
	s_delay_alu instid0(VALU_DEP_3) | instskip(NEXT) | instid1(VALU_DEP_4)
	v_add_co_u32 v54, vcc_lo, s8, v50
	v_add_co_ci_u32_e32 v55, vcc_lo, s9, v51, vcc_lo
	v_add_nc_u32_e32 v20, -2, v19
	s_delay_alu instid0(VALU_DEP_4)
	v_add_co_u32 v58, vcc_lo, s10, v52
	v_add_co_ci_u32_e32 v59, vcc_lo, s11, v53, vcc_lo
	s_clause 0x1
	global_load_b128 v[50:53], v[54:55], off offset:16
	global_load_b128 v[54:57], v[54:55], off
	global_load_b128 v[58:61], v[58:59], off
	v_lshlrev_b64 v[62:63], 4, v[20:21]
	v_add_nc_u32_e32 v20, 3, v78
	s_delay_alu instid0(VALU_DEP_1) | instskip(NEXT) | instid1(VALU_DEP_3)
	v_lshlrev_b64 v[64:65], 4, v[20:21]
	v_add_co_u32 v66, vcc_lo, s8, v62
	s_delay_alu instid0(VALU_DEP_4) | instskip(SKIP_1) | instid1(VALU_DEP_4)
	v_add_co_ci_u32_e32 v67, vcc_lo, s9, v63, vcc_lo
	v_mov_b32_e32 v20, v21
	v_add_co_u32 v70, vcc_lo, s10, v64
	v_add_co_ci_u32_e32 v71, vcc_lo, s11, v65, vcc_lo
	s_clause 0x1
	global_load_b128 v[62:65], v[66:67], off offset:16
	global_load_b128 v[66:69], v[66:67], off
	global_load_b128 v[70:73], v[70:71], off
	v_lshlrev_b64 v[74:75], 4, v[19:20]
	v_add_nc_u32_e32 v19, 40, v19
	v_add_nc_u32_e32 v20, 4, v78
	s_delay_alu instid0(VALU_DEP_3) | instskip(NEXT) | instid1(VALU_DEP_2)
	v_add_co_u32 v79, vcc_lo, s8, v74
	v_lshlrev_b64 v[81:82], 4, v[20:21]
	v_add_co_ci_u32_e32 v80, vcc_lo, s9, v75, vcc_lo
	s_delay_alu instid0(VALU_DEP_2) | instskip(NEXT) | instid1(VALU_DEP_3)
	v_add_co_u32 v83, vcc_lo, s10, v81
	v_add_co_ci_u32_e32 v84, vcc_lo, s11, v82, vcc_lo
	s_clause 0x1
	global_load_b128 v[74:77], v[79:80], off offset:16
	global_load_b128 v[78:81], v[79:80], off
	global_load_b128 v[82:85], v[83:84], off
	v_cmp_ge_i32_e32 vcc_lo, v22, v24
	s_or_b32 s4, vcc_lo, s4
	s_waitcnt vmcnt(12)
	v_fma_f64 v[13:14], v[30:31], v[34:35], v[13:14]
	v_fma_f64 v[10:11], v[32:33], v[34:35], v[11:12]
	;; [unrolled: 1-line block ×4, first 2 shown]
	s_delay_alu instid0(VALU_DEP_4) | instskip(NEXT) | instid1(VALU_DEP_4)
	v_fma_f64 v[12:13], -v[32:33], v[36:37], v[13:14]
	v_fma_f64 v[10:11], v[30:31], v[36:37], v[10:11]
	s_delay_alu instid0(VALU_DEP_4) | instskip(NEXT) | instid1(VALU_DEP_4)
	v_fma_f64 v[14:15], -v[28:29], v[36:37], v[15:16]
	v_fma_f64 v[16:17], v[26:27], v[36:37], v[17:18]
	s_waitcnt vmcnt(9)
	s_delay_alu instid0(VALU_DEP_4) | instskip(NEXT) | instid1(VALU_DEP_4)
	v_fma_f64 v[12:13], v[42:43], v[46:47], v[12:13]
	v_fma_f64 v[10:11], v[44:45], v[46:47], v[10:11]
	s_delay_alu instid0(VALU_DEP_4) | instskip(NEXT) | instid1(VALU_DEP_4)
	v_fma_f64 v[14:15], v[38:39], v[46:47], v[14:15]
	v_fma_f64 v[16:17], v[40:41], v[46:47], v[16:17]
	s_delay_alu instid0(VALU_DEP_4) | instskip(NEXT) | instid1(VALU_DEP_4)
	v_fma_f64 v[12:13], -v[44:45], v[48:49], v[12:13]
	v_fma_f64 v[10:11], v[42:43], v[48:49], v[10:11]
	s_delay_alu instid0(VALU_DEP_4) | instskip(NEXT) | instid1(VALU_DEP_4)
	v_fma_f64 v[14:15], -v[40:41], v[48:49], v[14:15]
	v_fma_f64 v[16:17], v[38:39], v[48:49], v[16:17]
	s_waitcnt vmcnt(6)
	s_delay_alu instid0(VALU_DEP_4) | instskip(NEXT) | instid1(VALU_DEP_4)
	v_fma_f64 v[12:13], v[54:55], v[58:59], v[12:13]
	v_fma_f64 v[10:11], v[56:57], v[58:59], v[10:11]
	s_delay_alu instid0(VALU_DEP_4) | instskip(NEXT) | instid1(VALU_DEP_4)
	v_fma_f64 v[14:15], v[50:51], v[58:59], v[14:15]
	v_fma_f64 v[16:17], v[52:53], v[58:59], v[16:17]
	;; [unrolled: 13-line block ×4, first 2 shown]
	s_delay_alu instid0(VALU_DEP_4) | instskip(NEXT) | instid1(VALU_DEP_4)
	v_fma_f64 v[13:14], -v[80:81], v[84:85], v[12:13]
	v_fma_f64 v[11:12], v[78:79], v[84:85], v[10:11]
	s_delay_alu instid0(VALU_DEP_4) | instskip(NEXT) | instid1(VALU_DEP_4)
	v_fma_f64 v[15:16], -v[76:77], v[84:85], v[26:27]
	v_fma_f64 v[17:18], v[74:75], v[84:85], v[17:18]
	s_and_not1_b32 exec_lo, exec_lo, s4
	s_cbranch_execnz .LBB243_11
; %bb.12:
	s_or_b32 exec_lo, exec_lo, s4
.LBB243_13:
	s_delay_alu instid0(SALU_CYCLE_1)
	s_or_b32 exec_lo, exec_lo, s1
	s_cbranch_execz .LBB243_15
	s_branch .LBB243_20
.LBB243_14:
                                        ; implicit-def: $vgpr11_vgpr12
                                        ; implicit-def: $vgpr13_vgpr14
                                        ; implicit-def: $vgpr15_vgpr16
                                        ; implicit-def: $vgpr17_vgpr18
.LBB243_15:
	v_mov_b32_e32 v11, 0
	v_mov_b32_e32 v12, 0
	s_delay_alu instid0(VALU_DEP_1)
	v_dual_mov_b32 v14, v12 :: v_dual_mov_b32 v13, v11
	v_dual_mov_b32 v16, v12 :: v_dual_mov_b32 v15, v11
	;; [unrolled: 1-line block ×3, first 2 shown]
	s_and_saveexec_b32 s1, s0
	s_cbranch_execz .LBB243_19
; %bb.16:
	v_mov_b32_e32 v11, 0
	v_dual_mov_b32 v12, 0 :: v_dual_mov_b32 v21, 0
	v_mad_u64_u32 v[19:20], null, v9, 10, 9
	s_mov_b32 s0, 0
	s_delay_alu instid0(VALU_DEP_2)
	v_dual_mov_b32 v14, v12 :: v_dual_mov_b32 v13, v11
	v_dual_mov_b32 v16, v12 :: v_dual_mov_b32 v15, v11
	;; [unrolled: 1-line block ×3, first 2 shown]
.LBB243_17:                             ; =>This Inner Loop Header: Depth=1
	v_ashrrev_i32_e32 v10, 31, v9
	v_dual_mov_b32 v79, v21 :: v_dual_add_nc_u32 v20, -9, v19
	s_delay_alu instid0(VALU_DEP_2) | instskip(NEXT) | instid1(VALU_DEP_2)
	v_lshlrev_b64 v[22:23], 2, v[9:10]
	v_lshlrev_b64 v[26:27], 4, v[20:21]
	v_add_nc_u32_e32 v9, 4, v9
	s_delay_alu instid0(VALU_DEP_3) | instskip(NEXT) | instid1(VALU_DEP_4)
	v_add_co_u32 v22, vcc_lo, s6, v22
	v_add_co_ci_u32_e32 v23, vcc_lo, s7, v23, vcc_lo
	s_delay_alu instid0(VALU_DEP_4)
	v_add_co_u32 v30, vcc_lo, s8, v26
	v_add_co_ci_u32_e32 v31, vcc_lo, s9, v27, vcc_lo
	global_load_b32 v10, v[22:23], off
	v_dual_mov_b32 v23, v21 :: v_dual_add_nc_u32 v22, -4, v19
	s_clause 0x1
	global_load_b128 v[26:29], v[30:31], off offset:16
	global_load_b128 v[30:33], v[30:31], off
	v_lshlrev_b64 v[22:23], 4, v[22:23]
	s_delay_alu instid0(VALU_DEP_1) | instskip(NEXT) | instid1(VALU_DEP_2)
	v_add_co_u32 v22, vcc_lo, s8, v22
	v_add_co_ci_u32_e32 v23, vcc_lo, s9, v23, vcc_lo
	s_waitcnt vmcnt(2)
	v_subrev_nc_u32_e32 v10, s12, v10
	s_delay_alu instid0(VALU_DEP_1) | instskip(NEXT) | instid1(VALU_DEP_1)
	v_lshl_add_u32 v78, v10, 2, v10
	v_lshlrev_b64 v[34:35], 4, v[78:79]
	v_add_nc_u32_e32 v20, 1, v78
	s_delay_alu instid0(VALU_DEP_2) | instskip(NEXT) | instid1(VALU_DEP_3)
	v_add_co_u32 v38, vcc_lo, s10, v34
	v_add_co_ci_u32_e32 v39, vcc_lo, s11, v35, vcc_lo
	global_load_b128 v[34:37], v[22:23], off
	global_load_b128 v[38:41], v[38:39], off
	v_lshlrev_b64 v[22:23], 4, v[20:21]
	v_add_nc_u32_e32 v20, -3, v19
	s_delay_alu instid0(VALU_DEP_1) | instskip(NEXT) | instid1(VALU_DEP_3)
	v_lshlrev_b64 v[42:43], 4, v[20:21]
	v_add_co_u32 v22, vcc_lo, s10, v22
	s_delay_alu instid0(VALU_DEP_4) | instskip(SKIP_1) | instid1(VALU_DEP_4)
	v_add_co_ci_u32_e32 v23, vcc_lo, s11, v23, vcc_lo
	v_add_nc_u32_e32 v20, -7, v19
	v_add_co_u32 v46, vcc_lo, s8, v42
	v_add_co_ci_u32_e32 v47, vcc_lo, s9, v43, vcc_lo
	global_load_b128 v[42:45], v[22:23], off
	global_load_b128 v[46:49], v[46:47], off
	v_lshlrev_b64 v[22:23], 4, v[20:21]
	v_add_nc_u32_e32 v20, 2, v78
	s_delay_alu instid0(VALU_DEP_1) | instskip(SKIP_1) | instid1(VALU_DEP_4)
	v_lshlrev_b64 v[50:51], 4, v[20:21]
	v_add_nc_u32_e32 v20, -2, v19
	v_add_co_u32 v22, vcc_lo, s8, v22
	v_add_co_ci_u32_e32 v23, vcc_lo, s9, v23, vcc_lo
	s_delay_alu instid0(VALU_DEP_3) | instskip(SKIP_3) | instid1(VALU_DEP_4)
	v_lshlrev_b64 v[52:53], 4, v[20:21]
	v_add_co_u32 v54, vcc_lo, s10, v50
	v_add_co_ci_u32_e32 v55, vcc_lo, s11, v51, vcc_lo
	v_add_nc_u32_e32 v20, -6, v19
	v_add_co_u32 v58, vcc_lo, s8, v52
	v_add_co_ci_u32_e32 v59, vcc_lo, s9, v53, vcc_lo
	global_load_b128 v[50:53], v[22:23], off
	global_load_b128 v[54:57], v[54:55], off
	;; [unrolled: 1-line block ×3, first 2 shown]
	v_lshlrev_b64 v[22:23], 4, v[20:21]
	v_add_nc_u32_e32 v20, 3, v78
	s_delay_alu instid0(VALU_DEP_1) | instskip(SKIP_1) | instid1(VALU_DEP_4)
	v_lshlrev_b64 v[62:63], 4, v[20:21]
	v_add_nc_u32_e32 v20, -1, v19
	v_add_co_u32 v22, vcc_lo, s8, v22
	v_add_co_ci_u32_e32 v23, vcc_lo, s9, v23, vcc_lo
	s_delay_alu instid0(VALU_DEP_3) | instskip(SKIP_3) | instid1(VALU_DEP_4)
	v_lshlrev_b64 v[64:65], 4, v[20:21]
	v_add_co_u32 v66, vcc_lo, s10, v62
	v_add_co_ci_u32_e32 v67, vcc_lo, s11, v63, vcc_lo
	v_mov_b32_e32 v20, v21
	v_add_co_u32 v70, vcc_lo, s8, v64
	v_add_co_ci_u32_e32 v71, vcc_lo, s9, v65, vcc_lo
	global_load_b128 v[62:65], v[22:23], off
	global_load_b128 v[66:69], v[66:67], off
	;; [unrolled: 1-line block ×3, first 2 shown]
	v_lshlrev_b64 v[22:23], 4, v[19:20]
	v_add_nc_u32_e32 v20, -5, v19
	v_add_nc_u32_e32 v19, 40, v19
	s_delay_alu instid0(VALU_DEP_3) | instskip(NEXT) | instid1(VALU_DEP_4)
	v_add_co_u32 v22, vcc_lo, s8, v22
	v_add_co_ci_u32_e32 v23, vcc_lo, s9, v23, vcc_lo
	global_load_b128 v[74:77], v[22:23], off
	v_lshlrev_b64 v[22:23], 4, v[20:21]
	v_add_nc_u32_e32 v20, 4, v78
	s_delay_alu instid0(VALU_DEP_1) | instskip(NEXT) | instid1(VALU_DEP_3)
	v_lshlrev_b64 v[78:79], 4, v[20:21]
	v_add_co_u32 v22, vcc_lo, s8, v22
	s_delay_alu instid0(VALU_DEP_4) | instskip(NEXT) | instid1(VALU_DEP_3)
	v_add_co_ci_u32_e32 v23, vcc_lo, s9, v23, vcc_lo
	v_add_co_u32 v82, vcc_lo, s10, v78
	s_delay_alu instid0(VALU_DEP_4)
	v_add_co_ci_u32_e32 v83, vcc_lo, s11, v79, vcc_lo
	global_load_b128 v[78:81], v[22:23], off
	global_load_b128 v[82:85], v[82:83], off
	v_cmp_ge_i32_e32 vcc_lo, v9, v24
	s_or_b32 s0, vcc_lo, s0
	s_waitcnt vmcnt(11)
	v_fma_f64 v[13:14], v[30:31], v[38:39], v[13:14]
	v_fma_f64 v[10:11], v[32:33], v[38:39], v[11:12]
	;; [unrolled: 1-line block ×4, first 2 shown]
	s_delay_alu instid0(VALU_DEP_4) | instskip(NEXT) | instid1(VALU_DEP_4)
	v_fma_f64 v[12:13], -v[32:33], v[40:41], v[13:14]
	v_fma_f64 v[10:11], v[30:31], v[40:41], v[10:11]
	s_delay_alu instid0(VALU_DEP_4) | instskip(NEXT) | instid1(VALU_DEP_4)
	v_fma_f64 v[14:15], -v[36:37], v[40:41], v[15:16]
	v_fma_f64 v[16:17], v[34:35], v[40:41], v[17:18]
	s_waitcnt vmcnt(10)
	s_delay_alu instid0(VALU_DEP_4) | instskip(NEXT) | instid1(VALU_DEP_4)
	v_fma_f64 v[12:13], v[26:27], v[42:43], v[12:13]
	v_fma_f64 v[10:11], v[28:29], v[42:43], v[10:11]
	s_waitcnt vmcnt(9)
	s_delay_alu instid0(VALU_DEP_4) | instskip(NEXT) | instid1(VALU_DEP_4)
	v_fma_f64 v[14:15], v[46:47], v[42:43], v[14:15]
	v_fma_f64 v[16:17], v[48:49], v[42:43], v[16:17]
	s_delay_alu instid0(VALU_DEP_4) | instskip(NEXT) | instid1(VALU_DEP_4)
	v_fma_f64 v[12:13], -v[28:29], v[44:45], v[12:13]
	v_fma_f64 v[10:11], v[26:27], v[44:45], v[10:11]
	s_delay_alu instid0(VALU_DEP_4) | instskip(NEXT) | instid1(VALU_DEP_4)
	v_fma_f64 v[14:15], -v[48:49], v[44:45], v[14:15]
	v_fma_f64 v[16:17], v[46:47], v[44:45], v[16:17]
	s_waitcnt vmcnt(7)
	s_delay_alu instid0(VALU_DEP_4) | instskip(NEXT) | instid1(VALU_DEP_4)
	v_fma_f64 v[12:13], v[50:51], v[54:55], v[12:13]
	v_fma_f64 v[10:11], v[52:53], v[54:55], v[10:11]
	s_waitcnt vmcnt(6)
	s_delay_alu instid0(VALU_DEP_4) | instskip(NEXT) | instid1(VALU_DEP_4)
	v_fma_f64 v[14:15], v[58:59], v[54:55], v[14:15]
	v_fma_f64 v[16:17], v[60:61], v[54:55], v[16:17]
	;; [unrolled: 14-line block ×3, first 2 shown]
	s_delay_alu instid0(VALU_DEP_4) | instskip(NEXT) | instid1(VALU_DEP_4)
	v_fma_f64 v[12:13], -v[64:65], v[68:69], v[12:13]
	v_fma_f64 v[10:11], v[62:63], v[68:69], v[10:11]
	s_delay_alu instid0(VALU_DEP_4) | instskip(NEXT) | instid1(VALU_DEP_4)
	v_fma_f64 v[14:15], -v[72:73], v[68:69], v[14:15]
	v_fma_f64 v[16:17], v[70:71], v[68:69], v[16:17]
	s_waitcnt vmcnt(0)
	s_delay_alu instid0(VALU_DEP_4) | instskip(NEXT) | instid1(VALU_DEP_4)
	v_fma_f64 v[12:13], v[78:79], v[82:83], v[12:13]
	v_fma_f64 v[10:11], v[80:81], v[82:83], v[10:11]
	s_delay_alu instid0(VALU_DEP_4) | instskip(NEXT) | instid1(VALU_DEP_4)
	v_fma_f64 v[22:23], v[74:75], v[82:83], v[14:15]
	v_fma_f64 v[17:18], v[76:77], v[82:83], v[16:17]
	s_delay_alu instid0(VALU_DEP_4) | instskip(NEXT) | instid1(VALU_DEP_4)
	v_fma_f64 v[13:14], -v[80:81], v[84:85], v[12:13]
	v_fma_f64 v[11:12], v[78:79], v[84:85], v[10:11]
	s_delay_alu instid0(VALU_DEP_4) | instskip(NEXT) | instid1(VALU_DEP_4)
	v_fma_f64 v[15:16], -v[76:77], v[84:85], v[22:23]
	v_fma_f64 v[17:18], v[74:75], v[84:85], v[17:18]
	s_and_not1_b32 exec_lo, exec_lo, s0
	s_cbranch_execnz .LBB243_17
; %bb.18:
	s_or_b32 exec_lo, exec_lo, s0
.LBB243_19:
	s_delay_alu instid0(SALU_CYCLE_1)
	s_or_b32 exec_lo, exec_lo, s1
.LBB243_20:
	v_mbcnt_lo_u32_b32 v26, -1, 0
	s_delay_alu instid0(VALU_DEP_1) | instskip(NEXT) | instid1(VALU_DEP_1)
	v_xor_b32_e32 v9, 2, v26
	v_cmp_gt_i32_e32 vcc_lo, 32, v9
	v_cndmask_b32_e32 v9, v26, v9, vcc_lo
	s_delay_alu instid0(VALU_DEP_1)
	v_lshlrev_b32_e32 v24, 2, v9
	ds_bpermute_b32 v19, v24, v11
	ds_bpermute_b32 v20, v24, v12
	;; [unrolled: 1-line block ×4, first 2 shown]
	s_waitcnt lgkmcnt(2)
	v_add_f64 v[19:20], v[11:12], v[19:20]
	s_waitcnt lgkmcnt(0)
	v_add_f64 v[11:12], v[15:16], v[21:22]
	v_xor_b32_e32 v15, 1, v26
	s_delay_alu instid0(VALU_DEP_1)
	v_cmp_gt_i32_e32 vcc_lo, 32, v15
	v_cndmask_b32_e32 v15, v26, v15, vcc_lo
	ds_bpermute_b32 v9, v24, v13
	ds_bpermute_b32 v10, v24, v14
	;; [unrolled: 1-line block ×4, first 2 shown]
	v_lshlrev_b32_e32 v22, 2, v15
	v_cmp_eq_u32_e32 vcc_lo, 3, v25
	s_waitcnt lgkmcnt(2)
	v_add_f64 v[9:10], v[13:14], v[9:10]
	s_waitcnt lgkmcnt(0)
	v_add_f64 v[13:14], v[17:18], v[23:24]
	ds_bpermute_b32 v15, v22, v19
	ds_bpermute_b32 v16, v22, v20
	;; [unrolled: 1-line block ×8, first 2 shown]
	s_and_b32 exec_lo, exec_lo, vcc_lo
	s_cbranch_execz .LBB243_25
; %bb.21:
	v_cmp_eq_f64_e32 vcc_lo, 0, v[4:5]
	v_cmp_eq_f64_e64 s0, 0, v[6:7]
	s_waitcnt lgkmcnt(2)
	v_add_f64 v[9:10], v[9:10], v[23:24]
	v_add_f64 v[15:16], v[19:20], v[15:16]
	;; [unrolled: 1-line block ×3, first 2 shown]
	s_waitcnt lgkmcnt(0)
	v_add_f64 v[13:14], v[13:14], v[21:22]
	s_load_b64 s[2:3], s[2:3], 0x48
	s_and_b32 s0, vcc_lo, s0
	s_delay_alu instid0(SALU_CYCLE_1) | instskip(NEXT) | instid1(SALU_CYCLE_1)
	s_and_saveexec_b32 s1, s0
	s_xor_b32 s0, exec_lo, s1
	s_cbranch_execz .LBB243_23
; %bb.22:
	s_delay_alu instid0(VALU_DEP_3) | instskip(SKIP_1) | instid1(VALU_DEP_3)
	v_mul_f64 v[4:5], v[15:16], -v[2:3]
	v_mul_f64 v[6:7], v[0:1], v[15:16]
	v_mul_f64 v[15:16], v[13:14], -v[2:3]
	v_mul_f64 v[13:14], v[0:1], v[13:14]
	v_lshlrev_b32_e32 v8, 1, v8
	v_fma_f64 v[4:5], v[0:1], v[9:10], v[4:5]
	v_fma_f64 v[6:7], v[2:3], v[9:10], v[6:7]
	;; [unrolled: 1-line block ×4, first 2 shown]
	v_ashrrev_i32_e32 v9, 31, v8
                                        ; implicit-def: $vgpr15_vgpr16
                                        ; implicit-def: $vgpr11_vgpr12
                                        ; implicit-def: $vgpr13_vgpr14
	s_delay_alu instid0(VALU_DEP_1) | instskip(SKIP_1) | instid1(VALU_DEP_1)
	v_lshlrev_b64 v[8:9], 4, v[8:9]
	s_waitcnt lgkmcnt(0)
	v_add_co_u32 v8, vcc_lo, s2, v8
	s_delay_alu instid0(VALU_DEP_2)
	v_add_co_ci_u32_e32 v9, vcc_lo, s3, v9, vcc_lo
	s_clause 0x1
	global_store_b128 v[8:9], v[4:7], off
	global_store_b128 v[8:9], v[0:3], off offset:16
                                        ; implicit-def: $vgpr0_vgpr1
                                        ; implicit-def: $vgpr2_vgpr3
                                        ; implicit-def: $vgpr4_vgpr5
                                        ; implicit-def: $vgpr6_vgpr7
                                        ; implicit-def: $vgpr8
                                        ; implicit-def: $vgpr9_vgpr10
.LBB243_23:
	s_and_not1_saveexec_b32 s0, s0
	s_cbranch_execz .LBB243_25
; %bb.24:
	v_lshlrev_b32_e32 v17, 1, v8
	s_delay_alu instid0(VALU_DEP_4) | instskip(SKIP_1) | instid1(VALU_DEP_4)
	v_mul_f64 v[27:28], v[15:16], -v[2:3]
	v_mul_f64 v[15:16], v[0:1], v[15:16]
	v_mul_f64 v[29:30], v[13:14], -v[2:3]
	v_mul_f64 v[13:14], v[0:1], v[13:14]
	v_ashrrev_i32_e32 v18, 31, v17
	s_delay_alu instid0(VALU_DEP_1) | instskip(SKIP_1) | instid1(VALU_DEP_1)
	v_lshlrev_b64 v[17:18], 4, v[17:18]
	s_waitcnt lgkmcnt(0)
	v_add_co_u32 v25, vcc_lo, s2, v17
	s_delay_alu instid0(VALU_DEP_2)
	v_add_co_ci_u32_e32 v26, vcc_lo, s3, v18, vcc_lo
	s_clause 0x1
	global_load_b128 v[17:20], v[25:26], off
	global_load_b128 v[21:24], v[25:26], off offset:16
	v_fma_f64 v[27:28], v[0:1], v[9:10], v[27:28]
	v_fma_f64 v[8:9], v[2:3], v[9:10], v[15:16]
	;; [unrolled: 1-line block ×4, first 2 shown]
	s_waitcnt vmcnt(1)
	s_delay_alu instid0(VALU_DEP_4) | instskip(NEXT) | instid1(VALU_DEP_4)
	v_fma_f64 v[10:11], v[4:5], v[17:18], v[27:28]
	v_fma_f64 v[8:9], v[6:7], v[17:18], v[8:9]
	s_waitcnt vmcnt(0)
	s_delay_alu instid0(VALU_DEP_4) | instskip(NEXT) | instid1(VALU_DEP_4)
	v_fma_f64 v[12:13], v[4:5], v[21:22], v[0:1]
	v_fma_f64 v[14:15], v[6:7], v[21:22], v[2:3]
	s_delay_alu instid0(VALU_DEP_4) | instskip(NEXT) | instid1(VALU_DEP_4)
	v_fma_f64 v[0:1], -v[6:7], v[19:20], v[10:11]
	v_fma_f64 v[2:3], v[4:5], v[19:20], v[8:9]
	s_delay_alu instid0(VALU_DEP_4) | instskip(NEXT) | instid1(VALU_DEP_4)
	v_fma_f64 v[6:7], -v[6:7], v[23:24], v[12:13]
	v_fma_f64 v[8:9], v[4:5], v[23:24], v[14:15]
	s_clause 0x1
	global_store_b128 v[25:26], v[0:3], off
	global_store_b128 v[25:26], v[6:9], off offset:16
.LBB243_25:
	s_nop 0
	s_sendmsg sendmsg(MSG_DEALLOC_VGPRS)
	s_endpgm
	.section	.rodata,"a",@progbits
	.p2align	6, 0x0
	.amdhsa_kernel _ZN9rocsparseL19gebsrmvn_2xn_kernelILj128ELj5ELj4E21rocsparse_complex_numIdEEEvi20rocsparse_direction_NS_24const_host_device_scalarIT2_EEPKiS8_PKS5_SA_S6_PS5_21rocsparse_index_base_b
		.amdhsa_group_segment_fixed_size 2048
		.amdhsa_private_segment_fixed_size 0
		.amdhsa_kernarg_size 88
		.amdhsa_user_sgpr_count 15
		.amdhsa_user_sgpr_dispatch_ptr 1
		.amdhsa_user_sgpr_queue_ptr 0
		.amdhsa_user_sgpr_kernarg_segment_ptr 1
		.amdhsa_user_sgpr_dispatch_id 0
		.amdhsa_user_sgpr_private_segment_size 0
		.amdhsa_wavefront_size32 1
		.amdhsa_uses_dynamic_stack 0
		.amdhsa_enable_private_segment 0
		.amdhsa_system_sgpr_workgroup_id_x 1
		.amdhsa_system_sgpr_workgroup_id_y 0
		.amdhsa_system_sgpr_workgroup_id_z 0
		.amdhsa_system_sgpr_workgroup_info 0
		.amdhsa_system_vgpr_workitem_id 2
		.amdhsa_next_free_vgpr 86
		.amdhsa_next_free_sgpr 18
		.amdhsa_reserve_vcc 1
		.amdhsa_float_round_mode_32 0
		.amdhsa_float_round_mode_16_64 0
		.amdhsa_float_denorm_mode_32 3
		.amdhsa_float_denorm_mode_16_64 3
		.amdhsa_dx10_clamp 1
		.amdhsa_ieee_mode 1
		.amdhsa_fp16_overflow 0
		.amdhsa_workgroup_processor_mode 1
		.amdhsa_memory_ordered 1
		.amdhsa_forward_progress 0
		.amdhsa_shared_vgpr_count 0
		.amdhsa_exception_fp_ieee_invalid_op 0
		.amdhsa_exception_fp_denorm_src 0
		.amdhsa_exception_fp_ieee_div_zero 0
		.amdhsa_exception_fp_ieee_overflow 0
		.amdhsa_exception_fp_ieee_underflow 0
		.amdhsa_exception_fp_ieee_inexact 0
		.amdhsa_exception_int_div_zero 0
	.end_amdhsa_kernel
	.section	.text._ZN9rocsparseL19gebsrmvn_2xn_kernelILj128ELj5ELj4E21rocsparse_complex_numIdEEEvi20rocsparse_direction_NS_24const_host_device_scalarIT2_EEPKiS8_PKS5_SA_S6_PS5_21rocsparse_index_base_b,"axG",@progbits,_ZN9rocsparseL19gebsrmvn_2xn_kernelILj128ELj5ELj4E21rocsparse_complex_numIdEEEvi20rocsparse_direction_NS_24const_host_device_scalarIT2_EEPKiS8_PKS5_SA_S6_PS5_21rocsparse_index_base_b,comdat
.Lfunc_end243:
	.size	_ZN9rocsparseL19gebsrmvn_2xn_kernelILj128ELj5ELj4E21rocsparse_complex_numIdEEEvi20rocsparse_direction_NS_24const_host_device_scalarIT2_EEPKiS8_PKS5_SA_S6_PS5_21rocsparse_index_base_b, .Lfunc_end243-_ZN9rocsparseL19gebsrmvn_2xn_kernelILj128ELj5ELj4E21rocsparse_complex_numIdEEEvi20rocsparse_direction_NS_24const_host_device_scalarIT2_EEPKiS8_PKS5_SA_S6_PS5_21rocsparse_index_base_b
                                        ; -- End function
	.section	.AMDGPU.csdata,"",@progbits
; Kernel info:
; codeLenInByte = 3336
; NumSgprs: 20
; NumVgprs: 86
; ScratchSize: 0
; MemoryBound: 0
; FloatMode: 240
; IeeeMode: 1
; LDSByteSize: 2048 bytes/workgroup (compile time only)
; SGPRBlocks: 2
; VGPRBlocks: 10
; NumSGPRsForWavesPerEU: 20
; NumVGPRsForWavesPerEU: 86
; Occupancy: 16
; WaveLimiterHint : 1
; COMPUTE_PGM_RSRC2:SCRATCH_EN: 0
; COMPUTE_PGM_RSRC2:USER_SGPR: 15
; COMPUTE_PGM_RSRC2:TRAP_HANDLER: 0
; COMPUTE_PGM_RSRC2:TGID_X_EN: 1
; COMPUTE_PGM_RSRC2:TGID_Y_EN: 0
; COMPUTE_PGM_RSRC2:TGID_Z_EN: 0
; COMPUTE_PGM_RSRC2:TIDIG_COMP_CNT: 2
	.section	.text._ZN9rocsparseL19gebsrmvn_2xn_kernelILj128ELj5ELj8E21rocsparse_complex_numIdEEEvi20rocsparse_direction_NS_24const_host_device_scalarIT2_EEPKiS8_PKS5_SA_S6_PS5_21rocsparse_index_base_b,"axG",@progbits,_ZN9rocsparseL19gebsrmvn_2xn_kernelILj128ELj5ELj8E21rocsparse_complex_numIdEEEvi20rocsparse_direction_NS_24const_host_device_scalarIT2_EEPKiS8_PKS5_SA_S6_PS5_21rocsparse_index_base_b,comdat
	.globl	_ZN9rocsparseL19gebsrmvn_2xn_kernelILj128ELj5ELj8E21rocsparse_complex_numIdEEEvi20rocsparse_direction_NS_24const_host_device_scalarIT2_EEPKiS8_PKS5_SA_S6_PS5_21rocsparse_index_base_b ; -- Begin function _ZN9rocsparseL19gebsrmvn_2xn_kernelILj128ELj5ELj8E21rocsparse_complex_numIdEEEvi20rocsparse_direction_NS_24const_host_device_scalarIT2_EEPKiS8_PKS5_SA_S6_PS5_21rocsparse_index_base_b
	.p2align	8
	.type	_ZN9rocsparseL19gebsrmvn_2xn_kernelILj128ELj5ELj8E21rocsparse_complex_numIdEEEvi20rocsparse_direction_NS_24const_host_device_scalarIT2_EEPKiS8_PKS5_SA_S6_PS5_21rocsparse_index_base_b,@function
_ZN9rocsparseL19gebsrmvn_2xn_kernelILj128ELj5ELj8E21rocsparse_complex_numIdEEEvi20rocsparse_direction_NS_24const_host_device_scalarIT2_EEPKiS8_PKS5_SA_S6_PS5_21rocsparse_index_base_b: ; @_ZN9rocsparseL19gebsrmvn_2xn_kernelILj128ELj5ELj8E21rocsparse_complex_numIdEEEvi20rocsparse_direction_NS_24const_host_device_scalarIT2_EEPKiS8_PKS5_SA_S6_PS5_21rocsparse_index_base_b
; %bb.0:
	s_load_b64 s[12:13], s[2:3], 0x50
	s_load_b64 s[16:17], s[0:1], 0x4
	s_load_b128 s[8:11], s[2:3], 0x8
	v_bfe_u32 v1, v0, 10, 10
	s_mov_b64 s[0:1], src_shared_base
	s_load_b128 s[4:7], s[2:3], 0x38
	v_and_b32_e32 v10, 0x3ff, v0
	v_bfe_u32 v0, v0, 20, 10
	s_waitcnt lgkmcnt(0)
	s_bitcmp1_b32 s13, 0
	v_mul_u32_u24_e32 v1, s17, v1
	s_cselect_b32 s0, -1, 0
	s_delay_alu instid0(SALU_CYCLE_1)
	s_and_b32 vcc_lo, s0, exec_lo
	s_cselect_b32 s13, s1, s9
	s_lshr_b32 s14, s16, 16
	v_dual_mov_b32 v2, s4 :: v_dual_mov_b32 v3, s5
	s_mul_i32 s14, s14, s17
	v_mov_b32_e32 v6, s13
	v_mad_u32_u24 v1, s14, v10, v1
	s_delay_alu instid0(VALU_DEP_1) | instskip(SKIP_1) | instid1(VALU_DEP_2)
	v_add_lshl_u32 v4, v1, v0, 3
	v_dual_mov_b32 v0, s8 :: v_dual_mov_b32 v1, s9
	v_add_nc_u32_e32 v5, 0x400, v4
	ds_store_2addr_stride64_b64 v4, v[2:3], v[0:1] offset1:2
	v_dual_mov_b32 v2, s10 :: v_dual_mov_b32 v3, s11
	v_cndmask_b32_e64 v5, s8, v5, s0
	s_xor_b32 s10, s0, -1
	flat_load_b64 v[0:1], v[5:6]
	s_cbranch_vccnz .LBB244_2
; %bb.1:
	v_dual_mov_b32 v2, s8 :: v_dual_mov_b32 v3, s9
	flat_load_b64 v[2:3], v[2:3] offset:8
.LBB244_2:
	s_and_b32 s8, s0, exec_lo
	s_cselect_b32 s1, s1, s5
	v_cndmask_b32_e64 v4, s4, v4, s0
	v_dual_mov_b32 v5, s1 :: v_dual_mov_b32 v6, s6
	v_mov_b32_e32 v7, s7
	s_and_not1_b32 vcc_lo, exec_lo, s10
	flat_load_b64 v[4:5], v[4:5]
	s_cbranch_vccnz .LBB244_4
; %bb.3:
	v_dual_mov_b32 v7, s5 :: v_dual_mov_b32 v6, s4
	flat_load_b64 v[6:7], v[6:7] offset:8
.LBB244_4:
	s_waitcnt vmcnt(1) lgkmcnt(1)
	v_cmp_eq_f64_e32 vcc_lo, 0, v[0:1]
	v_cmp_eq_f64_e64 s0, 0, v[2:3]
	s_delay_alu instid0(VALU_DEP_1)
	s_and_b32 s4, vcc_lo, s0
	s_mov_b32 s0, -1
	s_and_saveexec_b32 s1, s4
	s_cbranch_execz .LBB244_6
; %bb.5:
	s_waitcnt vmcnt(0) lgkmcnt(0)
	v_cmp_neq_f64_e32 vcc_lo, 1.0, v[4:5]
	v_cmp_neq_f64_e64 s0, 0, v[6:7]
	s_delay_alu instid0(VALU_DEP_1) | instskip(NEXT) | instid1(SALU_CYCLE_1)
	s_or_b32 s0, vcc_lo, s0
	s_or_not1_b32 s0, s0, exec_lo
.LBB244_6:
	s_or_b32 exec_lo, exec_lo, s1
	s_and_saveexec_b32 s1, s0
	s_cbranch_execz .LBB244_25
; %bb.7:
	s_load_b64 s[0:1], s[2:3], 0x0
	v_lshrrev_b32_e32 v8, 3, v10
	s_delay_alu instid0(VALU_DEP_1) | instskip(SKIP_1) | instid1(VALU_DEP_1)
	v_lshl_or_b32 v8, s15, 4, v8
	s_waitcnt lgkmcnt(0)
	v_cmp_gt_i32_e32 vcc_lo, s0, v8
	s_and_b32 exec_lo, exec_lo, vcc_lo
	s_cbranch_execz .LBB244_25
; %bb.8:
	s_load_b256 s[4:11], s[2:3], 0x18
	v_ashrrev_i32_e32 v9, 31, v8
	v_and_b32_e32 v25, 7, v10
	s_cmp_lg_u32 s1, 0
	s_delay_alu instid0(VALU_DEP_2) | instskip(SKIP_1) | instid1(VALU_DEP_1)
	v_lshlrev_b64 v[11:12], 2, v[8:9]
	s_waitcnt lgkmcnt(0)
	v_add_co_u32 v11, vcc_lo, s4, v11
	s_delay_alu instid0(VALU_DEP_2) | instskip(SKIP_4) | instid1(VALU_DEP_2)
	v_add_co_ci_u32_e32 v12, vcc_lo, s5, v12, vcc_lo
	global_load_b64 v[11:12], v[11:12], off
	s_waitcnt vmcnt(0)
	v_subrev_nc_u32_e32 v9, s12, v11
	v_subrev_nc_u32_e32 v24, s12, v12
	v_add_nc_u32_e32 v9, v9, v25
	s_delay_alu instid0(VALU_DEP_1)
	v_cmp_lt_i32_e64 s0, v9, v24
	s_cbranch_scc0 .LBB244_14
; %bb.9:
	v_mov_b32_e32 v11, 0
	v_mov_b32_e32 v12, 0
	s_delay_alu instid0(VALU_DEP_1)
	v_dual_mov_b32 v14, v12 :: v_dual_mov_b32 v13, v11
	v_dual_mov_b32 v16, v12 :: v_dual_mov_b32 v15, v11
	;; [unrolled: 1-line block ×3, first 2 shown]
	s_and_saveexec_b32 s1, s0
	s_cbranch_execz .LBB244_13
; %bb.10:
	v_dual_mov_b32 v11, 0 :: v_dual_mov_b32 v22, v9
	v_dual_mov_b32 v12, 0 :: v_dual_mov_b32 v21, 0
	v_mad_u64_u32 v[19:20], null, v9, 10, 8
	s_mov_b32 s4, 0
	s_delay_alu instid0(VALU_DEP_2)
	v_dual_mov_b32 v14, v12 :: v_dual_mov_b32 v13, v11
	v_dual_mov_b32 v16, v12 :: v_dual_mov_b32 v15, v11
	;; [unrolled: 1-line block ×3, first 2 shown]
.LBB244_11:                             ; =>This Inner Loop Header: Depth=1
	v_ashrrev_i32_e32 v23, 31, v22
	v_dual_mov_b32 v79, v21 :: v_dual_add_nc_u32 v20, -8, v19
	s_delay_alu instid0(VALU_DEP_2) | instskip(SKIP_1) | instid1(VALU_DEP_2)
	v_lshlrev_b64 v[26:27], 2, v[22:23]
	v_add_nc_u32_e32 v22, 8, v22
	v_add_co_u32 v26, vcc_lo, s6, v26
	s_delay_alu instid0(VALU_DEP_3) | instskip(SKIP_3) | instid1(VALU_DEP_1)
	v_add_co_ci_u32_e32 v27, vcc_lo, s7, v27, vcc_lo
	global_load_b32 v10, v[26:27], off
	v_lshlrev_b64 v[26:27], 4, v[20:21]
	v_add_nc_u32_e32 v20, -6, v19
	v_lshlrev_b64 v[38:39], 4, v[20:21]
	s_delay_alu instid0(VALU_DEP_3) | instskip(NEXT) | instid1(VALU_DEP_4)
	v_add_co_u32 v30, vcc_lo, s8, v26
	v_add_co_ci_u32_e32 v31, vcc_lo, s9, v27, vcc_lo
	global_load_b128 v[26:29], v[30:31], off offset:16
	s_waitcnt vmcnt(1)
	v_subrev_nc_u32_e32 v10, s12, v10
	s_delay_alu instid0(VALU_DEP_1) | instskip(NEXT) | instid1(VALU_DEP_1)
	v_lshl_add_u32 v78, v10, 2, v10
	v_lshlrev_b64 v[32:33], 4, v[78:79]
	v_add_nc_u32_e32 v20, 1, v78
	s_delay_alu instid0(VALU_DEP_1) | instskip(NEXT) | instid1(VALU_DEP_3)
	v_lshlrev_b64 v[44:45], 4, v[20:21]
	v_add_co_u32 v34, vcc_lo, s10, v32
	s_delay_alu instid0(VALU_DEP_4)
	v_add_co_ci_u32_e32 v35, vcc_lo, s11, v33, vcc_lo
	v_add_co_u32 v42, vcc_lo, s8, v38
	global_load_b128 v[30:33], v[30:31], off
	global_load_b128 v[34:37], v[34:35], off
	v_add_co_ci_u32_e32 v43, vcc_lo, s9, v39, vcc_lo
	v_add_co_u32 v46, vcc_lo, s10, v44
	v_add_co_ci_u32_e32 v47, vcc_lo, s11, v45, vcc_lo
	s_clause 0x1
	global_load_b128 v[38:41], v[42:43], off offset:16
	global_load_b128 v[42:45], v[42:43], off
	global_load_b128 v[46:49], v[46:47], off
	v_add_nc_u32_e32 v20, -4, v19
	s_delay_alu instid0(VALU_DEP_1) | instskip(SKIP_1) | instid1(VALU_DEP_1)
	v_lshlrev_b64 v[50:51], 4, v[20:21]
	v_add_nc_u32_e32 v20, 2, v78
	v_lshlrev_b64 v[52:53], 4, v[20:21]
	s_delay_alu instid0(VALU_DEP_3) | instskip(NEXT) | instid1(VALU_DEP_4)
	v_add_co_u32 v54, vcc_lo, s8, v50
	v_add_co_ci_u32_e32 v55, vcc_lo, s9, v51, vcc_lo
	v_add_nc_u32_e32 v20, -2, v19
	s_delay_alu instid0(VALU_DEP_4)
	v_add_co_u32 v58, vcc_lo, s10, v52
	v_add_co_ci_u32_e32 v59, vcc_lo, s11, v53, vcc_lo
	s_clause 0x1
	global_load_b128 v[50:53], v[54:55], off offset:16
	global_load_b128 v[54:57], v[54:55], off
	global_load_b128 v[58:61], v[58:59], off
	v_lshlrev_b64 v[62:63], 4, v[20:21]
	v_add_nc_u32_e32 v20, 3, v78
	s_delay_alu instid0(VALU_DEP_1) | instskip(NEXT) | instid1(VALU_DEP_3)
	v_lshlrev_b64 v[64:65], 4, v[20:21]
	v_add_co_u32 v66, vcc_lo, s8, v62
	s_delay_alu instid0(VALU_DEP_4) | instskip(SKIP_1) | instid1(VALU_DEP_4)
	v_add_co_ci_u32_e32 v67, vcc_lo, s9, v63, vcc_lo
	v_mov_b32_e32 v20, v21
	v_add_co_u32 v70, vcc_lo, s10, v64
	v_add_co_ci_u32_e32 v71, vcc_lo, s11, v65, vcc_lo
	s_clause 0x1
	global_load_b128 v[62:65], v[66:67], off offset:16
	global_load_b128 v[66:69], v[66:67], off
	global_load_b128 v[70:73], v[70:71], off
	v_lshlrev_b64 v[74:75], 4, v[19:20]
	v_add_nc_u32_e32 v19, 0x50, v19
	v_add_nc_u32_e32 v20, 4, v78
	s_delay_alu instid0(VALU_DEP_3) | instskip(NEXT) | instid1(VALU_DEP_2)
	v_add_co_u32 v79, vcc_lo, s8, v74
	v_lshlrev_b64 v[81:82], 4, v[20:21]
	v_add_co_ci_u32_e32 v80, vcc_lo, s9, v75, vcc_lo
	s_delay_alu instid0(VALU_DEP_2) | instskip(NEXT) | instid1(VALU_DEP_3)
	v_add_co_u32 v83, vcc_lo, s10, v81
	v_add_co_ci_u32_e32 v84, vcc_lo, s11, v82, vcc_lo
	s_clause 0x1
	global_load_b128 v[74:77], v[79:80], off offset:16
	global_load_b128 v[78:81], v[79:80], off
	global_load_b128 v[82:85], v[83:84], off
	v_cmp_ge_i32_e32 vcc_lo, v22, v24
	s_or_b32 s4, vcc_lo, s4
	s_waitcnt vmcnt(12)
	v_fma_f64 v[13:14], v[30:31], v[34:35], v[13:14]
	v_fma_f64 v[10:11], v[32:33], v[34:35], v[11:12]
	;; [unrolled: 1-line block ×4, first 2 shown]
	s_delay_alu instid0(VALU_DEP_4) | instskip(NEXT) | instid1(VALU_DEP_4)
	v_fma_f64 v[12:13], -v[32:33], v[36:37], v[13:14]
	v_fma_f64 v[10:11], v[30:31], v[36:37], v[10:11]
	s_delay_alu instid0(VALU_DEP_4) | instskip(NEXT) | instid1(VALU_DEP_4)
	v_fma_f64 v[14:15], -v[28:29], v[36:37], v[15:16]
	v_fma_f64 v[16:17], v[26:27], v[36:37], v[17:18]
	s_waitcnt vmcnt(9)
	s_delay_alu instid0(VALU_DEP_4) | instskip(NEXT) | instid1(VALU_DEP_4)
	v_fma_f64 v[12:13], v[42:43], v[46:47], v[12:13]
	v_fma_f64 v[10:11], v[44:45], v[46:47], v[10:11]
	s_delay_alu instid0(VALU_DEP_4) | instskip(NEXT) | instid1(VALU_DEP_4)
	v_fma_f64 v[14:15], v[38:39], v[46:47], v[14:15]
	v_fma_f64 v[16:17], v[40:41], v[46:47], v[16:17]
	s_delay_alu instid0(VALU_DEP_4) | instskip(NEXT) | instid1(VALU_DEP_4)
	v_fma_f64 v[12:13], -v[44:45], v[48:49], v[12:13]
	v_fma_f64 v[10:11], v[42:43], v[48:49], v[10:11]
	s_delay_alu instid0(VALU_DEP_4) | instskip(NEXT) | instid1(VALU_DEP_4)
	v_fma_f64 v[14:15], -v[40:41], v[48:49], v[14:15]
	v_fma_f64 v[16:17], v[38:39], v[48:49], v[16:17]
	s_waitcnt vmcnt(6)
	s_delay_alu instid0(VALU_DEP_4) | instskip(NEXT) | instid1(VALU_DEP_4)
	v_fma_f64 v[12:13], v[54:55], v[58:59], v[12:13]
	v_fma_f64 v[10:11], v[56:57], v[58:59], v[10:11]
	s_delay_alu instid0(VALU_DEP_4) | instskip(NEXT) | instid1(VALU_DEP_4)
	v_fma_f64 v[14:15], v[50:51], v[58:59], v[14:15]
	v_fma_f64 v[16:17], v[52:53], v[58:59], v[16:17]
	;; [unrolled: 13-line block ×4, first 2 shown]
	s_delay_alu instid0(VALU_DEP_4) | instskip(NEXT) | instid1(VALU_DEP_4)
	v_fma_f64 v[13:14], -v[80:81], v[84:85], v[12:13]
	v_fma_f64 v[11:12], v[78:79], v[84:85], v[10:11]
	s_delay_alu instid0(VALU_DEP_4) | instskip(NEXT) | instid1(VALU_DEP_4)
	v_fma_f64 v[15:16], -v[76:77], v[84:85], v[26:27]
	v_fma_f64 v[17:18], v[74:75], v[84:85], v[17:18]
	s_and_not1_b32 exec_lo, exec_lo, s4
	s_cbranch_execnz .LBB244_11
; %bb.12:
	s_or_b32 exec_lo, exec_lo, s4
.LBB244_13:
	s_delay_alu instid0(SALU_CYCLE_1)
	s_or_b32 exec_lo, exec_lo, s1
	s_cbranch_execz .LBB244_15
	s_branch .LBB244_20
.LBB244_14:
                                        ; implicit-def: $vgpr11_vgpr12
                                        ; implicit-def: $vgpr13_vgpr14
                                        ; implicit-def: $vgpr15_vgpr16
                                        ; implicit-def: $vgpr17_vgpr18
.LBB244_15:
	v_mov_b32_e32 v11, 0
	v_mov_b32_e32 v12, 0
	s_delay_alu instid0(VALU_DEP_1)
	v_dual_mov_b32 v14, v12 :: v_dual_mov_b32 v13, v11
	v_dual_mov_b32 v16, v12 :: v_dual_mov_b32 v15, v11
	;; [unrolled: 1-line block ×3, first 2 shown]
	s_and_saveexec_b32 s1, s0
	s_cbranch_execz .LBB244_19
; %bb.16:
	v_mov_b32_e32 v11, 0
	v_dual_mov_b32 v12, 0 :: v_dual_mov_b32 v21, 0
	v_mad_u64_u32 v[19:20], null, v9, 10, 9
	s_mov_b32 s0, 0
	s_delay_alu instid0(VALU_DEP_2)
	v_dual_mov_b32 v14, v12 :: v_dual_mov_b32 v13, v11
	v_dual_mov_b32 v16, v12 :: v_dual_mov_b32 v15, v11
	;; [unrolled: 1-line block ×3, first 2 shown]
.LBB244_17:                             ; =>This Inner Loop Header: Depth=1
	v_ashrrev_i32_e32 v10, 31, v9
	v_dual_mov_b32 v79, v21 :: v_dual_add_nc_u32 v20, -9, v19
	s_delay_alu instid0(VALU_DEP_2) | instskip(NEXT) | instid1(VALU_DEP_2)
	v_lshlrev_b64 v[22:23], 2, v[9:10]
	v_lshlrev_b64 v[26:27], 4, v[20:21]
	v_add_nc_u32_e32 v9, 8, v9
	s_delay_alu instid0(VALU_DEP_3) | instskip(NEXT) | instid1(VALU_DEP_4)
	v_add_co_u32 v22, vcc_lo, s6, v22
	v_add_co_ci_u32_e32 v23, vcc_lo, s7, v23, vcc_lo
	s_delay_alu instid0(VALU_DEP_4)
	v_add_co_u32 v30, vcc_lo, s8, v26
	v_add_co_ci_u32_e32 v31, vcc_lo, s9, v27, vcc_lo
	global_load_b32 v10, v[22:23], off
	v_dual_mov_b32 v23, v21 :: v_dual_add_nc_u32 v22, -4, v19
	s_clause 0x1
	global_load_b128 v[26:29], v[30:31], off offset:16
	global_load_b128 v[30:33], v[30:31], off
	v_lshlrev_b64 v[22:23], 4, v[22:23]
	s_delay_alu instid0(VALU_DEP_1) | instskip(NEXT) | instid1(VALU_DEP_2)
	v_add_co_u32 v22, vcc_lo, s8, v22
	v_add_co_ci_u32_e32 v23, vcc_lo, s9, v23, vcc_lo
	s_waitcnt vmcnt(2)
	v_subrev_nc_u32_e32 v10, s12, v10
	s_delay_alu instid0(VALU_DEP_1) | instskip(NEXT) | instid1(VALU_DEP_1)
	v_lshl_add_u32 v78, v10, 2, v10
	v_lshlrev_b64 v[34:35], 4, v[78:79]
	v_add_nc_u32_e32 v20, 1, v78
	s_delay_alu instid0(VALU_DEP_2) | instskip(NEXT) | instid1(VALU_DEP_3)
	v_add_co_u32 v38, vcc_lo, s10, v34
	v_add_co_ci_u32_e32 v39, vcc_lo, s11, v35, vcc_lo
	global_load_b128 v[34:37], v[22:23], off
	global_load_b128 v[38:41], v[38:39], off
	v_lshlrev_b64 v[22:23], 4, v[20:21]
	v_add_nc_u32_e32 v20, -3, v19
	s_delay_alu instid0(VALU_DEP_1) | instskip(NEXT) | instid1(VALU_DEP_3)
	v_lshlrev_b64 v[42:43], 4, v[20:21]
	v_add_co_u32 v22, vcc_lo, s10, v22
	s_delay_alu instid0(VALU_DEP_4) | instskip(SKIP_1) | instid1(VALU_DEP_4)
	v_add_co_ci_u32_e32 v23, vcc_lo, s11, v23, vcc_lo
	v_add_nc_u32_e32 v20, -7, v19
	v_add_co_u32 v46, vcc_lo, s8, v42
	v_add_co_ci_u32_e32 v47, vcc_lo, s9, v43, vcc_lo
	global_load_b128 v[42:45], v[22:23], off
	global_load_b128 v[46:49], v[46:47], off
	v_lshlrev_b64 v[22:23], 4, v[20:21]
	v_add_nc_u32_e32 v20, 2, v78
	s_delay_alu instid0(VALU_DEP_1) | instskip(SKIP_1) | instid1(VALU_DEP_4)
	v_lshlrev_b64 v[50:51], 4, v[20:21]
	v_add_nc_u32_e32 v20, -2, v19
	v_add_co_u32 v22, vcc_lo, s8, v22
	v_add_co_ci_u32_e32 v23, vcc_lo, s9, v23, vcc_lo
	s_delay_alu instid0(VALU_DEP_3) | instskip(SKIP_3) | instid1(VALU_DEP_4)
	v_lshlrev_b64 v[52:53], 4, v[20:21]
	v_add_co_u32 v54, vcc_lo, s10, v50
	v_add_co_ci_u32_e32 v55, vcc_lo, s11, v51, vcc_lo
	v_add_nc_u32_e32 v20, -6, v19
	v_add_co_u32 v58, vcc_lo, s8, v52
	v_add_co_ci_u32_e32 v59, vcc_lo, s9, v53, vcc_lo
	global_load_b128 v[50:53], v[22:23], off
	global_load_b128 v[54:57], v[54:55], off
	;; [unrolled: 1-line block ×3, first 2 shown]
	v_lshlrev_b64 v[22:23], 4, v[20:21]
	v_add_nc_u32_e32 v20, 3, v78
	s_delay_alu instid0(VALU_DEP_1) | instskip(SKIP_1) | instid1(VALU_DEP_4)
	v_lshlrev_b64 v[62:63], 4, v[20:21]
	v_add_nc_u32_e32 v20, -1, v19
	v_add_co_u32 v22, vcc_lo, s8, v22
	v_add_co_ci_u32_e32 v23, vcc_lo, s9, v23, vcc_lo
	s_delay_alu instid0(VALU_DEP_3) | instskip(SKIP_3) | instid1(VALU_DEP_4)
	v_lshlrev_b64 v[64:65], 4, v[20:21]
	v_add_co_u32 v66, vcc_lo, s10, v62
	v_add_co_ci_u32_e32 v67, vcc_lo, s11, v63, vcc_lo
	v_mov_b32_e32 v20, v21
	v_add_co_u32 v70, vcc_lo, s8, v64
	v_add_co_ci_u32_e32 v71, vcc_lo, s9, v65, vcc_lo
	global_load_b128 v[62:65], v[22:23], off
	global_load_b128 v[66:69], v[66:67], off
	;; [unrolled: 1-line block ×3, first 2 shown]
	v_lshlrev_b64 v[22:23], 4, v[19:20]
	v_add_nc_u32_e32 v20, -5, v19
	v_add_nc_u32_e32 v19, 0x50, v19
	s_delay_alu instid0(VALU_DEP_3) | instskip(NEXT) | instid1(VALU_DEP_4)
	v_add_co_u32 v22, vcc_lo, s8, v22
	v_add_co_ci_u32_e32 v23, vcc_lo, s9, v23, vcc_lo
	global_load_b128 v[74:77], v[22:23], off
	v_lshlrev_b64 v[22:23], 4, v[20:21]
	v_add_nc_u32_e32 v20, 4, v78
	s_delay_alu instid0(VALU_DEP_1) | instskip(NEXT) | instid1(VALU_DEP_3)
	v_lshlrev_b64 v[78:79], 4, v[20:21]
	v_add_co_u32 v22, vcc_lo, s8, v22
	s_delay_alu instid0(VALU_DEP_4) | instskip(NEXT) | instid1(VALU_DEP_3)
	v_add_co_ci_u32_e32 v23, vcc_lo, s9, v23, vcc_lo
	v_add_co_u32 v82, vcc_lo, s10, v78
	s_delay_alu instid0(VALU_DEP_4)
	v_add_co_ci_u32_e32 v83, vcc_lo, s11, v79, vcc_lo
	global_load_b128 v[78:81], v[22:23], off
	global_load_b128 v[82:85], v[82:83], off
	v_cmp_ge_i32_e32 vcc_lo, v9, v24
	s_or_b32 s0, vcc_lo, s0
	s_waitcnt vmcnt(11)
	v_fma_f64 v[13:14], v[30:31], v[38:39], v[13:14]
	v_fma_f64 v[10:11], v[32:33], v[38:39], v[11:12]
	;; [unrolled: 1-line block ×4, first 2 shown]
	s_delay_alu instid0(VALU_DEP_4) | instskip(NEXT) | instid1(VALU_DEP_4)
	v_fma_f64 v[12:13], -v[32:33], v[40:41], v[13:14]
	v_fma_f64 v[10:11], v[30:31], v[40:41], v[10:11]
	s_delay_alu instid0(VALU_DEP_4) | instskip(NEXT) | instid1(VALU_DEP_4)
	v_fma_f64 v[14:15], -v[36:37], v[40:41], v[15:16]
	v_fma_f64 v[16:17], v[34:35], v[40:41], v[17:18]
	s_waitcnt vmcnt(10)
	s_delay_alu instid0(VALU_DEP_4) | instskip(NEXT) | instid1(VALU_DEP_4)
	v_fma_f64 v[12:13], v[26:27], v[42:43], v[12:13]
	v_fma_f64 v[10:11], v[28:29], v[42:43], v[10:11]
	s_waitcnt vmcnt(9)
	s_delay_alu instid0(VALU_DEP_4) | instskip(NEXT) | instid1(VALU_DEP_4)
	v_fma_f64 v[14:15], v[46:47], v[42:43], v[14:15]
	v_fma_f64 v[16:17], v[48:49], v[42:43], v[16:17]
	s_delay_alu instid0(VALU_DEP_4) | instskip(NEXT) | instid1(VALU_DEP_4)
	v_fma_f64 v[12:13], -v[28:29], v[44:45], v[12:13]
	v_fma_f64 v[10:11], v[26:27], v[44:45], v[10:11]
	s_delay_alu instid0(VALU_DEP_4) | instskip(NEXT) | instid1(VALU_DEP_4)
	v_fma_f64 v[14:15], -v[48:49], v[44:45], v[14:15]
	v_fma_f64 v[16:17], v[46:47], v[44:45], v[16:17]
	s_waitcnt vmcnt(7)
	s_delay_alu instid0(VALU_DEP_4) | instskip(NEXT) | instid1(VALU_DEP_4)
	v_fma_f64 v[12:13], v[50:51], v[54:55], v[12:13]
	v_fma_f64 v[10:11], v[52:53], v[54:55], v[10:11]
	s_waitcnt vmcnt(6)
	s_delay_alu instid0(VALU_DEP_4) | instskip(NEXT) | instid1(VALU_DEP_4)
	v_fma_f64 v[14:15], v[58:59], v[54:55], v[14:15]
	v_fma_f64 v[16:17], v[60:61], v[54:55], v[16:17]
	;; [unrolled: 14-line block ×3, first 2 shown]
	s_delay_alu instid0(VALU_DEP_4) | instskip(NEXT) | instid1(VALU_DEP_4)
	v_fma_f64 v[12:13], -v[64:65], v[68:69], v[12:13]
	v_fma_f64 v[10:11], v[62:63], v[68:69], v[10:11]
	s_delay_alu instid0(VALU_DEP_4) | instskip(NEXT) | instid1(VALU_DEP_4)
	v_fma_f64 v[14:15], -v[72:73], v[68:69], v[14:15]
	v_fma_f64 v[16:17], v[70:71], v[68:69], v[16:17]
	s_waitcnt vmcnt(0)
	s_delay_alu instid0(VALU_DEP_4) | instskip(NEXT) | instid1(VALU_DEP_4)
	v_fma_f64 v[12:13], v[78:79], v[82:83], v[12:13]
	v_fma_f64 v[10:11], v[80:81], v[82:83], v[10:11]
	s_delay_alu instid0(VALU_DEP_4) | instskip(NEXT) | instid1(VALU_DEP_4)
	v_fma_f64 v[22:23], v[74:75], v[82:83], v[14:15]
	v_fma_f64 v[17:18], v[76:77], v[82:83], v[16:17]
	s_delay_alu instid0(VALU_DEP_4) | instskip(NEXT) | instid1(VALU_DEP_4)
	v_fma_f64 v[13:14], -v[80:81], v[84:85], v[12:13]
	v_fma_f64 v[11:12], v[78:79], v[84:85], v[10:11]
	s_delay_alu instid0(VALU_DEP_4) | instskip(NEXT) | instid1(VALU_DEP_4)
	v_fma_f64 v[15:16], -v[76:77], v[84:85], v[22:23]
	v_fma_f64 v[17:18], v[74:75], v[84:85], v[17:18]
	s_and_not1_b32 exec_lo, exec_lo, s0
	s_cbranch_execnz .LBB244_17
; %bb.18:
	s_or_b32 exec_lo, exec_lo, s0
.LBB244_19:
	s_delay_alu instid0(SALU_CYCLE_1)
	s_or_b32 exec_lo, exec_lo, s1
.LBB244_20:
	v_mbcnt_lo_u32_b32 v26, -1, 0
	s_delay_alu instid0(VALU_DEP_1) | instskip(NEXT) | instid1(VALU_DEP_1)
	v_xor_b32_e32 v9, 4, v26
	v_cmp_gt_i32_e32 vcc_lo, 32, v9
	v_cndmask_b32_e32 v9, v26, v9, vcc_lo
	s_delay_alu instid0(VALU_DEP_1)
	v_lshlrev_b32_e32 v24, 2, v9
	ds_bpermute_b32 v9, v24, v13
	ds_bpermute_b32 v10, v24, v14
	;; [unrolled: 1-line block ×4, first 2 shown]
	s_waitcnt lgkmcnt(2)
	v_add_f64 v[9:10], v[13:14], v[9:10]
	s_waitcnt lgkmcnt(0)
	v_add_f64 v[13:14], v[15:16], v[21:22]
	v_xor_b32_e32 v15, 2, v26
	s_delay_alu instid0(VALU_DEP_1)
	v_cmp_gt_i32_e32 vcc_lo, 32, v15
	v_cndmask_b32_e32 v15, v26, v15, vcc_lo
	ds_bpermute_b32 v19, v24, v11
	ds_bpermute_b32 v20, v24, v12
	;; [unrolled: 1-line block ×4, first 2 shown]
	s_waitcnt lgkmcnt(2)
	v_add_f64 v[11:12], v[11:12], v[19:20]
	s_waitcnt lgkmcnt(0)
	v_add_f64 v[17:18], v[17:18], v[23:24]
	v_lshlrev_b32_e32 v24, 2, v15
	ds_bpermute_b32 v15, v24, v9
	ds_bpermute_b32 v16, v24, v10
	;; [unrolled: 1-line block ×4, first 2 shown]
	s_waitcnt lgkmcnt(2)
	v_add_f64 v[9:10], v[9:10], v[15:16]
	ds_bpermute_b32 v19, v24, v11
	ds_bpermute_b32 v20, v24, v12
	;; [unrolled: 1-line block ×4, first 2 shown]
	s_waitcnt lgkmcnt(2)
	v_add_f64 v[15:16], v[11:12], v[19:20]
	v_add_f64 v[11:12], v[13:14], v[21:22]
	s_waitcnt lgkmcnt(0)
	v_add_f64 v[13:14], v[17:18], v[23:24]
	v_xor_b32_e32 v17, 1, v26
	s_delay_alu instid0(VALU_DEP_1) | instskip(SKIP_2) | instid1(VALU_DEP_2)
	v_cmp_gt_i32_e32 vcc_lo, 32, v17
	v_cndmask_b32_e32 v17, v26, v17, vcc_lo
	v_cmp_eq_u32_e32 vcc_lo, 7, v25
	v_lshlrev_b32_e32 v20, 2, v17
	ds_bpermute_b32 v23, v20, v9
	ds_bpermute_b32 v24, v20, v10
	;; [unrolled: 1-line block ×8, first 2 shown]
	s_and_b32 exec_lo, exec_lo, vcc_lo
	s_cbranch_execz .LBB244_25
; %bb.21:
	v_cmp_eq_f64_e32 vcc_lo, 0, v[4:5]
	v_cmp_eq_f64_e64 s0, 0, v[6:7]
	s_waitcnt lgkmcnt(6)
	v_add_f64 v[9:10], v[9:10], v[23:24]
	s_waitcnt lgkmcnt(4)
	v_add_f64 v[15:16], v[15:16], v[21:22]
	;; [unrolled: 2-line block ×4, first 2 shown]
	s_load_b64 s[2:3], s[2:3], 0x48
	s_and_b32 s0, vcc_lo, s0
	s_delay_alu instid0(SALU_CYCLE_1) | instskip(NEXT) | instid1(SALU_CYCLE_1)
	s_and_saveexec_b32 s1, s0
	s_xor_b32 s0, exec_lo, s1
	s_cbranch_execz .LBB244_23
; %bb.22:
	s_delay_alu instid0(VALU_DEP_3) | instskip(SKIP_1) | instid1(VALU_DEP_3)
	v_mul_f64 v[4:5], v[15:16], -v[2:3]
	v_mul_f64 v[6:7], v[0:1], v[15:16]
	v_mul_f64 v[15:16], v[13:14], -v[2:3]
	v_mul_f64 v[13:14], v[0:1], v[13:14]
	v_lshlrev_b32_e32 v8, 1, v8
	v_fma_f64 v[4:5], v[0:1], v[9:10], v[4:5]
	v_fma_f64 v[6:7], v[2:3], v[9:10], v[6:7]
	;; [unrolled: 1-line block ×4, first 2 shown]
	v_ashrrev_i32_e32 v9, 31, v8
                                        ; implicit-def: $vgpr15_vgpr16
                                        ; implicit-def: $vgpr11_vgpr12
                                        ; implicit-def: $vgpr13_vgpr14
	s_delay_alu instid0(VALU_DEP_1) | instskip(SKIP_1) | instid1(VALU_DEP_1)
	v_lshlrev_b64 v[8:9], 4, v[8:9]
	s_waitcnt lgkmcnt(0)
	v_add_co_u32 v8, vcc_lo, s2, v8
	s_delay_alu instid0(VALU_DEP_2)
	v_add_co_ci_u32_e32 v9, vcc_lo, s3, v9, vcc_lo
	s_clause 0x1
	global_store_b128 v[8:9], v[4:7], off
	global_store_b128 v[8:9], v[0:3], off offset:16
                                        ; implicit-def: $vgpr0_vgpr1
                                        ; implicit-def: $vgpr2_vgpr3
                                        ; implicit-def: $vgpr4_vgpr5
                                        ; implicit-def: $vgpr6_vgpr7
                                        ; implicit-def: $vgpr8
                                        ; implicit-def: $vgpr9_vgpr10
.LBB244_23:
	s_and_not1_saveexec_b32 s0, s0
	s_cbranch_execz .LBB244_25
; %bb.24:
	v_lshlrev_b32_e32 v17, 1, v8
	s_delay_alu instid0(VALU_DEP_4) | instskip(SKIP_1) | instid1(VALU_DEP_4)
	v_mul_f64 v[27:28], v[15:16], -v[2:3]
	v_mul_f64 v[15:16], v[0:1], v[15:16]
	v_mul_f64 v[29:30], v[13:14], -v[2:3]
	v_mul_f64 v[13:14], v[0:1], v[13:14]
	v_ashrrev_i32_e32 v18, 31, v17
	s_delay_alu instid0(VALU_DEP_1) | instskip(SKIP_1) | instid1(VALU_DEP_1)
	v_lshlrev_b64 v[17:18], 4, v[17:18]
	s_waitcnt lgkmcnt(0)
	v_add_co_u32 v25, vcc_lo, s2, v17
	s_delay_alu instid0(VALU_DEP_2)
	v_add_co_ci_u32_e32 v26, vcc_lo, s3, v18, vcc_lo
	s_clause 0x1
	global_load_b128 v[17:20], v[25:26], off
	global_load_b128 v[21:24], v[25:26], off offset:16
	v_fma_f64 v[27:28], v[0:1], v[9:10], v[27:28]
	v_fma_f64 v[8:9], v[2:3], v[9:10], v[15:16]
	;; [unrolled: 1-line block ×4, first 2 shown]
	s_waitcnt vmcnt(1)
	s_delay_alu instid0(VALU_DEP_4) | instskip(NEXT) | instid1(VALU_DEP_4)
	v_fma_f64 v[10:11], v[4:5], v[17:18], v[27:28]
	v_fma_f64 v[8:9], v[6:7], v[17:18], v[8:9]
	s_waitcnt vmcnt(0)
	s_delay_alu instid0(VALU_DEP_4) | instskip(NEXT) | instid1(VALU_DEP_4)
	v_fma_f64 v[12:13], v[4:5], v[21:22], v[0:1]
	v_fma_f64 v[14:15], v[6:7], v[21:22], v[2:3]
	s_delay_alu instid0(VALU_DEP_4) | instskip(NEXT) | instid1(VALU_DEP_4)
	v_fma_f64 v[0:1], -v[6:7], v[19:20], v[10:11]
	v_fma_f64 v[2:3], v[4:5], v[19:20], v[8:9]
	s_delay_alu instid0(VALU_DEP_4) | instskip(NEXT) | instid1(VALU_DEP_4)
	v_fma_f64 v[6:7], -v[6:7], v[23:24], v[12:13]
	v_fma_f64 v[8:9], v[4:5], v[23:24], v[14:15]
	s_clause 0x1
	global_store_b128 v[25:26], v[0:3], off
	global_store_b128 v[25:26], v[6:9], off offset:16
.LBB244_25:
	s_nop 0
	s_sendmsg sendmsg(MSG_DEALLOC_VGPRS)
	s_endpgm
	.section	.rodata,"a",@progbits
	.p2align	6, 0x0
	.amdhsa_kernel _ZN9rocsparseL19gebsrmvn_2xn_kernelILj128ELj5ELj8E21rocsparse_complex_numIdEEEvi20rocsparse_direction_NS_24const_host_device_scalarIT2_EEPKiS8_PKS5_SA_S6_PS5_21rocsparse_index_base_b
		.amdhsa_group_segment_fixed_size 2048
		.amdhsa_private_segment_fixed_size 0
		.amdhsa_kernarg_size 88
		.amdhsa_user_sgpr_count 15
		.amdhsa_user_sgpr_dispatch_ptr 1
		.amdhsa_user_sgpr_queue_ptr 0
		.amdhsa_user_sgpr_kernarg_segment_ptr 1
		.amdhsa_user_sgpr_dispatch_id 0
		.amdhsa_user_sgpr_private_segment_size 0
		.amdhsa_wavefront_size32 1
		.amdhsa_uses_dynamic_stack 0
		.amdhsa_enable_private_segment 0
		.amdhsa_system_sgpr_workgroup_id_x 1
		.amdhsa_system_sgpr_workgroup_id_y 0
		.amdhsa_system_sgpr_workgroup_id_z 0
		.amdhsa_system_sgpr_workgroup_info 0
		.amdhsa_system_vgpr_workitem_id 2
		.amdhsa_next_free_vgpr 86
		.amdhsa_next_free_sgpr 18
		.amdhsa_reserve_vcc 1
		.amdhsa_float_round_mode_32 0
		.amdhsa_float_round_mode_16_64 0
		.amdhsa_float_denorm_mode_32 3
		.amdhsa_float_denorm_mode_16_64 3
		.amdhsa_dx10_clamp 1
		.amdhsa_ieee_mode 1
		.amdhsa_fp16_overflow 0
		.amdhsa_workgroup_processor_mode 1
		.amdhsa_memory_ordered 1
		.amdhsa_forward_progress 0
		.amdhsa_shared_vgpr_count 0
		.amdhsa_exception_fp_ieee_invalid_op 0
		.amdhsa_exception_fp_denorm_src 0
		.amdhsa_exception_fp_ieee_div_zero 0
		.amdhsa_exception_fp_ieee_overflow 0
		.amdhsa_exception_fp_ieee_underflow 0
		.amdhsa_exception_fp_ieee_inexact 0
		.amdhsa_exception_int_div_zero 0
	.end_amdhsa_kernel
	.section	.text._ZN9rocsparseL19gebsrmvn_2xn_kernelILj128ELj5ELj8E21rocsparse_complex_numIdEEEvi20rocsparse_direction_NS_24const_host_device_scalarIT2_EEPKiS8_PKS5_SA_S6_PS5_21rocsparse_index_base_b,"axG",@progbits,_ZN9rocsparseL19gebsrmvn_2xn_kernelILj128ELj5ELj8E21rocsparse_complex_numIdEEEvi20rocsparse_direction_NS_24const_host_device_scalarIT2_EEPKiS8_PKS5_SA_S6_PS5_21rocsparse_index_base_b,comdat
.Lfunc_end244:
	.size	_ZN9rocsparseL19gebsrmvn_2xn_kernelILj128ELj5ELj8E21rocsparse_complex_numIdEEEvi20rocsparse_direction_NS_24const_host_device_scalarIT2_EEPKiS8_PKS5_SA_S6_PS5_21rocsparse_index_base_b, .Lfunc_end244-_ZN9rocsparseL19gebsrmvn_2xn_kernelILj128ELj5ELj8E21rocsparse_complex_numIdEEEvi20rocsparse_direction_NS_24const_host_device_scalarIT2_EEPKiS8_PKS5_SA_S6_PS5_21rocsparse_index_base_b
                                        ; -- End function
	.section	.AMDGPU.csdata,"",@progbits
; Kernel info:
; codeLenInByte = 3480
; NumSgprs: 20
; NumVgprs: 86
; ScratchSize: 0
; MemoryBound: 0
; FloatMode: 240
; IeeeMode: 1
; LDSByteSize: 2048 bytes/workgroup (compile time only)
; SGPRBlocks: 2
; VGPRBlocks: 10
; NumSGPRsForWavesPerEU: 20
; NumVGPRsForWavesPerEU: 86
; Occupancy: 16
; WaveLimiterHint : 1
; COMPUTE_PGM_RSRC2:SCRATCH_EN: 0
; COMPUTE_PGM_RSRC2:USER_SGPR: 15
; COMPUTE_PGM_RSRC2:TRAP_HANDLER: 0
; COMPUTE_PGM_RSRC2:TGID_X_EN: 1
; COMPUTE_PGM_RSRC2:TGID_Y_EN: 0
; COMPUTE_PGM_RSRC2:TGID_Z_EN: 0
; COMPUTE_PGM_RSRC2:TIDIG_COMP_CNT: 2
	.section	.text._ZN9rocsparseL19gebsrmvn_2xn_kernelILj128ELj5ELj16E21rocsparse_complex_numIdEEEvi20rocsparse_direction_NS_24const_host_device_scalarIT2_EEPKiS8_PKS5_SA_S6_PS5_21rocsparse_index_base_b,"axG",@progbits,_ZN9rocsparseL19gebsrmvn_2xn_kernelILj128ELj5ELj16E21rocsparse_complex_numIdEEEvi20rocsparse_direction_NS_24const_host_device_scalarIT2_EEPKiS8_PKS5_SA_S6_PS5_21rocsparse_index_base_b,comdat
	.globl	_ZN9rocsparseL19gebsrmvn_2xn_kernelILj128ELj5ELj16E21rocsparse_complex_numIdEEEvi20rocsparse_direction_NS_24const_host_device_scalarIT2_EEPKiS8_PKS5_SA_S6_PS5_21rocsparse_index_base_b ; -- Begin function _ZN9rocsparseL19gebsrmvn_2xn_kernelILj128ELj5ELj16E21rocsparse_complex_numIdEEEvi20rocsparse_direction_NS_24const_host_device_scalarIT2_EEPKiS8_PKS5_SA_S6_PS5_21rocsparse_index_base_b
	.p2align	8
	.type	_ZN9rocsparseL19gebsrmvn_2xn_kernelILj128ELj5ELj16E21rocsparse_complex_numIdEEEvi20rocsparse_direction_NS_24const_host_device_scalarIT2_EEPKiS8_PKS5_SA_S6_PS5_21rocsparse_index_base_b,@function
_ZN9rocsparseL19gebsrmvn_2xn_kernelILj128ELj5ELj16E21rocsparse_complex_numIdEEEvi20rocsparse_direction_NS_24const_host_device_scalarIT2_EEPKiS8_PKS5_SA_S6_PS5_21rocsparse_index_base_b: ; @_ZN9rocsparseL19gebsrmvn_2xn_kernelILj128ELj5ELj16E21rocsparse_complex_numIdEEEvi20rocsparse_direction_NS_24const_host_device_scalarIT2_EEPKiS8_PKS5_SA_S6_PS5_21rocsparse_index_base_b
; %bb.0:
	s_load_b64 s[12:13], s[2:3], 0x50
	s_load_b64 s[16:17], s[0:1], 0x4
	s_load_b128 s[8:11], s[2:3], 0x8
	v_bfe_u32 v1, v0, 10, 10
	s_mov_b64 s[0:1], src_shared_base
	s_load_b128 s[4:7], s[2:3], 0x38
	v_and_b32_e32 v10, 0x3ff, v0
	v_bfe_u32 v0, v0, 20, 10
	s_waitcnt lgkmcnt(0)
	s_bitcmp1_b32 s13, 0
	v_mul_u32_u24_e32 v1, s17, v1
	s_cselect_b32 s0, -1, 0
	s_delay_alu instid0(SALU_CYCLE_1)
	s_and_b32 vcc_lo, s0, exec_lo
	s_cselect_b32 s13, s1, s9
	s_lshr_b32 s14, s16, 16
	v_dual_mov_b32 v2, s4 :: v_dual_mov_b32 v3, s5
	s_mul_i32 s14, s14, s17
	v_mov_b32_e32 v6, s13
	v_mad_u32_u24 v1, s14, v10, v1
	s_delay_alu instid0(VALU_DEP_1) | instskip(SKIP_1) | instid1(VALU_DEP_2)
	v_add_lshl_u32 v4, v1, v0, 3
	v_dual_mov_b32 v0, s8 :: v_dual_mov_b32 v1, s9
	v_add_nc_u32_e32 v5, 0x400, v4
	ds_store_2addr_stride64_b64 v4, v[2:3], v[0:1] offset1:2
	v_dual_mov_b32 v2, s10 :: v_dual_mov_b32 v3, s11
	v_cndmask_b32_e64 v5, s8, v5, s0
	s_xor_b32 s10, s0, -1
	flat_load_b64 v[0:1], v[5:6]
	s_cbranch_vccnz .LBB245_2
; %bb.1:
	v_dual_mov_b32 v2, s8 :: v_dual_mov_b32 v3, s9
	flat_load_b64 v[2:3], v[2:3] offset:8
.LBB245_2:
	s_and_b32 s8, s0, exec_lo
	s_cselect_b32 s1, s1, s5
	v_cndmask_b32_e64 v4, s4, v4, s0
	v_dual_mov_b32 v5, s1 :: v_dual_mov_b32 v6, s6
	v_mov_b32_e32 v7, s7
	s_and_not1_b32 vcc_lo, exec_lo, s10
	flat_load_b64 v[4:5], v[4:5]
	s_cbranch_vccnz .LBB245_4
; %bb.3:
	v_dual_mov_b32 v7, s5 :: v_dual_mov_b32 v6, s4
	flat_load_b64 v[6:7], v[6:7] offset:8
.LBB245_4:
	s_waitcnt vmcnt(1) lgkmcnt(1)
	v_cmp_eq_f64_e32 vcc_lo, 0, v[0:1]
	v_cmp_eq_f64_e64 s0, 0, v[2:3]
	s_delay_alu instid0(VALU_DEP_1)
	s_and_b32 s4, vcc_lo, s0
	s_mov_b32 s0, -1
	s_and_saveexec_b32 s1, s4
	s_cbranch_execz .LBB245_6
; %bb.5:
	s_waitcnt vmcnt(0) lgkmcnt(0)
	v_cmp_neq_f64_e32 vcc_lo, 1.0, v[4:5]
	v_cmp_neq_f64_e64 s0, 0, v[6:7]
	s_delay_alu instid0(VALU_DEP_1) | instskip(NEXT) | instid1(SALU_CYCLE_1)
	s_or_b32 s0, vcc_lo, s0
	s_or_not1_b32 s0, s0, exec_lo
.LBB245_6:
	s_or_b32 exec_lo, exec_lo, s1
	s_and_saveexec_b32 s1, s0
	s_cbranch_execz .LBB245_25
; %bb.7:
	s_load_b64 s[0:1], s[2:3], 0x0
	v_lshrrev_b32_e32 v8, 4, v10
	s_delay_alu instid0(VALU_DEP_1) | instskip(SKIP_1) | instid1(VALU_DEP_1)
	v_lshl_or_b32 v8, s15, 3, v8
	s_waitcnt lgkmcnt(0)
	v_cmp_gt_i32_e32 vcc_lo, s0, v8
	s_and_b32 exec_lo, exec_lo, vcc_lo
	s_cbranch_execz .LBB245_25
; %bb.8:
	s_load_b256 s[4:11], s[2:3], 0x18
	v_ashrrev_i32_e32 v9, 31, v8
	v_and_b32_e32 v25, 15, v10
	s_cmp_lg_u32 s1, 0
	s_delay_alu instid0(VALU_DEP_2) | instskip(SKIP_1) | instid1(VALU_DEP_1)
	v_lshlrev_b64 v[11:12], 2, v[8:9]
	s_waitcnt lgkmcnt(0)
	v_add_co_u32 v11, vcc_lo, s4, v11
	s_delay_alu instid0(VALU_DEP_2) | instskip(SKIP_4) | instid1(VALU_DEP_2)
	v_add_co_ci_u32_e32 v12, vcc_lo, s5, v12, vcc_lo
	global_load_b64 v[11:12], v[11:12], off
	s_waitcnt vmcnt(0)
	v_subrev_nc_u32_e32 v9, s12, v11
	v_subrev_nc_u32_e32 v24, s12, v12
	v_add_nc_u32_e32 v9, v9, v25
	s_delay_alu instid0(VALU_DEP_1)
	v_cmp_lt_i32_e64 s0, v9, v24
	s_cbranch_scc0 .LBB245_14
; %bb.9:
	v_mov_b32_e32 v11, 0
	v_mov_b32_e32 v12, 0
	s_delay_alu instid0(VALU_DEP_1)
	v_dual_mov_b32 v14, v12 :: v_dual_mov_b32 v13, v11
	v_dual_mov_b32 v16, v12 :: v_dual_mov_b32 v15, v11
	;; [unrolled: 1-line block ×3, first 2 shown]
	s_and_saveexec_b32 s1, s0
	s_cbranch_execz .LBB245_13
; %bb.10:
	v_dual_mov_b32 v11, 0 :: v_dual_mov_b32 v22, v9
	v_dual_mov_b32 v12, 0 :: v_dual_mov_b32 v21, 0
	v_mad_u64_u32 v[19:20], null, v9, 10, 8
	s_mov_b32 s4, 0
	s_delay_alu instid0(VALU_DEP_2)
	v_dual_mov_b32 v14, v12 :: v_dual_mov_b32 v13, v11
	v_dual_mov_b32 v16, v12 :: v_dual_mov_b32 v15, v11
	;; [unrolled: 1-line block ×3, first 2 shown]
.LBB245_11:                             ; =>This Inner Loop Header: Depth=1
	v_ashrrev_i32_e32 v23, 31, v22
	v_dual_mov_b32 v79, v21 :: v_dual_add_nc_u32 v20, -8, v19
	s_delay_alu instid0(VALU_DEP_2) | instskip(SKIP_1) | instid1(VALU_DEP_2)
	v_lshlrev_b64 v[26:27], 2, v[22:23]
	v_add_nc_u32_e32 v22, 16, v22
	v_add_co_u32 v26, vcc_lo, s6, v26
	s_delay_alu instid0(VALU_DEP_3) | instskip(SKIP_3) | instid1(VALU_DEP_1)
	v_add_co_ci_u32_e32 v27, vcc_lo, s7, v27, vcc_lo
	global_load_b32 v10, v[26:27], off
	v_lshlrev_b64 v[26:27], 4, v[20:21]
	v_add_nc_u32_e32 v20, -6, v19
	v_lshlrev_b64 v[38:39], 4, v[20:21]
	s_delay_alu instid0(VALU_DEP_3) | instskip(NEXT) | instid1(VALU_DEP_4)
	v_add_co_u32 v30, vcc_lo, s8, v26
	v_add_co_ci_u32_e32 v31, vcc_lo, s9, v27, vcc_lo
	global_load_b128 v[26:29], v[30:31], off offset:16
	s_waitcnt vmcnt(1)
	v_subrev_nc_u32_e32 v10, s12, v10
	s_delay_alu instid0(VALU_DEP_1) | instskip(NEXT) | instid1(VALU_DEP_1)
	v_lshl_add_u32 v78, v10, 2, v10
	v_lshlrev_b64 v[32:33], 4, v[78:79]
	v_add_nc_u32_e32 v20, 1, v78
	s_delay_alu instid0(VALU_DEP_1) | instskip(NEXT) | instid1(VALU_DEP_3)
	v_lshlrev_b64 v[44:45], 4, v[20:21]
	v_add_co_u32 v34, vcc_lo, s10, v32
	s_delay_alu instid0(VALU_DEP_4)
	v_add_co_ci_u32_e32 v35, vcc_lo, s11, v33, vcc_lo
	v_add_co_u32 v42, vcc_lo, s8, v38
	global_load_b128 v[30:33], v[30:31], off
	global_load_b128 v[34:37], v[34:35], off
	v_add_co_ci_u32_e32 v43, vcc_lo, s9, v39, vcc_lo
	v_add_co_u32 v46, vcc_lo, s10, v44
	v_add_co_ci_u32_e32 v47, vcc_lo, s11, v45, vcc_lo
	s_clause 0x1
	global_load_b128 v[38:41], v[42:43], off offset:16
	global_load_b128 v[42:45], v[42:43], off
	global_load_b128 v[46:49], v[46:47], off
	v_add_nc_u32_e32 v20, -4, v19
	s_delay_alu instid0(VALU_DEP_1) | instskip(SKIP_1) | instid1(VALU_DEP_1)
	v_lshlrev_b64 v[50:51], 4, v[20:21]
	v_add_nc_u32_e32 v20, 2, v78
	v_lshlrev_b64 v[52:53], 4, v[20:21]
	s_delay_alu instid0(VALU_DEP_3) | instskip(NEXT) | instid1(VALU_DEP_4)
	v_add_co_u32 v54, vcc_lo, s8, v50
	v_add_co_ci_u32_e32 v55, vcc_lo, s9, v51, vcc_lo
	v_add_nc_u32_e32 v20, -2, v19
	s_delay_alu instid0(VALU_DEP_4)
	v_add_co_u32 v58, vcc_lo, s10, v52
	v_add_co_ci_u32_e32 v59, vcc_lo, s11, v53, vcc_lo
	s_clause 0x1
	global_load_b128 v[50:53], v[54:55], off offset:16
	global_load_b128 v[54:57], v[54:55], off
	global_load_b128 v[58:61], v[58:59], off
	v_lshlrev_b64 v[62:63], 4, v[20:21]
	v_add_nc_u32_e32 v20, 3, v78
	s_delay_alu instid0(VALU_DEP_1) | instskip(NEXT) | instid1(VALU_DEP_3)
	v_lshlrev_b64 v[64:65], 4, v[20:21]
	v_add_co_u32 v66, vcc_lo, s8, v62
	s_delay_alu instid0(VALU_DEP_4) | instskip(SKIP_1) | instid1(VALU_DEP_4)
	v_add_co_ci_u32_e32 v67, vcc_lo, s9, v63, vcc_lo
	v_mov_b32_e32 v20, v21
	v_add_co_u32 v70, vcc_lo, s10, v64
	v_add_co_ci_u32_e32 v71, vcc_lo, s11, v65, vcc_lo
	s_clause 0x1
	global_load_b128 v[62:65], v[66:67], off offset:16
	global_load_b128 v[66:69], v[66:67], off
	global_load_b128 v[70:73], v[70:71], off
	v_lshlrev_b64 v[74:75], 4, v[19:20]
	v_add_nc_u32_e32 v19, 0xa0, v19
	v_add_nc_u32_e32 v20, 4, v78
	s_delay_alu instid0(VALU_DEP_3) | instskip(NEXT) | instid1(VALU_DEP_2)
	v_add_co_u32 v79, vcc_lo, s8, v74
	v_lshlrev_b64 v[81:82], 4, v[20:21]
	v_add_co_ci_u32_e32 v80, vcc_lo, s9, v75, vcc_lo
	s_delay_alu instid0(VALU_DEP_2) | instskip(NEXT) | instid1(VALU_DEP_3)
	v_add_co_u32 v83, vcc_lo, s10, v81
	v_add_co_ci_u32_e32 v84, vcc_lo, s11, v82, vcc_lo
	s_clause 0x1
	global_load_b128 v[74:77], v[79:80], off offset:16
	global_load_b128 v[78:81], v[79:80], off
	global_load_b128 v[82:85], v[83:84], off
	v_cmp_ge_i32_e32 vcc_lo, v22, v24
	s_or_b32 s4, vcc_lo, s4
	s_waitcnt vmcnt(12)
	v_fma_f64 v[13:14], v[30:31], v[34:35], v[13:14]
	v_fma_f64 v[10:11], v[32:33], v[34:35], v[11:12]
	;; [unrolled: 1-line block ×4, first 2 shown]
	s_delay_alu instid0(VALU_DEP_4) | instskip(NEXT) | instid1(VALU_DEP_4)
	v_fma_f64 v[12:13], -v[32:33], v[36:37], v[13:14]
	v_fma_f64 v[10:11], v[30:31], v[36:37], v[10:11]
	s_delay_alu instid0(VALU_DEP_4) | instskip(NEXT) | instid1(VALU_DEP_4)
	v_fma_f64 v[14:15], -v[28:29], v[36:37], v[15:16]
	v_fma_f64 v[16:17], v[26:27], v[36:37], v[17:18]
	s_waitcnt vmcnt(9)
	s_delay_alu instid0(VALU_DEP_4) | instskip(NEXT) | instid1(VALU_DEP_4)
	v_fma_f64 v[12:13], v[42:43], v[46:47], v[12:13]
	v_fma_f64 v[10:11], v[44:45], v[46:47], v[10:11]
	s_delay_alu instid0(VALU_DEP_4) | instskip(NEXT) | instid1(VALU_DEP_4)
	v_fma_f64 v[14:15], v[38:39], v[46:47], v[14:15]
	v_fma_f64 v[16:17], v[40:41], v[46:47], v[16:17]
	s_delay_alu instid0(VALU_DEP_4) | instskip(NEXT) | instid1(VALU_DEP_4)
	v_fma_f64 v[12:13], -v[44:45], v[48:49], v[12:13]
	v_fma_f64 v[10:11], v[42:43], v[48:49], v[10:11]
	s_delay_alu instid0(VALU_DEP_4) | instskip(NEXT) | instid1(VALU_DEP_4)
	v_fma_f64 v[14:15], -v[40:41], v[48:49], v[14:15]
	v_fma_f64 v[16:17], v[38:39], v[48:49], v[16:17]
	s_waitcnt vmcnt(6)
	s_delay_alu instid0(VALU_DEP_4) | instskip(NEXT) | instid1(VALU_DEP_4)
	v_fma_f64 v[12:13], v[54:55], v[58:59], v[12:13]
	v_fma_f64 v[10:11], v[56:57], v[58:59], v[10:11]
	s_delay_alu instid0(VALU_DEP_4) | instskip(NEXT) | instid1(VALU_DEP_4)
	v_fma_f64 v[14:15], v[50:51], v[58:59], v[14:15]
	v_fma_f64 v[16:17], v[52:53], v[58:59], v[16:17]
	;; [unrolled: 13-line block ×4, first 2 shown]
	s_delay_alu instid0(VALU_DEP_4) | instskip(NEXT) | instid1(VALU_DEP_4)
	v_fma_f64 v[13:14], -v[80:81], v[84:85], v[12:13]
	v_fma_f64 v[11:12], v[78:79], v[84:85], v[10:11]
	s_delay_alu instid0(VALU_DEP_4) | instskip(NEXT) | instid1(VALU_DEP_4)
	v_fma_f64 v[15:16], -v[76:77], v[84:85], v[26:27]
	v_fma_f64 v[17:18], v[74:75], v[84:85], v[17:18]
	s_and_not1_b32 exec_lo, exec_lo, s4
	s_cbranch_execnz .LBB245_11
; %bb.12:
	s_or_b32 exec_lo, exec_lo, s4
.LBB245_13:
	s_delay_alu instid0(SALU_CYCLE_1)
	s_or_b32 exec_lo, exec_lo, s1
	s_cbranch_execz .LBB245_15
	s_branch .LBB245_20
.LBB245_14:
                                        ; implicit-def: $vgpr11_vgpr12
                                        ; implicit-def: $vgpr13_vgpr14
                                        ; implicit-def: $vgpr15_vgpr16
                                        ; implicit-def: $vgpr17_vgpr18
.LBB245_15:
	v_mov_b32_e32 v11, 0
	v_mov_b32_e32 v12, 0
	s_delay_alu instid0(VALU_DEP_1)
	v_dual_mov_b32 v14, v12 :: v_dual_mov_b32 v13, v11
	v_dual_mov_b32 v16, v12 :: v_dual_mov_b32 v15, v11
	;; [unrolled: 1-line block ×3, first 2 shown]
	s_and_saveexec_b32 s1, s0
	s_cbranch_execz .LBB245_19
; %bb.16:
	v_mov_b32_e32 v11, 0
	v_dual_mov_b32 v12, 0 :: v_dual_mov_b32 v21, 0
	v_mad_u64_u32 v[19:20], null, v9, 10, 9
	s_mov_b32 s0, 0
	s_delay_alu instid0(VALU_DEP_2)
	v_dual_mov_b32 v14, v12 :: v_dual_mov_b32 v13, v11
	v_dual_mov_b32 v16, v12 :: v_dual_mov_b32 v15, v11
	;; [unrolled: 1-line block ×3, first 2 shown]
.LBB245_17:                             ; =>This Inner Loop Header: Depth=1
	v_ashrrev_i32_e32 v10, 31, v9
	v_dual_mov_b32 v79, v21 :: v_dual_add_nc_u32 v20, -9, v19
	s_delay_alu instid0(VALU_DEP_2) | instskip(NEXT) | instid1(VALU_DEP_2)
	v_lshlrev_b64 v[22:23], 2, v[9:10]
	v_lshlrev_b64 v[26:27], 4, v[20:21]
	v_add_nc_u32_e32 v9, 16, v9
	s_delay_alu instid0(VALU_DEP_3) | instskip(NEXT) | instid1(VALU_DEP_4)
	v_add_co_u32 v22, vcc_lo, s6, v22
	v_add_co_ci_u32_e32 v23, vcc_lo, s7, v23, vcc_lo
	s_delay_alu instid0(VALU_DEP_4)
	v_add_co_u32 v30, vcc_lo, s8, v26
	v_add_co_ci_u32_e32 v31, vcc_lo, s9, v27, vcc_lo
	global_load_b32 v10, v[22:23], off
	v_dual_mov_b32 v23, v21 :: v_dual_add_nc_u32 v22, -4, v19
	s_clause 0x1
	global_load_b128 v[26:29], v[30:31], off offset:16
	global_load_b128 v[30:33], v[30:31], off
	v_lshlrev_b64 v[22:23], 4, v[22:23]
	s_delay_alu instid0(VALU_DEP_1) | instskip(NEXT) | instid1(VALU_DEP_2)
	v_add_co_u32 v22, vcc_lo, s8, v22
	v_add_co_ci_u32_e32 v23, vcc_lo, s9, v23, vcc_lo
	s_waitcnt vmcnt(2)
	v_subrev_nc_u32_e32 v10, s12, v10
	s_delay_alu instid0(VALU_DEP_1) | instskip(NEXT) | instid1(VALU_DEP_1)
	v_lshl_add_u32 v78, v10, 2, v10
	v_lshlrev_b64 v[34:35], 4, v[78:79]
	v_add_nc_u32_e32 v20, 1, v78
	s_delay_alu instid0(VALU_DEP_2) | instskip(NEXT) | instid1(VALU_DEP_3)
	v_add_co_u32 v38, vcc_lo, s10, v34
	v_add_co_ci_u32_e32 v39, vcc_lo, s11, v35, vcc_lo
	global_load_b128 v[34:37], v[22:23], off
	global_load_b128 v[38:41], v[38:39], off
	v_lshlrev_b64 v[22:23], 4, v[20:21]
	v_add_nc_u32_e32 v20, -3, v19
	s_delay_alu instid0(VALU_DEP_1) | instskip(NEXT) | instid1(VALU_DEP_3)
	v_lshlrev_b64 v[42:43], 4, v[20:21]
	v_add_co_u32 v22, vcc_lo, s10, v22
	s_delay_alu instid0(VALU_DEP_4) | instskip(SKIP_1) | instid1(VALU_DEP_4)
	v_add_co_ci_u32_e32 v23, vcc_lo, s11, v23, vcc_lo
	v_add_nc_u32_e32 v20, -7, v19
	v_add_co_u32 v46, vcc_lo, s8, v42
	v_add_co_ci_u32_e32 v47, vcc_lo, s9, v43, vcc_lo
	global_load_b128 v[42:45], v[22:23], off
	global_load_b128 v[46:49], v[46:47], off
	v_lshlrev_b64 v[22:23], 4, v[20:21]
	v_add_nc_u32_e32 v20, 2, v78
	s_delay_alu instid0(VALU_DEP_1) | instskip(SKIP_1) | instid1(VALU_DEP_4)
	v_lshlrev_b64 v[50:51], 4, v[20:21]
	v_add_nc_u32_e32 v20, -2, v19
	v_add_co_u32 v22, vcc_lo, s8, v22
	v_add_co_ci_u32_e32 v23, vcc_lo, s9, v23, vcc_lo
	s_delay_alu instid0(VALU_DEP_3) | instskip(SKIP_3) | instid1(VALU_DEP_4)
	v_lshlrev_b64 v[52:53], 4, v[20:21]
	v_add_co_u32 v54, vcc_lo, s10, v50
	v_add_co_ci_u32_e32 v55, vcc_lo, s11, v51, vcc_lo
	v_add_nc_u32_e32 v20, -6, v19
	v_add_co_u32 v58, vcc_lo, s8, v52
	v_add_co_ci_u32_e32 v59, vcc_lo, s9, v53, vcc_lo
	global_load_b128 v[50:53], v[22:23], off
	global_load_b128 v[54:57], v[54:55], off
	;; [unrolled: 1-line block ×3, first 2 shown]
	v_lshlrev_b64 v[22:23], 4, v[20:21]
	v_add_nc_u32_e32 v20, 3, v78
	s_delay_alu instid0(VALU_DEP_1) | instskip(SKIP_1) | instid1(VALU_DEP_4)
	v_lshlrev_b64 v[62:63], 4, v[20:21]
	v_add_nc_u32_e32 v20, -1, v19
	v_add_co_u32 v22, vcc_lo, s8, v22
	v_add_co_ci_u32_e32 v23, vcc_lo, s9, v23, vcc_lo
	s_delay_alu instid0(VALU_DEP_3) | instskip(SKIP_3) | instid1(VALU_DEP_4)
	v_lshlrev_b64 v[64:65], 4, v[20:21]
	v_add_co_u32 v66, vcc_lo, s10, v62
	v_add_co_ci_u32_e32 v67, vcc_lo, s11, v63, vcc_lo
	v_mov_b32_e32 v20, v21
	v_add_co_u32 v70, vcc_lo, s8, v64
	v_add_co_ci_u32_e32 v71, vcc_lo, s9, v65, vcc_lo
	global_load_b128 v[62:65], v[22:23], off
	global_load_b128 v[66:69], v[66:67], off
	;; [unrolled: 1-line block ×3, first 2 shown]
	v_lshlrev_b64 v[22:23], 4, v[19:20]
	v_add_nc_u32_e32 v20, -5, v19
	v_add_nc_u32_e32 v19, 0xa0, v19
	s_delay_alu instid0(VALU_DEP_3) | instskip(NEXT) | instid1(VALU_DEP_4)
	v_add_co_u32 v22, vcc_lo, s8, v22
	v_add_co_ci_u32_e32 v23, vcc_lo, s9, v23, vcc_lo
	global_load_b128 v[74:77], v[22:23], off
	v_lshlrev_b64 v[22:23], 4, v[20:21]
	v_add_nc_u32_e32 v20, 4, v78
	s_delay_alu instid0(VALU_DEP_1) | instskip(NEXT) | instid1(VALU_DEP_3)
	v_lshlrev_b64 v[78:79], 4, v[20:21]
	v_add_co_u32 v22, vcc_lo, s8, v22
	s_delay_alu instid0(VALU_DEP_4) | instskip(NEXT) | instid1(VALU_DEP_3)
	v_add_co_ci_u32_e32 v23, vcc_lo, s9, v23, vcc_lo
	v_add_co_u32 v82, vcc_lo, s10, v78
	s_delay_alu instid0(VALU_DEP_4)
	v_add_co_ci_u32_e32 v83, vcc_lo, s11, v79, vcc_lo
	global_load_b128 v[78:81], v[22:23], off
	global_load_b128 v[82:85], v[82:83], off
	v_cmp_ge_i32_e32 vcc_lo, v9, v24
	s_or_b32 s0, vcc_lo, s0
	s_waitcnt vmcnt(11)
	v_fma_f64 v[13:14], v[30:31], v[38:39], v[13:14]
	v_fma_f64 v[10:11], v[32:33], v[38:39], v[11:12]
	;; [unrolled: 1-line block ×4, first 2 shown]
	s_delay_alu instid0(VALU_DEP_4) | instskip(NEXT) | instid1(VALU_DEP_4)
	v_fma_f64 v[12:13], -v[32:33], v[40:41], v[13:14]
	v_fma_f64 v[10:11], v[30:31], v[40:41], v[10:11]
	s_delay_alu instid0(VALU_DEP_4) | instskip(NEXT) | instid1(VALU_DEP_4)
	v_fma_f64 v[14:15], -v[36:37], v[40:41], v[15:16]
	v_fma_f64 v[16:17], v[34:35], v[40:41], v[17:18]
	s_waitcnt vmcnt(10)
	s_delay_alu instid0(VALU_DEP_4) | instskip(NEXT) | instid1(VALU_DEP_4)
	v_fma_f64 v[12:13], v[26:27], v[42:43], v[12:13]
	v_fma_f64 v[10:11], v[28:29], v[42:43], v[10:11]
	s_waitcnt vmcnt(9)
	s_delay_alu instid0(VALU_DEP_4) | instskip(NEXT) | instid1(VALU_DEP_4)
	v_fma_f64 v[14:15], v[46:47], v[42:43], v[14:15]
	v_fma_f64 v[16:17], v[48:49], v[42:43], v[16:17]
	s_delay_alu instid0(VALU_DEP_4) | instskip(NEXT) | instid1(VALU_DEP_4)
	v_fma_f64 v[12:13], -v[28:29], v[44:45], v[12:13]
	v_fma_f64 v[10:11], v[26:27], v[44:45], v[10:11]
	s_delay_alu instid0(VALU_DEP_4) | instskip(NEXT) | instid1(VALU_DEP_4)
	v_fma_f64 v[14:15], -v[48:49], v[44:45], v[14:15]
	v_fma_f64 v[16:17], v[46:47], v[44:45], v[16:17]
	s_waitcnt vmcnt(7)
	s_delay_alu instid0(VALU_DEP_4) | instskip(NEXT) | instid1(VALU_DEP_4)
	v_fma_f64 v[12:13], v[50:51], v[54:55], v[12:13]
	v_fma_f64 v[10:11], v[52:53], v[54:55], v[10:11]
	s_waitcnt vmcnt(6)
	s_delay_alu instid0(VALU_DEP_4) | instskip(NEXT) | instid1(VALU_DEP_4)
	v_fma_f64 v[14:15], v[58:59], v[54:55], v[14:15]
	v_fma_f64 v[16:17], v[60:61], v[54:55], v[16:17]
	;; [unrolled: 14-line block ×3, first 2 shown]
	s_delay_alu instid0(VALU_DEP_4) | instskip(NEXT) | instid1(VALU_DEP_4)
	v_fma_f64 v[12:13], -v[64:65], v[68:69], v[12:13]
	v_fma_f64 v[10:11], v[62:63], v[68:69], v[10:11]
	s_delay_alu instid0(VALU_DEP_4) | instskip(NEXT) | instid1(VALU_DEP_4)
	v_fma_f64 v[14:15], -v[72:73], v[68:69], v[14:15]
	v_fma_f64 v[16:17], v[70:71], v[68:69], v[16:17]
	s_waitcnt vmcnt(0)
	s_delay_alu instid0(VALU_DEP_4) | instskip(NEXT) | instid1(VALU_DEP_4)
	v_fma_f64 v[12:13], v[78:79], v[82:83], v[12:13]
	v_fma_f64 v[10:11], v[80:81], v[82:83], v[10:11]
	s_delay_alu instid0(VALU_DEP_4) | instskip(NEXT) | instid1(VALU_DEP_4)
	v_fma_f64 v[22:23], v[74:75], v[82:83], v[14:15]
	v_fma_f64 v[17:18], v[76:77], v[82:83], v[16:17]
	s_delay_alu instid0(VALU_DEP_4) | instskip(NEXT) | instid1(VALU_DEP_4)
	v_fma_f64 v[13:14], -v[80:81], v[84:85], v[12:13]
	v_fma_f64 v[11:12], v[78:79], v[84:85], v[10:11]
	s_delay_alu instid0(VALU_DEP_4) | instskip(NEXT) | instid1(VALU_DEP_4)
	v_fma_f64 v[15:16], -v[76:77], v[84:85], v[22:23]
	v_fma_f64 v[17:18], v[74:75], v[84:85], v[17:18]
	s_and_not1_b32 exec_lo, exec_lo, s0
	s_cbranch_execnz .LBB245_17
; %bb.18:
	s_or_b32 exec_lo, exec_lo, s0
.LBB245_19:
	s_delay_alu instid0(SALU_CYCLE_1)
	s_or_b32 exec_lo, exec_lo, s1
.LBB245_20:
	v_mbcnt_lo_u32_b32 v26, -1, 0
	s_delay_alu instid0(VALU_DEP_1) | instskip(NEXT) | instid1(VALU_DEP_1)
	v_xor_b32_e32 v9, 8, v26
	v_cmp_gt_i32_e32 vcc_lo, 32, v9
	v_cndmask_b32_e32 v9, v26, v9, vcc_lo
	s_delay_alu instid0(VALU_DEP_1)
	v_lshlrev_b32_e32 v24, 2, v9
	ds_bpermute_b32 v9, v24, v13
	ds_bpermute_b32 v10, v24, v14
	;; [unrolled: 1-line block ×8, first 2 shown]
	s_waitcnt lgkmcnt(6)
	v_add_f64 v[9:10], v[13:14], v[9:10]
	s_waitcnt lgkmcnt(4)
	v_add_f64 v[11:12], v[11:12], v[19:20]
	;; [unrolled: 2-line block ×4, first 2 shown]
	v_xor_b32_e32 v17, 4, v26
	s_delay_alu instid0(VALU_DEP_1) | instskip(SKIP_1) | instid1(VALU_DEP_1)
	v_cmp_gt_i32_e32 vcc_lo, 32, v17
	v_cndmask_b32_e32 v17, v26, v17, vcc_lo
	v_lshlrev_b32_e32 v24, 2, v17
	ds_bpermute_b32 v17, v24, v9
	ds_bpermute_b32 v18, v24, v10
	;; [unrolled: 1-line block ×8, first 2 shown]
	s_waitcnt lgkmcnt(6)
	v_add_f64 v[9:10], v[9:10], v[17:18]
	s_waitcnt lgkmcnt(4)
	v_add_f64 v[11:12], v[11:12], v[19:20]
	s_waitcnt lgkmcnt(2)
	v_add_f64 v[13:14], v[13:14], v[21:22]
	s_waitcnt lgkmcnt(0)
	v_add_f64 v[17:18], v[15:16], v[23:24]
	v_xor_b32_e32 v15, 2, v26
	s_delay_alu instid0(VALU_DEP_1) | instskip(SKIP_1) | instid1(VALU_DEP_1)
	v_cmp_gt_i32_e32 vcc_lo, 32, v15
	v_cndmask_b32_e32 v15, v26, v15, vcc_lo
	v_lshlrev_b32_e32 v24, 2, v15
	ds_bpermute_b32 v15, v24, v9
	ds_bpermute_b32 v16, v24, v10
	;; [unrolled: 1-line block ×8, first 2 shown]
	s_waitcnt lgkmcnt(6)
	v_add_f64 v[9:10], v[9:10], v[15:16]
	s_waitcnt lgkmcnt(4)
	v_add_f64 v[15:16], v[11:12], v[19:20]
	;; [unrolled: 2-line block ×4, first 2 shown]
	v_xor_b32_e32 v17, 1, v26
	s_delay_alu instid0(VALU_DEP_1) | instskip(SKIP_2) | instid1(VALU_DEP_2)
	v_cmp_gt_i32_e32 vcc_lo, 32, v17
	v_cndmask_b32_e32 v17, v26, v17, vcc_lo
	v_cmp_eq_u32_e32 vcc_lo, 15, v25
	v_lshlrev_b32_e32 v20, 2, v17
	ds_bpermute_b32 v23, v20, v9
	ds_bpermute_b32 v24, v20, v10
	;; [unrolled: 1-line block ×8, first 2 shown]
	s_and_b32 exec_lo, exec_lo, vcc_lo
	s_cbranch_execz .LBB245_25
; %bb.21:
	v_cmp_eq_f64_e32 vcc_lo, 0, v[4:5]
	v_cmp_eq_f64_e64 s0, 0, v[6:7]
	s_waitcnt lgkmcnt(6)
	v_add_f64 v[9:10], v[9:10], v[23:24]
	s_waitcnt lgkmcnt(4)
	v_add_f64 v[15:16], v[15:16], v[21:22]
	;; [unrolled: 2-line block ×4, first 2 shown]
	s_load_b64 s[2:3], s[2:3], 0x48
	s_and_b32 s0, vcc_lo, s0
	s_delay_alu instid0(SALU_CYCLE_1) | instskip(NEXT) | instid1(SALU_CYCLE_1)
	s_and_saveexec_b32 s1, s0
	s_xor_b32 s0, exec_lo, s1
	s_cbranch_execz .LBB245_23
; %bb.22:
	s_delay_alu instid0(VALU_DEP_3) | instskip(SKIP_1) | instid1(VALU_DEP_3)
	v_mul_f64 v[4:5], v[15:16], -v[2:3]
	v_mul_f64 v[6:7], v[0:1], v[15:16]
	v_mul_f64 v[15:16], v[13:14], -v[2:3]
	v_mul_f64 v[13:14], v[0:1], v[13:14]
	v_lshlrev_b32_e32 v8, 1, v8
	v_fma_f64 v[4:5], v[0:1], v[9:10], v[4:5]
	v_fma_f64 v[6:7], v[2:3], v[9:10], v[6:7]
	;; [unrolled: 1-line block ×4, first 2 shown]
	v_ashrrev_i32_e32 v9, 31, v8
                                        ; implicit-def: $vgpr15_vgpr16
                                        ; implicit-def: $vgpr11_vgpr12
                                        ; implicit-def: $vgpr13_vgpr14
	s_delay_alu instid0(VALU_DEP_1) | instskip(SKIP_1) | instid1(VALU_DEP_1)
	v_lshlrev_b64 v[8:9], 4, v[8:9]
	s_waitcnt lgkmcnt(0)
	v_add_co_u32 v8, vcc_lo, s2, v8
	s_delay_alu instid0(VALU_DEP_2)
	v_add_co_ci_u32_e32 v9, vcc_lo, s3, v9, vcc_lo
	s_clause 0x1
	global_store_b128 v[8:9], v[4:7], off
	global_store_b128 v[8:9], v[0:3], off offset:16
                                        ; implicit-def: $vgpr0_vgpr1
                                        ; implicit-def: $vgpr2_vgpr3
                                        ; implicit-def: $vgpr4_vgpr5
                                        ; implicit-def: $vgpr6_vgpr7
                                        ; implicit-def: $vgpr8
                                        ; implicit-def: $vgpr9_vgpr10
.LBB245_23:
	s_and_not1_saveexec_b32 s0, s0
	s_cbranch_execz .LBB245_25
; %bb.24:
	v_lshlrev_b32_e32 v17, 1, v8
	s_delay_alu instid0(VALU_DEP_4) | instskip(SKIP_1) | instid1(VALU_DEP_4)
	v_mul_f64 v[27:28], v[15:16], -v[2:3]
	v_mul_f64 v[15:16], v[0:1], v[15:16]
	v_mul_f64 v[29:30], v[13:14], -v[2:3]
	v_mul_f64 v[13:14], v[0:1], v[13:14]
	v_ashrrev_i32_e32 v18, 31, v17
	s_delay_alu instid0(VALU_DEP_1) | instskip(SKIP_1) | instid1(VALU_DEP_1)
	v_lshlrev_b64 v[17:18], 4, v[17:18]
	s_waitcnt lgkmcnt(0)
	v_add_co_u32 v25, vcc_lo, s2, v17
	s_delay_alu instid0(VALU_DEP_2)
	v_add_co_ci_u32_e32 v26, vcc_lo, s3, v18, vcc_lo
	s_clause 0x1
	global_load_b128 v[17:20], v[25:26], off
	global_load_b128 v[21:24], v[25:26], off offset:16
	v_fma_f64 v[27:28], v[0:1], v[9:10], v[27:28]
	v_fma_f64 v[8:9], v[2:3], v[9:10], v[15:16]
	;; [unrolled: 1-line block ×4, first 2 shown]
	s_waitcnt vmcnt(1)
	s_delay_alu instid0(VALU_DEP_4) | instskip(NEXT) | instid1(VALU_DEP_4)
	v_fma_f64 v[10:11], v[4:5], v[17:18], v[27:28]
	v_fma_f64 v[8:9], v[6:7], v[17:18], v[8:9]
	s_waitcnt vmcnt(0)
	s_delay_alu instid0(VALU_DEP_4) | instskip(NEXT) | instid1(VALU_DEP_4)
	v_fma_f64 v[12:13], v[4:5], v[21:22], v[0:1]
	v_fma_f64 v[14:15], v[6:7], v[21:22], v[2:3]
	s_delay_alu instid0(VALU_DEP_4) | instskip(NEXT) | instid1(VALU_DEP_4)
	v_fma_f64 v[0:1], -v[6:7], v[19:20], v[10:11]
	v_fma_f64 v[2:3], v[4:5], v[19:20], v[8:9]
	s_delay_alu instid0(VALU_DEP_4) | instskip(NEXT) | instid1(VALU_DEP_4)
	v_fma_f64 v[6:7], -v[6:7], v[23:24], v[12:13]
	v_fma_f64 v[8:9], v[4:5], v[23:24], v[14:15]
	s_clause 0x1
	global_store_b128 v[25:26], v[0:3], off
	global_store_b128 v[25:26], v[6:9], off offset:16
.LBB245_25:
	s_nop 0
	s_sendmsg sendmsg(MSG_DEALLOC_VGPRS)
	s_endpgm
	.section	.rodata,"a",@progbits
	.p2align	6, 0x0
	.amdhsa_kernel _ZN9rocsparseL19gebsrmvn_2xn_kernelILj128ELj5ELj16E21rocsparse_complex_numIdEEEvi20rocsparse_direction_NS_24const_host_device_scalarIT2_EEPKiS8_PKS5_SA_S6_PS5_21rocsparse_index_base_b
		.amdhsa_group_segment_fixed_size 2048
		.amdhsa_private_segment_fixed_size 0
		.amdhsa_kernarg_size 88
		.amdhsa_user_sgpr_count 15
		.amdhsa_user_sgpr_dispatch_ptr 1
		.amdhsa_user_sgpr_queue_ptr 0
		.amdhsa_user_sgpr_kernarg_segment_ptr 1
		.amdhsa_user_sgpr_dispatch_id 0
		.amdhsa_user_sgpr_private_segment_size 0
		.amdhsa_wavefront_size32 1
		.amdhsa_uses_dynamic_stack 0
		.amdhsa_enable_private_segment 0
		.amdhsa_system_sgpr_workgroup_id_x 1
		.amdhsa_system_sgpr_workgroup_id_y 0
		.amdhsa_system_sgpr_workgroup_id_z 0
		.amdhsa_system_sgpr_workgroup_info 0
		.amdhsa_system_vgpr_workitem_id 2
		.amdhsa_next_free_vgpr 86
		.amdhsa_next_free_sgpr 18
		.amdhsa_reserve_vcc 1
		.amdhsa_float_round_mode_32 0
		.amdhsa_float_round_mode_16_64 0
		.amdhsa_float_denorm_mode_32 3
		.amdhsa_float_denorm_mode_16_64 3
		.amdhsa_dx10_clamp 1
		.amdhsa_ieee_mode 1
		.amdhsa_fp16_overflow 0
		.amdhsa_workgroup_processor_mode 1
		.amdhsa_memory_ordered 1
		.amdhsa_forward_progress 0
		.amdhsa_shared_vgpr_count 0
		.amdhsa_exception_fp_ieee_invalid_op 0
		.amdhsa_exception_fp_denorm_src 0
		.amdhsa_exception_fp_ieee_div_zero 0
		.amdhsa_exception_fp_ieee_overflow 0
		.amdhsa_exception_fp_ieee_underflow 0
		.amdhsa_exception_fp_ieee_inexact 0
		.amdhsa_exception_int_div_zero 0
	.end_amdhsa_kernel
	.section	.text._ZN9rocsparseL19gebsrmvn_2xn_kernelILj128ELj5ELj16E21rocsparse_complex_numIdEEEvi20rocsparse_direction_NS_24const_host_device_scalarIT2_EEPKiS8_PKS5_SA_S6_PS5_21rocsparse_index_base_b,"axG",@progbits,_ZN9rocsparseL19gebsrmvn_2xn_kernelILj128ELj5ELj16E21rocsparse_complex_numIdEEEvi20rocsparse_direction_NS_24const_host_device_scalarIT2_EEPKiS8_PKS5_SA_S6_PS5_21rocsparse_index_base_b,comdat
.Lfunc_end245:
	.size	_ZN9rocsparseL19gebsrmvn_2xn_kernelILj128ELj5ELj16E21rocsparse_complex_numIdEEEvi20rocsparse_direction_NS_24const_host_device_scalarIT2_EEPKiS8_PKS5_SA_S6_PS5_21rocsparse_index_base_b, .Lfunc_end245-_ZN9rocsparseL19gebsrmvn_2xn_kernelILj128ELj5ELj16E21rocsparse_complex_numIdEEEvi20rocsparse_direction_NS_24const_host_device_scalarIT2_EEPKiS8_PKS5_SA_S6_PS5_21rocsparse_index_base_b
                                        ; -- End function
	.section	.AMDGPU.csdata,"",@progbits
; Kernel info:
; codeLenInByte = 3616
; NumSgprs: 20
; NumVgprs: 86
; ScratchSize: 0
; MemoryBound: 0
; FloatMode: 240
; IeeeMode: 1
; LDSByteSize: 2048 bytes/workgroup (compile time only)
; SGPRBlocks: 2
; VGPRBlocks: 10
; NumSGPRsForWavesPerEU: 20
; NumVGPRsForWavesPerEU: 86
; Occupancy: 16
; WaveLimiterHint : 1
; COMPUTE_PGM_RSRC2:SCRATCH_EN: 0
; COMPUTE_PGM_RSRC2:USER_SGPR: 15
; COMPUTE_PGM_RSRC2:TRAP_HANDLER: 0
; COMPUTE_PGM_RSRC2:TGID_X_EN: 1
; COMPUTE_PGM_RSRC2:TGID_Y_EN: 0
; COMPUTE_PGM_RSRC2:TGID_Z_EN: 0
; COMPUTE_PGM_RSRC2:TIDIG_COMP_CNT: 2
	.section	.text._ZN9rocsparseL19gebsrmvn_2xn_kernelILj128ELj5ELj32E21rocsparse_complex_numIdEEEvi20rocsparse_direction_NS_24const_host_device_scalarIT2_EEPKiS8_PKS5_SA_S6_PS5_21rocsparse_index_base_b,"axG",@progbits,_ZN9rocsparseL19gebsrmvn_2xn_kernelILj128ELj5ELj32E21rocsparse_complex_numIdEEEvi20rocsparse_direction_NS_24const_host_device_scalarIT2_EEPKiS8_PKS5_SA_S6_PS5_21rocsparse_index_base_b,comdat
	.globl	_ZN9rocsparseL19gebsrmvn_2xn_kernelILj128ELj5ELj32E21rocsparse_complex_numIdEEEvi20rocsparse_direction_NS_24const_host_device_scalarIT2_EEPKiS8_PKS5_SA_S6_PS5_21rocsparse_index_base_b ; -- Begin function _ZN9rocsparseL19gebsrmvn_2xn_kernelILj128ELj5ELj32E21rocsparse_complex_numIdEEEvi20rocsparse_direction_NS_24const_host_device_scalarIT2_EEPKiS8_PKS5_SA_S6_PS5_21rocsparse_index_base_b
	.p2align	8
	.type	_ZN9rocsparseL19gebsrmvn_2xn_kernelILj128ELj5ELj32E21rocsparse_complex_numIdEEEvi20rocsparse_direction_NS_24const_host_device_scalarIT2_EEPKiS8_PKS5_SA_S6_PS5_21rocsparse_index_base_b,@function
_ZN9rocsparseL19gebsrmvn_2xn_kernelILj128ELj5ELj32E21rocsparse_complex_numIdEEEvi20rocsparse_direction_NS_24const_host_device_scalarIT2_EEPKiS8_PKS5_SA_S6_PS5_21rocsparse_index_base_b: ; @_ZN9rocsparseL19gebsrmvn_2xn_kernelILj128ELj5ELj32E21rocsparse_complex_numIdEEEvi20rocsparse_direction_NS_24const_host_device_scalarIT2_EEPKiS8_PKS5_SA_S6_PS5_21rocsparse_index_base_b
; %bb.0:
	s_load_b64 s[12:13], s[2:3], 0x50
	s_load_b64 s[16:17], s[0:1], 0x4
	s_load_b128 s[8:11], s[2:3], 0x8
	v_bfe_u32 v1, v0, 10, 10
	s_mov_b64 s[0:1], src_shared_base
	s_load_b128 s[4:7], s[2:3], 0x38
	v_and_b32_e32 v10, 0x3ff, v0
	v_bfe_u32 v0, v0, 20, 10
	s_waitcnt lgkmcnt(0)
	s_bitcmp1_b32 s13, 0
	v_mul_u32_u24_e32 v1, s17, v1
	s_cselect_b32 s0, -1, 0
	s_delay_alu instid0(SALU_CYCLE_1)
	s_and_b32 vcc_lo, s0, exec_lo
	s_cselect_b32 s13, s1, s9
	s_lshr_b32 s14, s16, 16
	v_dual_mov_b32 v2, s4 :: v_dual_mov_b32 v3, s5
	s_mul_i32 s14, s14, s17
	v_mov_b32_e32 v6, s13
	v_mad_u32_u24 v1, s14, v10, v1
	s_delay_alu instid0(VALU_DEP_1) | instskip(SKIP_1) | instid1(VALU_DEP_2)
	v_add_lshl_u32 v4, v1, v0, 3
	v_dual_mov_b32 v0, s8 :: v_dual_mov_b32 v1, s9
	v_add_nc_u32_e32 v5, 0x400, v4
	ds_store_2addr_stride64_b64 v4, v[2:3], v[0:1] offset1:2
	v_dual_mov_b32 v2, s10 :: v_dual_mov_b32 v3, s11
	v_cndmask_b32_e64 v5, s8, v5, s0
	s_xor_b32 s10, s0, -1
	flat_load_b64 v[0:1], v[5:6]
	s_cbranch_vccnz .LBB246_2
; %bb.1:
	v_dual_mov_b32 v2, s8 :: v_dual_mov_b32 v3, s9
	flat_load_b64 v[2:3], v[2:3] offset:8
.LBB246_2:
	s_and_b32 s8, s0, exec_lo
	s_cselect_b32 s1, s1, s5
	v_cndmask_b32_e64 v4, s4, v4, s0
	v_dual_mov_b32 v5, s1 :: v_dual_mov_b32 v6, s6
	v_mov_b32_e32 v7, s7
	s_and_not1_b32 vcc_lo, exec_lo, s10
	flat_load_b64 v[4:5], v[4:5]
	s_cbranch_vccnz .LBB246_4
; %bb.3:
	v_dual_mov_b32 v7, s5 :: v_dual_mov_b32 v6, s4
	flat_load_b64 v[6:7], v[6:7] offset:8
.LBB246_4:
	s_waitcnt vmcnt(1) lgkmcnt(1)
	v_cmp_eq_f64_e32 vcc_lo, 0, v[0:1]
	v_cmp_eq_f64_e64 s0, 0, v[2:3]
	s_delay_alu instid0(VALU_DEP_1)
	s_and_b32 s4, vcc_lo, s0
	s_mov_b32 s0, -1
	s_and_saveexec_b32 s1, s4
	s_cbranch_execz .LBB246_6
; %bb.5:
	s_waitcnt vmcnt(0) lgkmcnt(0)
	v_cmp_neq_f64_e32 vcc_lo, 1.0, v[4:5]
	v_cmp_neq_f64_e64 s0, 0, v[6:7]
	s_delay_alu instid0(VALU_DEP_1) | instskip(NEXT) | instid1(SALU_CYCLE_1)
	s_or_b32 s0, vcc_lo, s0
	s_or_not1_b32 s0, s0, exec_lo
.LBB246_6:
	s_or_b32 exec_lo, exec_lo, s1
	s_and_saveexec_b32 s1, s0
	s_cbranch_execz .LBB246_25
; %bb.7:
	s_load_b64 s[0:1], s[2:3], 0x0
	v_lshrrev_b32_e32 v8, 5, v10
	s_delay_alu instid0(VALU_DEP_1) | instskip(SKIP_1) | instid1(VALU_DEP_1)
	v_lshl_or_b32 v8, s15, 2, v8
	s_waitcnt lgkmcnt(0)
	v_cmp_gt_i32_e32 vcc_lo, s0, v8
	s_and_b32 exec_lo, exec_lo, vcc_lo
	s_cbranch_execz .LBB246_25
; %bb.8:
	s_load_b256 s[4:11], s[2:3], 0x18
	v_ashrrev_i32_e32 v9, 31, v8
	v_and_b32_e32 v25, 31, v10
	s_cmp_lg_u32 s1, 0
	s_delay_alu instid0(VALU_DEP_2) | instskip(SKIP_1) | instid1(VALU_DEP_1)
	v_lshlrev_b64 v[11:12], 2, v[8:9]
	s_waitcnt lgkmcnt(0)
	v_add_co_u32 v11, vcc_lo, s4, v11
	s_delay_alu instid0(VALU_DEP_2) | instskip(SKIP_4) | instid1(VALU_DEP_2)
	v_add_co_ci_u32_e32 v12, vcc_lo, s5, v12, vcc_lo
	global_load_b64 v[11:12], v[11:12], off
	s_waitcnt vmcnt(0)
	v_subrev_nc_u32_e32 v9, s12, v11
	v_subrev_nc_u32_e32 v24, s12, v12
	v_add_nc_u32_e32 v11, v9, v25
	s_delay_alu instid0(VALU_DEP_1)
	v_cmp_lt_i32_e64 s0, v11, v24
	s_cbranch_scc0 .LBB246_14
; %bb.9:
	v_mov_b32_e32 v9, 0
	v_mov_b32_e32 v10, 0
	s_delay_alu instid0(VALU_DEP_1)
	v_dual_mov_b32 v14, v10 :: v_dual_mov_b32 v13, v9
	v_dual_mov_b32 v16, v10 :: v_dual_mov_b32 v15, v9
	;; [unrolled: 1-line block ×3, first 2 shown]
	s_and_saveexec_b32 s1, s0
	s_cbranch_execz .LBB246_13
; %bb.10:
	v_dual_mov_b32 v9, 0 :: v_dual_mov_b32 v22, v11
	v_dual_mov_b32 v10, 0 :: v_dual_mov_b32 v21, 0
	v_mad_u64_u32 v[19:20], null, v11, 10, 8
	s_mov_b32 s4, 0
	s_delay_alu instid0(VALU_DEP_2)
	v_dual_mov_b32 v14, v10 :: v_dual_mov_b32 v13, v9
	v_dual_mov_b32 v16, v10 :: v_dual_mov_b32 v15, v9
	;; [unrolled: 1-line block ×3, first 2 shown]
.LBB246_11:                             ; =>This Inner Loop Header: Depth=1
	v_ashrrev_i32_e32 v23, 31, v22
	v_dual_mov_b32 v79, v21 :: v_dual_add_nc_u32 v20, -8, v19
	s_delay_alu instid0(VALU_DEP_2) | instskip(SKIP_1) | instid1(VALU_DEP_2)
	v_lshlrev_b64 v[26:27], 2, v[22:23]
	v_add_nc_u32_e32 v22, 32, v22
	v_add_co_u32 v26, vcc_lo, s6, v26
	s_delay_alu instid0(VALU_DEP_3) | instskip(SKIP_3) | instid1(VALU_DEP_1)
	v_add_co_ci_u32_e32 v27, vcc_lo, s7, v27, vcc_lo
	global_load_b32 v12, v[26:27], off
	v_lshlrev_b64 v[26:27], 4, v[20:21]
	v_add_nc_u32_e32 v20, -6, v19
	v_lshlrev_b64 v[38:39], 4, v[20:21]
	s_delay_alu instid0(VALU_DEP_3) | instskip(NEXT) | instid1(VALU_DEP_4)
	v_add_co_u32 v30, vcc_lo, s8, v26
	v_add_co_ci_u32_e32 v31, vcc_lo, s9, v27, vcc_lo
	global_load_b128 v[26:29], v[30:31], off offset:16
	s_waitcnt vmcnt(1)
	v_subrev_nc_u32_e32 v12, s12, v12
	s_delay_alu instid0(VALU_DEP_1) | instskip(NEXT) | instid1(VALU_DEP_1)
	v_lshl_add_u32 v78, v12, 2, v12
	v_lshlrev_b64 v[32:33], 4, v[78:79]
	v_add_nc_u32_e32 v20, 1, v78
	s_delay_alu instid0(VALU_DEP_1) | instskip(NEXT) | instid1(VALU_DEP_3)
	v_lshlrev_b64 v[44:45], 4, v[20:21]
	v_add_co_u32 v34, vcc_lo, s10, v32
	s_delay_alu instid0(VALU_DEP_4)
	v_add_co_ci_u32_e32 v35, vcc_lo, s11, v33, vcc_lo
	v_add_co_u32 v42, vcc_lo, s8, v38
	global_load_b128 v[30:33], v[30:31], off
	global_load_b128 v[34:37], v[34:35], off
	v_add_co_ci_u32_e32 v43, vcc_lo, s9, v39, vcc_lo
	v_add_co_u32 v46, vcc_lo, s10, v44
	v_add_co_ci_u32_e32 v47, vcc_lo, s11, v45, vcc_lo
	s_clause 0x1
	global_load_b128 v[38:41], v[42:43], off offset:16
	global_load_b128 v[42:45], v[42:43], off
	global_load_b128 v[46:49], v[46:47], off
	v_add_nc_u32_e32 v20, -4, v19
	s_delay_alu instid0(VALU_DEP_1) | instskip(SKIP_1) | instid1(VALU_DEP_1)
	v_lshlrev_b64 v[50:51], 4, v[20:21]
	v_add_nc_u32_e32 v20, 2, v78
	v_lshlrev_b64 v[52:53], 4, v[20:21]
	s_delay_alu instid0(VALU_DEP_3) | instskip(NEXT) | instid1(VALU_DEP_4)
	v_add_co_u32 v54, vcc_lo, s8, v50
	v_add_co_ci_u32_e32 v55, vcc_lo, s9, v51, vcc_lo
	v_add_nc_u32_e32 v20, -2, v19
	s_delay_alu instid0(VALU_DEP_4)
	v_add_co_u32 v58, vcc_lo, s10, v52
	v_add_co_ci_u32_e32 v59, vcc_lo, s11, v53, vcc_lo
	s_clause 0x1
	global_load_b128 v[50:53], v[54:55], off offset:16
	global_load_b128 v[54:57], v[54:55], off
	global_load_b128 v[58:61], v[58:59], off
	v_lshlrev_b64 v[62:63], 4, v[20:21]
	v_add_nc_u32_e32 v20, 3, v78
	s_delay_alu instid0(VALU_DEP_1) | instskip(NEXT) | instid1(VALU_DEP_3)
	v_lshlrev_b64 v[64:65], 4, v[20:21]
	v_add_co_u32 v66, vcc_lo, s8, v62
	s_delay_alu instid0(VALU_DEP_4) | instskip(SKIP_1) | instid1(VALU_DEP_4)
	v_add_co_ci_u32_e32 v67, vcc_lo, s9, v63, vcc_lo
	v_mov_b32_e32 v20, v21
	v_add_co_u32 v70, vcc_lo, s10, v64
	v_add_co_ci_u32_e32 v71, vcc_lo, s11, v65, vcc_lo
	s_clause 0x1
	global_load_b128 v[62:65], v[66:67], off offset:16
	global_load_b128 v[66:69], v[66:67], off
	global_load_b128 v[70:73], v[70:71], off
	v_lshlrev_b64 v[74:75], 4, v[19:20]
	v_add_nc_u32_e32 v19, 0x140, v19
	v_add_nc_u32_e32 v20, 4, v78
	s_delay_alu instid0(VALU_DEP_3) | instskip(NEXT) | instid1(VALU_DEP_2)
	v_add_co_u32 v79, vcc_lo, s8, v74
	v_lshlrev_b64 v[81:82], 4, v[20:21]
	v_add_co_ci_u32_e32 v80, vcc_lo, s9, v75, vcc_lo
	s_delay_alu instid0(VALU_DEP_2) | instskip(NEXT) | instid1(VALU_DEP_3)
	v_add_co_u32 v83, vcc_lo, s10, v81
	v_add_co_ci_u32_e32 v84, vcc_lo, s11, v82, vcc_lo
	s_clause 0x1
	global_load_b128 v[74:77], v[79:80], off offset:16
	global_load_b128 v[78:81], v[79:80], off
	global_load_b128 v[82:85], v[83:84], off
	v_cmp_ge_i32_e32 vcc_lo, v22, v24
	s_or_b32 s4, vcc_lo, s4
	s_waitcnt vmcnt(12)
	v_fma_f64 v[12:13], v[30:31], v[34:35], v[13:14]
	v_fma_f64 v[9:10], v[32:33], v[34:35], v[9:10]
	;; [unrolled: 1-line block ×4, first 2 shown]
	s_delay_alu instid0(VALU_DEP_4) | instskip(NEXT) | instid1(VALU_DEP_4)
	v_fma_f64 v[12:13], -v[32:33], v[36:37], v[12:13]
	v_fma_f64 v[9:10], v[30:31], v[36:37], v[9:10]
	s_delay_alu instid0(VALU_DEP_4) | instskip(NEXT) | instid1(VALU_DEP_4)
	v_fma_f64 v[14:15], -v[28:29], v[36:37], v[14:15]
	v_fma_f64 v[16:17], v[26:27], v[36:37], v[16:17]
	s_waitcnt vmcnt(9)
	s_delay_alu instid0(VALU_DEP_4) | instskip(NEXT) | instid1(VALU_DEP_4)
	v_fma_f64 v[12:13], v[42:43], v[46:47], v[12:13]
	v_fma_f64 v[9:10], v[44:45], v[46:47], v[9:10]
	s_delay_alu instid0(VALU_DEP_4) | instskip(NEXT) | instid1(VALU_DEP_4)
	v_fma_f64 v[14:15], v[38:39], v[46:47], v[14:15]
	v_fma_f64 v[16:17], v[40:41], v[46:47], v[16:17]
	s_delay_alu instid0(VALU_DEP_4) | instskip(NEXT) | instid1(VALU_DEP_4)
	v_fma_f64 v[12:13], -v[44:45], v[48:49], v[12:13]
	v_fma_f64 v[9:10], v[42:43], v[48:49], v[9:10]
	s_delay_alu instid0(VALU_DEP_4) | instskip(NEXT) | instid1(VALU_DEP_4)
	v_fma_f64 v[14:15], -v[40:41], v[48:49], v[14:15]
	v_fma_f64 v[16:17], v[38:39], v[48:49], v[16:17]
	s_waitcnt vmcnt(6)
	s_delay_alu instid0(VALU_DEP_4) | instskip(NEXT) | instid1(VALU_DEP_4)
	v_fma_f64 v[12:13], v[54:55], v[58:59], v[12:13]
	v_fma_f64 v[9:10], v[56:57], v[58:59], v[9:10]
	s_delay_alu instid0(VALU_DEP_4) | instskip(NEXT) | instid1(VALU_DEP_4)
	v_fma_f64 v[14:15], v[50:51], v[58:59], v[14:15]
	v_fma_f64 v[16:17], v[52:53], v[58:59], v[16:17]
	;; [unrolled: 13-line block ×4, first 2 shown]
	s_delay_alu instid0(VALU_DEP_4) | instskip(NEXT) | instid1(VALU_DEP_4)
	v_fma_f64 v[13:14], -v[80:81], v[84:85], v[12:13]
	v_fma_f64 v[9:10], v[78:79], v[84:85], v[9:10]
	s_delay_alu instid0(VALU_DEP_4) | instskip(NEXT) | instid1(VALU_DEP_4)
	v_fma_f64 v[15:16], -v[76:77], v[84:85], v[26:27]
	v_fma_f64 v[17:18], v[74:75], v[84:85], v[17:18]
	s_and_not1_b32 exec_lo, exec_lo, s4
	s_cbranch_execnz .LBB246_11
; %bb.12:
	s_or_b32 exec_lo, exec_lo, s4
.LBB246_13:
	s_delay_alu instid0(SALU_CYCLE_1)
	s_or_b32 exec_lo, exec_lo, s1
	s_cbranch_execz .LBB246_15
	s_branch .LBB246_20
.LBB246_14:
                                        ; implicit-def: $vgpr9_vgpr10
                                        ; implicit-def: $vgpr13_vgpr14
                                        ; implicit-def: $vgpr15_vgpr16
                                        ; implicit-def: $vgpr17_vgpr18
.LBB246_15:
	v_mov_b32_e32 v9, 0
	v_mov_b32_e32 v10, 0
	s_delay_alu instid0(VALU_DEP_1)
	v_dual_mov_b32 v14, v10 :: v_dual_mov_b32 v13, v9
	v_dual_mov_b32 v16, v10 :: v_dual_mov_b32 v15, v9
	;; [unrolled: 1-line block ×3, first 2 shown]
	s_and_saveexec_b32 s1, s0
	s_cbranch_execz .LBB246_19
; %bb.16:
	v_mov_b32_e32 v9, 0
	v_dual_mov_b32 v10, 0 :: v_dual_mov_b32 v21, 0
	v_mad_u64_u32 v[19:20], null, v11, 10, 9
	s_mov_b32 s0, 0
	s_delay_alu instid0(VALU_DEP_2)
	v_dual_mov_b32 v14, v10 :: v_dual_mov_b32 v13, v9
	v_dual_mov_b32 v16, v10 :: v_dual_mov_b32 v15, v9
	v_dual_mov_b32 v18, v10 :: v_dual_mov_b32 v17, v9
.LBB246_17:                             ; =>This Inner Loop Header: Depth=1
	v_ashrrev_i32_e32 v12, 31, v11
	v_dual_mov_b32 v79, v21 :: v_dual_add_nc_u32 v20, -9, v19
	s_delay_alu instid0(VALU_DEP_2) | instskip(NEXT) | instid1(VALU_DEP_2)
	v_lshlrev_b64 v[22:23], 2, v[11:12]
	v_lshlrev_b64 v[26:27], 4, v[20:21]
	v_add_nc_u32_e32 v11, 32, v11
	s_delay_alu instid0(VALU_DEP_3) | instskip(NEXT) | instid1(VALU_DEP_4)
	v_add_co_u32 v22, vcc_lo, s6, v22
	v_add_co_ci_u32_e32 v23, vcc_lo, s7, v23, vcc_lo
	s_delay_alu instid0(VALU_DEP_4)
	v_add_co_u32 v30, vcc_lo, s8, v26
	v_add_co_ci_u32_e32 v31, vcc_lo, s9, v27, vcc_lo
	global_load_b32 v12, v[22:23], off
	v_dual_mov_b32 v23, v21 :: v_dual_add_nc_u32 v22, -4, v19
	s_clause 0x1
	global_load_b128 v[26:29], v[30:31], off offset:16
	global_load_b128 v[30:33], v[30:31], off
	v_lshlrev_b64 v[22:23], 4, v[22:23]
	s_delay_alu instid0(VALU_DEP_1) | instskip(NEXT) | instid1(VALU_DEP_2)
	v_add_co_u32 v22, vcc_lo, s8, v22
	v_add_co_ci_u32_e32 v23, vcc_lo, s9, v23, vcc_lo
	s_waitcnt vmcnt(2)
	v_subrev_nc_u32_e32 v12, s12, v12
	s_delay_alu instid0(VALU_DEP_1) | instskip(NEXT) | instid1(VALU_DEP_1)
	v_lshl_add_u32 v78, v12, 2, v12
	v_lshlrev_b64 v[34:35], 4, v[78:79]
	v_add_nc_u32_e32 v20, 1, v78
	s_delay_alu instid0(VALU_DEP_2) | instskip(NEXT) | instid1(VALU_DEP_3)
	v_add_co_u32 v38, vcc_lo, s10, v34
	v_add_co_ci_u32_e32 v39, vcc_lo, s11, v35, vcc_lo
	global_load_b128 v[34:37], v[22:23], off
	global_load_b128 v[38:41], v[38:39], off
	v_lshlrev_b64 v[22:23], 4, v[20:21]
	v_add_nc_u32_e32 v20, -3, v19
	s_delay_alu instid0(VALU_DEP_1) | instskip(NEXT) | instid1(VALU_DEP_3)
	v_lshlrev_b64 v[42:43], 4, v[20:21]
	v_add_co_u32 v22, vcc_lo, s10, v22
	s_delay_alu instid0(VALU_DEP_4) | instskip(SKIP_1) | instid1(VALU_DEP_4)
	v_add_co_ci_u32_e32 v23, vcc_lo, s11, v23, vcc_lo
	v_add_nc_u32_e32 v20, -7, v19
	v_add_co_u32 v46, vcc_lo, s8, v42
	v_add_co_ci_u32_e32 v47, vcc_lo, s9, v43, vcc_lo
	global_load_b128 v[42:45], v[22:23], off
	global_load_b128 v[46:49], v[46:47], off
	v_lshlrev_b64 v[22:23], 4, v[20:21]
	v_add_nc_u32_e32 v20, 2, v78
	s_delay_alu instid0(VALU_DEP_1) | instskip(SKIP_1) | instid1(VALU_DEP_4)
	v_lshlrev_b64 v[50:51], 4, v[20:21]
	v_add_nc_u32_e32 v20, -2, v19
	v_add_co_u32 v22, vcc_lo, s8, v22
	v_add_co_ci_u32_e32 v23, vcc_lo, s9, v23, vcc_lo
	s_delay_alu instid0(VALU_DEP_3) | instskip(SKIP_3) | instid1(VALU_DEP_4)
	v_lshlrev_b64 v[52:53], 4, v[20:21]
	v_add_co_u32 v54, vcc_lo, s10, v50
	v_add_co_ci_u32_e32 v55, vcc_lo, s11, v51, vcc_lo
	v_add_nc_u32_e32 v20, -6, v19
	v_add_co_u32 v58, vcc_lo, s8, v52
	v_add_co_ci_u32_e32 v59, vcc_lo, s9, v53, vcc_lo
	global_load_b128 v[50:53], v[22:23], off
	global_load_b128 v[54:57], v[54:55], off
	;; [unrolled: 1-line block ×3, first 2 shown]
	v_lshlrev_b64 v[22:23], 4, v[20:21]
	v_add_nc_u32_e32 v20, 3, v78
	s_delay_alu instid0(VALU_DEP_1) | instskip(SKIP_1) | instid1(VALU_DEP_4)
	v_lshlrev_b64 v[62:63], 4, v[20:21]
	v_add_nc_u32_e32 v20, -1, v19
	v_add_co_u32 v22, vcc_lo, s8, v22
	v_add_co_ci_u32_e32 v23, vcc_lo, s9, v23, vcc_lo
	s_delay_alu instid0(VALU_DEP_3) | instskip(SKIP_3) | instid1(VALU_DEP_4)
	v_lshlrev_b64 v[64:65], 4, v[20:21]
	v_add_co_u32 v66, vcc_lo, s10, v62
	v_add_co_ci_u32_e32 v67, vcc_lo, s11, v63, vcc_lo
	v_mov_b32_e32 v20, v21
	v_add_co_u32 v70, vcc_lo, s8, v64
	v_add_co_ci_u32_e32 v71, vcc_lo, s9, v65, vcc_lo
	global_load_b128 v[62:65], v[22:23], off
	global_load_b128 v[66:69], v[66:67], off
	;; [unrolled: 1-line block ×3, first 2 shown]
	v_lshlrev_b64 v[22:23], 4, v[19:20]
	v_add_nc_u32_e32 v20, -5, v19
	v_add_nc_u32_e32 v19, 0x140, v19
	s_delay_alu instid0(VALU_DEP_3) | instskip(NEXT) | instid1(VALU_DEP_4)
	v_add_co_u32 v22, vcc_lo, s8, v22
	v_add_co_ci_u32_e32 v23, vcc_lo, s9, v23, vcc_lo
	global_load_b128 v[74:77], v[22:23], off
	v_lshlrev_b64 v[22:23], 4, v[20:21]
	v_add_nc_u32_e32 v20, 4, v78
	s_delay_alu instid0(VALU_DEP_1) | instskip(NEXT) | instid1(VALU_DEP_3)
	v_lshlrev_b64 v[78:79], 4, v[20:21]
	v_add_co_u32 v22, vcc_lo, s8, v22
	s_delay_alu instid0(VALU_DEP_4) | instskip(NEXT) | instid1(VALU_DEP_3)
	v_add_co_ci_u32_e32 v23, vcc_lo, s9, v23, vcc_lo
	v_add_co_u32 v82, vcc_lo, s10, v78
	s_delay_alu instid0(VALU_DEP_4)
	v_add_co_ci_u32_e32 v83, vcc_lo, s11, v79, vcc_lo
	global_load_b128 v[78:81], v[22:23], off
	global_load_b128 v[82:85], v[82:83], off
	v_cmp_ge_i32_e32 vcc_lo, v11, v24
	s_or_b32 s0, vcc_lo, s0
	s_waitcnt vmcnt(11)
	v_fma_f64 v[12:13], v[30:31], v[38:39], v[13:14]
	v_fma_f64 v[9:10], v[32:33], v[38:39], v[9:10]
	v_fma_f64 v[14:15], v[34:35], v[38:39], v[15:16]
	v_fma_f64 v[16:17], v[36:37], v[38:39], v[17:18]
	s_delay_alu instid0(VALU_DEP_4) | instskip(NEXT) | instid1(VALU_DEP_4)
	v_fma_f64 v[12:13], -v[32:33], v[40:41], v[12:13]
	v_fma_f64 v[9:10], v[30:31], v[40:41], v[9:10]
	s_delay_alu instid0(VALU_DEP_4) | instskip(NEXT) | instid1(VALU_DEP_4)
	v_fma_f64 v[14:15], -v[36:37], v[40:41], v[14:15]
	v_fma_f64 v[16:17], v[34:35], v[40:41], v[16:17]
	s_waitcnt vmcnt(10)
	s_delay_alu instid0(VALU_DEP_4) | instskip(NEXT) | instid1(VALU_DEP_4)
	v_fma_f64 v[12:13], v[26:27], v[42:43], v[12:13]
	v_fma_f64 v[9:10], v[28:29], v[42:43], v[9:10]
	s_waitcnt vmcnt(9)
	s_delay_alu instid0(VALU_DEP_4) | instskip(NEXT) | instid1(VALU_DEP_4)
	v_fma_f64 v[14:15], v[46:47], v[42:43], v[14:15]
	v_fma_f64 v[16:17], v[48:49], v[42:43], v[16:17]
	s_delay_alu instid0(VALU_DEP_4) | instskip(NEXT) | instid1(VALU_DEP_4)
	v_fma_f64 v[12:13], -v[28:29], v[44:45], v[12:13]
	v_fma_f64 v[9:10], v[26:27], v[44:45], v[9:10]
	s_delay_alu instid0(VALU_DEP_4) | instskip(NEXT) | instid1(VALU_DEP_4)
	v_fma_f64 v[14:15], -v[48:49], v[44:45], v[14:15]
	v_fma_f64 v[16:17], v[46:47], v[44:45], v[16:17]
	s_waitcnt vmcnt(7)
	s_delay_alu instid0(VALU_DEP_4) | instskip(NEXT) | instid1(VALU_DEP_4)
	v_fma_f64 v[12:13], v[50:51], v[54:55], v[12:13]
	v_fma_f64 v[9:10], v[52:53], v[54:55], v[9:10]
	s_waitcnt vmcnt(6)
	s_delay_alu instid0(VALU_DEP_4) | instskip(NEXT) | instid1(VALU_DEP_4)
	v_fma_f64 v[14:15], v[58:59], v[54:55], v[14:15]
	v_fma_f64 v[16:17], v[60:61], v[54:55], v[16:17]
	;; [unrolled: 14-line block ×3, first 2 shown]
	s_delay_alu instid0(VALU_DEP_4) | instskip(NEXT) | instid1(VALU_DEP_4)
	v_fma_f64 v[12:13], -v[64:65], v[68:69], v[12:13]
	v_fma_f64 v[9:10], v[62:63], v[68:69], v[9:10]
	s_delay_alu instid0(VALU_DEP_4) | instskip(NEXT) | instid1(VALU_DEP_4)
	v_fma_f64 v[14:15], -v[72:73], v[68:69], v[14:15]
	v_fma_f64 v[16:17], v[70:71], v[68:69], v[16:17]
	s_waitcnt vmcnt(0)
	s_delay_alu instid0(VALU_DEP_4) | instskip(NEXT) | instid1(VALU_DEP_4)
	v_fma_f64 v[12:13], v[78:79], v[82:83], v[12:13]
	v_fma_f64 v[9:10], v[80:81], v[82:83], v[9:10]
	s_delay_alu instid0(VALU_DEP_4) | instskip(NEXT) | instid1(VALU_DEP_4)
	v_fma_f64 v[22:23], v[74:75], v[82:83], v[14:15]
	v_fma_f64 v[17:18], v[76:77], v[82:83], v[16:17]
	s_delay_alu instid0(VALU_DEP_4) | instskip(NEXT) | instid1(VALU_DEP_4)
	v_fma_f64 v[13:14], -v[80:81], v[84:85], v[12:13]
	v_fma_f64 v[9:10], v[78:79], v[84:85], v[9:10]
	s_delay_alu instid0(VALU_DEP_4) | instskip(NEXT) | instid1(VALU_DEP_4)
	v_fma_f64 v[15:16], -v[76:77], v[84:85], v[22:23]
	v_fma_f64 v[17:18], v[74:75], v[84:85], v[17:18]
	s_and_not1_b32 exec_lo, exec_lo, s0
	s_cbranch_execnz .LBB246_17
; %bb.18:
	s_or_b32 exec_lo, exec_lo, s0
.LBB246_19:
	s_delay_alu instid0(SALU_CYCLE_1)
	s_or_b32 exec_lo, exec_lo, s1
.LBB246_20:
	v_mbcnt_lo_u32_b32 v26, -1, 0
	s_delay_alu instid0(VALU_DEP_1) | instskip(NEXT) | instid1(VALU_DEP_1)
	v_xor_b32_e32 v11, 16, v26
	v_cmp_gt_i32_e32 vcc_lo, 32, v11
	v_cndmask_b32_e32 v11, v26, v11, vcc_lo
	s_delay_alu instid0(VALU_DEP_1)
	v_lshlrev_b32_e32 v24, 2, v11
	ds_bpermute_b32 v11, v24, v13
	ds_bpermute_b32 v12, v24, v14
	;; [unrolled: 1-line block ×8, first 2 shown]
	s_waitcnt lgkmcnt(6)
	v_add_f64 v[11:12], v[13:14], v[11:12]
	s_waitcnt lgkmcnt(4)
	v_add_f64 v[9:10], v[9:10], v[19:20]
	;; [unrolled: 2-line block ×4, first 2 shown]
	v_xor_b32_e32 v17, 8, v26
	s_delay_alu instid0(VALU_DEP_1) | instskip(SKIP_1) | instid1(VALU_DEP_1)
	v_cmp_gt_i32_e32 vcc_lo, 32, v17
	v_cndmask_b32_e32 v17, v26, v17, vcc_lo
	v_lshlrev_b32_e32 v24, 2, v17
	ds_bpermute_b32 v17, v24, v11
	ds_bpermute_b32 v18, v24, v12
	;; [unrolled: 1-line block ×8, first 2 shown]
	s_waitcnt lgkmcnt(6)
	v_add_f64 v[11:12], v[11:12], v[17:18]
	v_xor_b32_e32 v17, 4, v26
	s_waitcnt lgkmcnt(4)
	v_add_f64 v[9:10], v[9:10], v[19:20]
	s_waitcnt lgkmcnt(2)
	v_add_f64 v[13:14], v[13:14], v[21:22]
	;; [unrolled: 2-line block ×3, first 2 shown]
	v_cmp_gt_i32_e32 vcc_lo, 32, v17
	v_cndmask_b32_e32 v17, v26, v17, vcc_lo
	s_delay_alu instid0(VALU_DEP_1)
	v_lshlrev_b32_e32 v24, 2, v17
	ds_bpermute_b32 v17, v24, v11
	ds_bpermute_b32 v18, v24, v12
	;; [unrolled: 1-line block ×8, first 2 shown]
	s_waitcnt lgkmcnt(6)
	v_add_f64 v[11:12], v[11:12], v[17:18]
	s_waitcnt lgkmcnt(4)
	v_add_f64 v[17:18], v[9:10], v[19:20]
	v_xor_b32_e32 v9, 2, v26
	s_waitcnt lgkmcnt(2)
	v_add_f64 v[13:14], v[13:14], v[21:22]
	s_waitcnt lgkmcnt(0)
	v_add_f64 v[19:20], v[15:16], v[23:24]
	v_cmp_gt_i32_e32 vcc_lo, 32, v9
	v_cndmask_b32_e32 v9, v26, v9, vcc_lo
	s_delay_alu instid0(VALU_DEP_1)
	v_lshlrev_b32_e32 v24, 2, v9
	ds_bpermute_b32 v9, v24, v11
	ds_bpermute_b32 v10, v24, v12
	;; [unrolled: 1-line block ×8, first 2 shown]
	s_waitcnt lgkmcnt(6)
	v_add_f64 v[9:10], v[11:12], v[9:10]
	s_waitcnt lgkmcnt(4)
	v_add_f64 v[15:16], v[17:18], v[15:16]
	v_xor_b32_e32 v17, 1, v26
	s_waitcnt lgkmcnt(2)
	v_add_f64 v[11:12], v[13:14], v[21:22]
	s_waitcnt lgkmcnt(0)
	v_add_f64 v[13:14], v[19:20], v[23:24]
	v_cmp_gt_i32_e32 vcc_lo, 32, v17
	v_cndmask_b32_e32 v17, v26, v17, vcc_lo
	v_cmp_eq_u32_e32 vcc_lo, 31, v25
	s_delay_alu instid0(VALU_DEP_2)
	v_lshlrev_b32_e32 v20, 2, v17
	ds_bpermute_b32 v23, v20, v9
	ds_bpermute_b32 v24, v20, v10
	;; [unrolled: 1-line block ×8, first 2 shown]
	s_and_b32 exec_lo, exec_lo, vcc_lo
	s_cbranch_execz .LBB246_25
; %bb.21:
	v_cmp_eq_f64_e32 vcc_lo, 0, v[4:5]
	v_cmp_eq_f64_e64 s0, 0, v[6:7]
	s_waitcnt lgkmcnt(6)
	v_add_f64 v[9:10], v[9:10], v[23:24]
	s_waitcnt lgkmcnt(4)
	v_add_f64 v[15:16], v[15:16], v[21:22]
	s_waitcnt lgkmcnt(2)
	v_add_f64 v[11:12], v[11:12], v[17:18]
	s_waitcnt lgkmcnt(0)
	v_add_f64 v[13:14], v[13:14], v[19:20]
	s_load_b64 s[2:3], s[2:3], 0x48
	s_and_b32 s0, vcc_lo, s0
	s_delay_alu instid0(SALU_CYCLE_1) | instskip(NEXT) | instid1(SALU_CYCLE_1)
	s_and_saveexec_b32 s1, s0
	s_xor_b32 s0, exec_lo, s1
	s_cbranch_execz .LBB246_23
; %bb.22:
	s_delay_alu instid0(VALU_DEP_3) | instskip(SKIP_1) | instid1(VALU_DEP_3)
	v_mul_f64 v[4:5], v[15:16], -v[2:3]
	v_mul_f64 v[6:7], v[0:1], v[15:16]
	v_mul_f64 v[15:16], v[13:14], -v[2:3]
	v_mul_f64 v[13:14], v[0:1], v[13:14]
	v_lshlrev_b32_e32 v8, 1, v8
	v_fma_f64 v[4:5], v[0:1], v[9:10], v[4:5]
	v_fma_f64 v[6:7], v[2:3], v[9:10], v[6:7]
	;; [unrolled: 1-line block ×4, first 2 shown]
	v_ashrrev_i32_e32 v9, 31, v8
                                        ; implicit-def: $vgpr15_vgpr16
                                        ; implicit-def: $vgpr11_vgpr12
                                        ; implicit-def: $vgpr13_vgpr14
	s_delay_alu instid0(VALU_DEP_1) | instskip(SKIP_1) | instid1(VALU_DEP_1)
	v_lshlrev_b64 v[8:9], 4, v[8:9]
	s_waitcnt lgkmcnt(0)
	v_add_co_u32 v8, vcc_lo, s2, v8
	s_delay_alu instid0(VALU_DEP_2)
	v_add_co_ci_u32_e32 v9, vcc_lo, s3, v9, vcc_lo
	s_clause 0x1
	global_store_b128 v[8:9], v[4:7], off
	global_store_b128 v[8:9], v[0:3], off offset:16
                                        ; implicit-def: $vgpr0_vgpr1
                                        ; implicit-def: $vgpr2_vgpr3
                                        ; implicit-def: $vgpr4_vgpr5
                                        ; implicit-def: $vgpr6_vgpr7
                                        ; implicit-def: $vgpr8
                                        ; implicit-def: $vgpr9_vgpr10
.LBB246_23:
	s_and_not1_saveexec_b32 s0, s0
	s_cbranch_execz .LBB246_25
; %bb.24:
	v_lshlrev_b32_e32 v17, 1, v8
	s_delay_alu instid0(VALU_DEP_4) | instskip(SKIP_1) | instid1(VALU_DEP_4)
	v_mul_f64 v[27:28], v[15:16], -v[2:3]
	v_mul_f64 v[15:16], v[0:1], v[15:16]
	v_mul_f64 v[29:30], v[13:14], -v[2:3]
	v_mul_f64 v[13:14], v[0:1], v[13:14]
	v_ashrrev_i32_e32 v18, 31, v17
	s_delay_alu instid0(VALU_DEP_1) | instskip(SKIP_1) | instid1(VALU_DEP_1)
	v_lshlrev_b64 v[17:18], 4, v[17:18]
	s_waitcnt lgkmcnt(0)
	v_add_co_u32 v25, vcc_lo, s2, v17
	s_delay_alu instid0(VALU_DEP_2)
	v_add_co_ci_u32_e32 v26, vcc_lo, s3, v18, vcc_lo
	s_clause 0x1
	global_load_b128 v[17:20], v[25:26], off
	global_load_b128 v[21:24], v[25:26], off offset:16
	v_fma_f64 v[27:28], v[0:1], v[9:10], v[27:28]
	v_fma_f64 v[8:9], v[2:3], v[9:10], v[15:16]
	v_fma_f64 v[0:1], v[0:1], v[11:12], v[29:30]
	v_fma_f64 v[2:3], v[2:3], v[11:12], v[13:14]
	s_waitcnt vmcnt(1)
	s_delay_alu instid0(VALU_DEP_4) | instskip(NEXT) | instid1(VALU_DEP_4)
	v_fma_f64 v[10:11], v[4:5], v[17:18], v[27:28]
	v_fma_f64 v[8:9], v[6:7], v[17:18], v[8:9]
	s_waitcnt vmcnt(0)
	s_delay_alu instid0(VALU_DEP_4) | instskip(NEXT) | instid1(VALU_DEP_4)
	v_fma_f64 v[12:13], v[4:5], v[21:22], v[0:1]
	v_fma_f64 v[14:15], v[6:7], v[21:22], v[2:3]
	s_delay_alu instid0(VALU_DEP_4) | instskip(NEXT) | instid1(VALU_DEP_4)
	v_fma_f64 v[0:1], -v[6:7], v[19:20], v[10:11]
	v_fma_f64 v[2:3], v[4:5], v[19:20], v[8:9]
	s_delay_alu instid0(VALU_DEP_4) | instskip(NEXT) | instid1(VALU_DEP_4)
	v_fma_f64 v[6:7], -v[6:7], v[23:24], v[12:13]
	v_fma_f64 v[8:9], v[4:5], v[23:24], v[14:15]
	s_clause 0x1
	global_store_b128 v[25:26], v[0:3], off
	global_store_b128 v[25:26], v[6:9], off offset:16
.LBB246_25:
	s_nop 0
	s_sendmsg sendmsg(MSG_DEALLOC_VGPRS)
	s_endpgm
	.section	.rodata,"a",@progbits
	.p2align	6, 0x0
	.amdhsa_kernel _ZN9rocsparseL19gebsrmvn_2xn_kernelILj128ELj5ELj32E21rocsparse_complex_numIdEEEvi20rocsparse_direction_NS_24const_host_device_scalarIT2_EEPKiS8_PKS5_SA_S6_PS5_21rocsparse_index_base_b
		.amdhsa_group_segment_fixed_size 2048
		.amdhsa_private_segment_fixed_size 0
		.amdhsa_kernarg_size 88
		.amdhsa_user_sgpr_count 15
		.amdhsa_user_sgpr_dispatch_ptr 1
		.amdhsa_user_sgpr_queue_ptr 0
		.amdhsa_user_sgpr_kernarg_segment_ptr 1
		.amdhsa_user_sgpr_dispatch_id 0
		.amdhsa_user_sgpr_private_segment_size 0
		.amdhsa_wavefront_size32 1
		.amdhsa_uses_dynamic_stack 0
		.amdhsa_enable_private_segment 0
		.amdhsa_system_sgpr_workgroup_id_x 1
		.amdhsa_system_sgpr_workgroup_id_y 0
		.amdhsa_system_sgpr_workgroup_id_z 0
		.amdhsa_system_sgpr_workgroup_info 0
		.amdhsa_system_vgpr_workitem_id 2
		.amdhsa_next_free_vgpr 86
		.amdhsa_next_free_sgpr 18
		.amdhsa_reserve_vcc 1
		.amdhsa_float_round_mode_32 0
		.amdhsa_float_round_mode_16_64 0
		.amdhsa_float_denorm_mode_32 3
		.amdhsa_float_denorm_mode_16_64 3
		.amdhsa_dx10_clamp 1
		.amdhsa_ieee_mode 1
		.amdhsa_fp16_overflow 0
		.amdhsa_workgroup_processor_mode 1
		.amdhsa_memory_ordered 1
		.amdhsa_forward_progress 0
		.amdhsa_shared_vgpr_count 0
		.amdhsa_exception_fp_ieee_invalid_op 0
		.amdhsa_exception_fp_denorm_src 0
		.amdhsa_exception_fp_ieee_div_zero 0
		.amdhsa_exception_fp_ieee_overflow 0
		.amdhsa_exception_fp_ieee_underflow 0
		.amdhsa_exception_fp_ieee_inexact 0
		.amdhsa_exception_int_div_zero 0
	.end_amdhsa_kernel
	.section	.text._ZN9rocsparseL19gebsrmvn_2xn_kernelILj128ELj5ELj32E21rocsparse_complex_numIdEEEvi20rocsparse_direction_NS_24const_host_device_scalarIT2_EEPKiS8_PKS5_SA_S6_PS5_21rocsparse_index_base_b,"axG",@progbits,_ZN9rocsparseL19gebsrmvn_2xn_kernelILj128ELj5ELj32E21rocsparse_complex_numIdEEEvi20rocsparse_direction_NS_24const_host_device_scalarIT2_EEPKiS8_PKS5_SA_S6_PS5_21rocsparse_index_base_b,comdat
.Lfunc_end246:
	.size	_ZN9rocsparseL19gebsrmvn_2xn_kernelILj128ELj5ELj32E21rocsparse_complex_numIdEEEvi20rocsparse_direction_NS_24const_host_device_scalarIT2_EEPKiS8_PKS5_SA_S6_PS5_21rocsparse_index_base_b, .Lfunc_end246-_ZN9rocsparseL19gebsrmvn_2xn_kernelILj128ELj5ELj32E21rocsparse_complex_numIdEEEvi20rocsparse_direction_NS_24const_host_device_scalarIT2_EEPKiS8_PKS5_SA_S6_PS5_21rocsparse_index_base_b
                                        ; -- End function
	.section	.AMDGPU.csdata,"",@progbits
; Kernel info:
; codeLenInByte = 3748
; NumSgprs: 20
; NumVgprs: 86
; ScratchSize: 0
; MemoryBound: 0
; FloatMode: 240
; IeeeMode: 1
; LDSByteSize: 2048 bytes/workgroup (compile time only)
; SGPRBlocks: 2
; VGPRBlocks: 10
; NumSGPRsForWavesPerEU: 20
; NumVGPRsForWavesPerEU: 86
; Occupancy: 16
; WaveLimiterHint : 1
; COMPUTE_PGM_RSRC2:SCRATCH_EN: 0
; COMPUTE_PGM_RSRC2:USER_SGPR: 15
; COMPUTE_PGM_RSRC2:TRAP_HANDLER: 0
; COMPUTE_PGM_RSRC2:TGID_X_EN: 1
; COMPUTE_PGM_RSRC2:TGID_Y_EN: 0
; COMPUTE_PGM_RSRC2:TGID_Z_EN: 0
; COMPUTE_PGM_RSRC2:TIDIG_COMP_CNT: 2
	.section	.text._ZN9rocsparseL19gebsrmvn_2xn_kernelILj128ELj5ELj64E21rocsparse_complex_numIdEEEvi20rocsparse_direction_NS_24const_host_device_scalarIT2_EEPKiS8_PKS5_SA_S6_PS5_21rocsparse_index_base_b,"axG",@progbits,_ZN9rocsparseL19gebsrmvn_2xn_kernelILj128ELj5ELj64E21rocsparse_complex_numIdEEEvi20rocsparse_direction_NS_24const_host_device_scalarIT2_EEPKiS8_PKS5_SA_S6_PS5_21rocsparse_index_base_b,comdat
	.globl	_ZN9rocsparseL19gebsrmvn_2xn_kernelILj128ELj5ELj64E21rocsparse_complex_numIdEEEvi20rocsparse_direction_NS_24const_host_device_scalarIT2_EEPKiS8_PKS5_SA_S6_PS5_21rocsparse_index_base_b ; -- Begin function _ZN9rocsparseL19gebsrmvn_2xn_kernelILj128ELj5ELj64E21rocsparse_complex_numIdEEEvi20rocsparse_direction_NS_24const_host_device_scalarIT2_EEPKiS8_PKS5_SA_S6_PS5_21rocsparse_index_base_b
	.p2align	8
	.type	_ZN9rocsparseL19gebsrmvn_2xn_kernelILj128ELj5ELj64E21rocsparse_complex_numIdEEEvi20rocsparse_direction_NS_24const_host_device_scalarIT2_EEPKiS8_PKS5_SA_S6_PS5_21rocsparse_index_base_b,@function
_ZN9rocsparseL19gebsrmvn_2xn_kernelILj128ELj5ELj64E21rocsparse_complex_numIdEEEvi20rocsparse_direction_NS_24const_host_device_scalarIT2_EEPKiS8_PKS5_SA_S6_PS5_21rocsparse_index_base_b: ; @_ZN9rocsparseL19gebsrmvn_2xn_kernelILj128ELj5ELj64E21rocsparse_complex_numIdEEEvi20rocsparse_direction_NS_24const_host_device_scalarIT2_EEPKiS8_PKS5_SA_S6_PS5_21rocsparse_index_base_b
; %bb.0:
	s_load_b64 s[12:13], s[2:3], 0x50
	s_load_b64 s[16:17], s[0:1], 0x4
	s_load_b128 s[8:11], s[2:3], 0x8
	v_bfe_u32 v1, v0, 10, 10
	s_mov_b64 s[0:1], src_shared_base
	s_load_b128 s[4:7], s[2:3], 0x38
	v_and_b32_e32 v10, 0x3ff, v0
	v_bfe_u32 v0, v0, 20, 10
	s_waitcnt lgkmcnt(0)
	s_bitcmp1_b32 s13, 0
	v_mul_u32_u24_e32 v1, s17, v1
	s_cselect_b32 s0, -1, 0
	s_delay_alu instid0(SALU_CYCLE_1)
	s_and_b32 vcc_lo, s0, exec_lo
	s_cselect_b32 s13, s1, s9
	s_lshr_b32 s14, s16, 16
	v_dual_mov_b32 v2, s4 :: v_dual_mov_b32 v3, s5
	s_mul_i32 s14, s14, s17
	v_mov_b32_e32 v6, s13
	v_mad_u32_u24 v1, s14, v10, v1
	s_delay_alu instid0(VALU_DEP_1) | instskip(SKIP_1) | instid1(VALU_DEP_2)
	v_add_lshl_u32 v4, v1, v0, 3
	v_dual_mov_b32 v0, s8 :: v_dual_mov_b32 v1, s9
	v_add_nc_u32_e32 v5, 0x400, v4
	ds_store_2addr_stride64_b64 v4, v[2:3], v[0:1] offset1:2
	v_dual_mov_b32 v2, s10 :: v_dual_mov_b32 v3, s11
	v_cndmask_b32_e64 v5, s8, v5, s0
	s_xor_b32 s10, s0, -1
	flat_load_b64 v[0:1], v[5:6]
	s_cbranch_vccnz .LBB247_2
; %bb.1:
	v_dual_mov_b32 v2, s8 :: v_dual_mov_b32 v3, s9
	flat_load_b64 v[2:3], v[2:3] offset:8
.LBB247_2:
	s_and_b32 s8, s0, exec_lo
	s_cselect_b32 s1, s1, s5
	v_cndmask_b32_e64 v4, s4, v4, s0
	v_dual_mov_b32 v5, s1 :: v_dual_mov_b32 v6, s6
	v_mov_b32_e32 v7, s7
	s_and_not1_b32 vcc_lo, exec_lo, s10
	flat_load_b64 v[4:5], v[4:5]
	s_cbranch_vccnz .LBB247_4
; %bb.3:
	v_dual_mov_b32 v7, s5 :: v_dual_mov_b32 v6, s4
	flat_load_b64 v[6:7], v[6:7] offset:8
.LBB247_4:
	s_waitcnt vmcnt(1) lgkmcnt(1)
	v_cmp_eq_f64_e32 vcc_lo, 0, v[0:1]
	v_cmp_eq_f64_e64 s0, 0, v[2:3]
	s_delay_alu instid0(VALU_DEP_1)
	s_and_b32 s4, vcc_lo, s0
	s_mov_b32 s0, -1
	s_and_saveexec_b32 s1, s4
	s_cbranch_execz .LBB247_6
; %bb.5:
	s_waitcnt vmcnt(0) lgkmcnt(0)
	v_cmp_neq_f64_e32 vcc_lo, 1.0, v[4:5]
	v_cmp_neq_f64_e64 s0, 0, v[6:7]
	s_delay_alu instid0(VALU_DEP_1) | instskip(NEXT) | instid1(SALU_CYCLE_1)
	s_or_b32 s0, vcc_lo, s0
	s_or_not1_b32 s0, s0, exec_lo
.LBB247_6:
	s_or_b32 exec_lo, exec_lo, s1
	s_and_saveexec_b32 s1, s0
	s_cbranch_execz .LBB247_25
; %bb.7:
	s_load_b64 s[0:1], s[2:3], 0x0
	v_lshrrev_b32_e32 v8, 6, v10
	s_delay_alu instid0(VALU_DEP_1) | instskip(SKIP_1) | instid1(VALU_DEP_1)
	v_lshl_or_b32 v8, s15, 1, v8
	s_waitcnt lgkmcnt(0)
	v_cmp_gt_i32_e32 vcc_lo, s0, v8
	s_and_b32 exec_lo, exec_lo, vcc_lo
	s_cbranch_execz .LBB247_25
; %bb.8:
	s_load_b256 s[4:11], s[2:3], 0x18
	v_ashrrev_i32_e32 v9, 31, v8
	v_and_b32_e32 v25, 63, v10
	s_cmp_lg_u32 s1, 0
	s_delay_alu instid0(VALU_DEP_2) | instskip(SKIP_1) | instid1(VALU_DEP_1)
	v_lshlrev_b64 v[11:12], 2, v[8:9]
	s_waitcnt lgkmcnt(0)
	v_add_co_u32 v11, vcc_lo, s4, v11
	s_delay_alu instid0(VALU_DEP_2) | instskip(SKIP_4) | instid1(VALU_DEP_2)
	v_add_co_ci_u32_e32 v12, vcc_lo, s5, v12, vcc_lo
	global_load_b64 v[11:12], v[11:12], off
	s_waitcnt vmcnt(0)
	v_subrev_nc_u32_e32 v9, s12, v11
	v_subrev_nc_u32_e32 v24, s12, v12
	v_add_nc_u32_e32 v15, v9, v25
	s_delay_alu instid0(VALU_DEP_1)
	v_cmp_lt_i32_e64 s0, v15, v24
	s_cbranch_scc0 .LBB247_14
; %bb.9:
	v_mov_b32_e32 v9, 0
	v_mov_b32_e32 v10, 0
	s_delay_alu instid0(VALU_DEP_1)
	v_dual_mov_b32 v12, v10 :: v_dual_mov_b32 v11, v9
	v_dual_mov_b32 v14, v10 :: v_dual_mov_b32 v13, v9
	;; [unrolled: 1-line block ×3, first 2 shown]
	s_and_saveexec_b32 s1, s0
	s_cbranch_execz .LBB247_13
; %bb.10:
	v_dual_mov_b32 v9, 0 :: v_dual_mov_b32 v22, v15
	v_dual_mov_b32 v10, 0 :: v_dual_mov_b32 v21, 0
	v_mad_u64_u32 v[19:20], null, v15, 10, 8
	s_mov_b32 s4, 0
	s_delay_alu instid0(VALU_DEP_2)
	v_dual_mov_b32 v12, v10 :: v_dual_mov_b32 v11, v9
	v_dual_mov_b32 v14, v10 :: v_dual_mov_b32 v13, v9
	;; [unrolled: 1-line block ×3, first 2 shown]
.LBB247_11:                             ; =>This Inner Loop Header: Depth=1
	v_ashrrev_i32_e32 v23, 31, v22
	v_dual_mov_b32 v79, v21 :: v_dual_add_nc_u32 v20, -8, v19
	s_delay_alu instid0(VALU_DEP_2) | instskip(SKIP_1) | instid1(VALU_DEP_2)
	v_lshlrev_b64 v[26:27], 2, v[22:23]
	v_add_nc_u32_e32 v22, 64, v22
	v_add_co_u32 v26, vcc_lo, s6, v26
	s_delay_alu instid0(VALU_DEP_3) | instskip(SKIP_3) | instid1(VALU_DEP_1)
	v_add_co_ci_u32_e32 v27, vcc_lo, s7, v27, vcc_lo
	global_load_b32 v16, v[26:27], off
	v_lshlrev_b64 v[26:27], 4, v[20:21]
	v_add_nc_u32_e32 v20, -6, v19
	v_lshlrev_b64 v[38:39], 4, v[20:21]
	s_delay_alu instid0(VALU_DEP_3) | instskip(NEXT) | instid1(VALU_DEP_4)
	v_add_co_u32 v30, vcc_lo, s8, v26
	v_add_co_ci_u32_e32 v31, vcc_lo, s9, v27, vcc_lo
	global_load_b128 v[26:29], v[30:31], off offset:16
	s_waitcnt vmcnt(1)
	v_subrev_nc_u32_e32 v16, s12, v16
	s_delay_alu instid0(VALU_DEP_1) | instskip(NEXT) | instid1(VALU_DEP_1)
	v_lshl_add_u32 v78, v16, 2, v16
	v_lshlrev_b64 v[32:33], 4, v[78:79]
	v_add_nc_u32_e32 v20, 1, v78
	s_delay_alu instid0(VALU_DEP_1) | instskip(NEXT) | instid1(VALU_DEP_3)
	v_lshlrev_b64 v[44:45], 4, v[20:21]
	v_add_co_u32 v34, vcc_lo, s10, v32
	s_delay_alu instid0(VALU_DEP_4)
	v_add_co_ci_u32_e32 v35, vcc_lo, s11, v33, vcc_lo
	v_add_co_u32 v42, vcc_lo, s8, v38
	global_load_b128 v[30:33], v[30:31], off
	global_load_b128 v[34:37], v[34:35], off
	v_add_co_ci_u32_e32 v43, vcc_lo, s9, v39, vcc_lo
	v_add_co_u32 v46, vcc_lo, s10, v44
	v_add_co_ci_u32_e32 v47, vcc_lo, s11, v45, vcc_lo
	s_clause 0x1
	global_load_b128 v[38:41], v[42:43], off offset:16
	global_load_b128 v[42:45], v[42:43], off
	global_load_b128 v[46:49], v[46:47], off
	v_add_nc_u32_e32 v20, -4, v19
	s_delay_alu instid0(VALU_DEP_1) | instskip(SKIP_1) | instid1(VALU_DEP_1)
	v_lshlrev_b64 v[50:51], 4, v[20:21]
	v_add_nc_u32_e32 v20, 2, v78
	v_lshlrev_b64 v[52:53], 4, v[20:21]
	s_delay_alu instid0(VALU_DEP_3) | instskip(NEXT) | instid1(VALU_DEP_4)
	v_add_co_u32 v54, vcc_lo, s8, v50
	v_add_co_ci_u32_e32 v55, vcc_lo, s9, v51, vcc_lo
	v_add_nc_u32_e32 v20, -2, v19
	s_delay_alu instid0(VALU_DEP_4)
	v_add_co_u32 v58, vcc_lo, s10, v52
	v_add_co_ci_u32_e32 v59, vcc_lo, s11, v53, vcc_lo
	s_clause 0x1
	global_load_b128 v[50:53], v[54:55], off offset:16
	global_load_b128 v[54:57], v[54:55], off
	global_load_b128 v[58:61], v[58:59], off
	v_lshlrev_b64 v[62:63], 4, v[20:21]
	v_add_nc_u32_e32 v20, 3, v78
	s_delay_alu instid0(VALU_DEP_1) | instskip(NEXT) | instid1(VALU_DEP_3)
	v_lshlrev_b64 v[64:65], 4, v[20:21]
	v_add_co_u32 v66, vcc_lo, s8, v62
	s_delay_alu instid0(VALU_DEP_4) | instskip(SKIP_1) | instid1(VALU_DEP_4)
	v_add_co_ci_u32_e32 v67, vcc_lo, s9, v63, vcc_lo
	v_mov_b32_e32 v20, v21
	v_add_co_u32 v70, vcc_lo, s10, v64
	v_add_co_ci_u32_e32 v71, vcc_lo, s11, v65, vcc_lo
	s_clause 0x1
	global_load_b128 v[62:65], v[66:67], off offset:16
	global_load_b128 v[66:69], v[66:67], off
	global_load_b128 v[70:73], v[70:71], off
	v_lshlrev_b64 v[74:75], 4, v[19:20]
	v_add_nc_u32_e32 v19, 0x280, v19
	v_add_nc_u32_e32 v20, 4, v78
	s_delay_alu instid0(VALU_DEP_3) | instskip(NEXT) | instid1(VALU_DEP_2)
	v_add_co_u32 v79, vcc_lo, s8, v74
	v_lshlrev_b64 v[81:82], 4, v[20:21]
	v_add_co_ci_u32_e32 v80, vcc_lo, s9, v75, vcc_lo
	s_delay_alu instid0(VALU_DEP_2) | instskip(NEXT) | instid1(VALU_DEP_3)
	v_add_co_u32 v83, vcc_lo, s10, v81
	v_add_co_ci_u32_e32 v84, vcc_lo, s11, v82, vcc_lo
	s_clause 0x1
	global_load_b128 v[74:77], v[79:80], off offset:16
	global_load_b128 v[78:81], v[79:80], off
	global_load_b128 v[82:85], v[83:84], off
	v_cmp_ge_i32_e32 vcc_lo, v22, v24
	s_or_b32 s4, vcc_lo, s4
	s_waitcnt vmcnt(12)
	v_fma_f64 v[11:12], v[30:31], v[34:35], v[11:12]
	v_fma_f64 v[9:10], v[32:33], v[34:35], v[9:10]
	;; [unrolled: 1-line block ×4, first 2 shown]
	s_delay_alu instid0(VALU_DEP_4) | instskip(NEXT) | instid1(VALU_DEP_4)
	v_fma_f64 v[11:12], -v[32:33], v[36:37], v[11:12]
	v_fma_f64 v[9:10], v[30:31], v[36:37], v[9:10]
	s_delay_alu instid0(VALU_DEP_4) | instskip(NEXT) | instid1(VALU_DEP_4)
	v_fma_f64 v[13:14], -v[28:29], v[36:37], v[13:14]
	v_fma_f64 v[16:17], v[26:27], v[36:37], v[16:17]
	s_waitcnt vmcnt(9)
	s_delay_alu instid0(VALU_DEP_4) | instskip(NEXT) | instid1(VALU_DEP_4)
	v_fma_f64 v[11:12], v[42:43], v[46:47], v[11:12]
	v_fma_f64 v[9:10], v[44:45], v[46:47], v[9:10]
	s_delay_alu instid0(VALU_DEP_4) | instskip(NEXT) | instid1(VALU_DEP_4)
	v_fma_f64 v[13:14], v[38:39], v[46:47], v[13:14]
	v_fma_f64 v[16:17], v[40:41], v[46:47], v[16:17]
	s_delay_alu instid0(VALU_DEP_4) | instskip(NEXT) | instid1(VALU_DEP_4)
	v_fma_f64 v[11:12], -v[44:45], v[48:49], v[11:12]
	v_fma_f64 v[9:10], v[42:43], v[48:49], v[9:10]
	s_delay_alu instid0(VALU_DEP_4) | instskip(NEXT) | instid1(VALU_DEP_4)
	v_fma_f64 v[13:14], -v[40:41], v[48:49], v[13:14]
	v_fma_f64 v[16:17], v[38:39], v[48:49], v[16:17]
	s_waitcnt vmcnt(6)
	s_delay_alu instid0(VALU_DEP_4) | instskip(NEXT) | instid1(VALU_DEP_4)
	v_fma_f64 v[11:12], v[54:55], v[58:59], v[11:12]
	v_fma_f64 v[9:10], v[56:57], v[58:59], v[9:10]
	s_delay_alu instid0(VALU_DEP_4) | instskip(NEXT) | instid1(VALU_DEP_4)
	v_fma_f64 v[13:14], v[50:51], v[58:59], v[13:14]
	v_fma_f64 v[16:17], v[52:53], v[58:59], v[16:17]
	;; [unrolled: 13-line block ×4, first 2 shown]
	s_delay_alu instid0(VALU_DEP_4) | instskip(NEXT) | instid1(VALU_DEP_4)
	v_fma_f64 v[11:12], -v[80:81], v[84:85], v[11:12]
	v_fma_f64 v[9:10], v[78:79], v[84:85], v[9:10]
	s_delay_alu instid0(VALU_DEP_4) | instskip(NEXT) | instid1(VALU_DEP_4)
	v_fma_f64 v[13:14], -v[76:77], v[84:85], v[13:14]
	v_fma_f64 v[17:18], v[74:75], v[84:85], v[16:17]
	s_and_not1_b32 exec_lo, exec_lo, s4
	s_cbranch_execnz .LBB247_11
; %bb.12:
	s_or_b32 exec_lo, exec_lo, s4
.LBB247_13:
	s_delay_alu instid0(SALU_CYCLE_1)
	s_or_b32 exec_lo, exec_lo, s1
	s_cbranch_execz .LBB247_15
	s_branch .LBB247_20
.LBB247_14:
                                        ; implicit-def: $vgpr9_vgpr10
                                        ; implicit-def: $vgpr11_vgpr12
                                        ; implicit-def: $vgpr13_vgpr14
                                        ; implicit-def: $vgpr17_vgpr18
.LBB247_15:
	v_mov_b32_e32 v9, 0
	v_mov_b32_e32 v10, 0
	s_delay_alu instid0(VALU_DEP_1)
	v_dual_mov_b32 v12, v10 :: v_dual_mov_b32 v11, v9
	v_dual_mov_b32 v14, v10 :: v_dual_mov_b32 v13, v9
	v_dual_mov_b32 v18, v10 :: v_dual_mov_b32 v17, v9
	s_and_saveexec_b32 s1, s0
	s_cbranch_execz .LBB247_19
; %bb.16:
	v_mov_b32_e32 v9, 0
	v_dual_mov_b32 v10, 0 :: v_dual_mov_b32 v21, 0
	v_mad_u64_u32 v[19:20], null, v15, 10, 9
	s_mov_b32 s0, 0
	s_delay_alu instid0(VALU_DEP_2)
	v_dual_mov_b32 v12, v10 :: v_dual_mov_b32 v11, v9
	v_dual_mov_b32 v14, v10 :: v_dual_mov_b32 v13, v9
	;; [unrolled: 1-line block ×3, first 2 shown]
.LBB247_17:                             ; =>This Inner Loop Header: Depth=1
	v_ashrrev_i32_e32 v16, 31, v15
	v_dual_mov_b32 v79, v21 :: v_dual_add_nc_u32 v20, -9, v19
	s_delay_alu instid0(VALU_DEP_2) | instskip(NEXT) | instid1(VALU_DEP_2)
	v_lshlrev_b64 v[22:23], 2, v[15:16]
	v_lshlrev_b64 v[26:27], 4, v[20:21]
	v_add_nc_u32_e32 v15, 64, v15
	s_delay_alu instid0(VALU_DEP_3) | instskip(NEXT) | instid1(VALU_DEP_4)
	v_add_co_u32 v22, vcc_lo, s6, v22
	v_add_co_ci_u32_e32 v23, vcc_lo, s7, v23, vcc_lo
	s_delay_alu instid0(VALU_DEP_4)
	v_add_co_u32 v30, vcc_lo, s8, v26
	v_add_co_ci_u32_e32 v31, vcc_lo, s9, v27, vcc_lo
	global_load_b32 v16, v[22:23], off
	v_dual_mov_b32 v23, v21 :: v_dual_add_nc_u32 v22, -4, v19
	s_clause 0x1
	global_load_b128 v[26:29], v[30:31], off offset:16
	global_load_b128 v[30:33], v[30:31], off
	v_lshlrev_b64 v[22:23], 4, v[22:23]
	s_delay_alu instid0(VALU_DEP_1) | instskip(NEXT) | instid1(VALU_DEP_2)
	v_add_co_u32 v22, vcc_lo, s8, v22
	v_add_co_ci_u32_e32 v23, vcc_lo, s9, v23, vcc_lo
	s_waitcnt vmcnt(2)
	v_subrev_nc_u32_e32 v16, s12, v16
	s_delay_alu instid0(VALU_DEP_1) | instskip(NEXT) | instid1(VALU_DEP_1)
	v_lshl_add_u32 v78, v16, 2, v16
	v_lshlrev_b64 v[34:35], 4, v[78:79]
	v_add_nc_u32_e32 v20, 1, v78
	s_delay_alu instid0(VALU_DEP_2) | instskip(NEXT) | instid1(VALU_DEP_3)
	v_add_co_u32 v38, vcc_lo, s10, v34
	v_add_co_ci_u32_e32 v39, vcc_lo, s11, v35, vcc_lo
	global_load_b128 v[34:37], v[22:23], off
	global_load_b128 v[38:41], v[38:39], off
	v_lshlrev_b64 v[22:23], 4, v[20:21]
	v_add_nc_u32_e32 v20, -3, v19
	s_delay_alu instid0(VALU_DEP_1) | instskip(NEXT) | instid1(VALU_DEP_3)
	v_lshlrev_b64 v[42:43], 4, v[20:21]
	v_add_co_u32 v22, vcc_lo, s10, v22
	s_delay_alu instid0(VALU_DEP_4) | instskip(SKIP_1) | instid1(VALU_DEP_4)
	v_add_co_ci_u32_e32 v23, vcc_lo, s11, v23, vcc_lo
	v_add_nc_u32_e32 v20, -7, v19
	v_add_co_u32 v46, vcc_lo, s8, v42
	v_add_co_ci_u32_e32 v47, vcc_lo, s9, v43, vcc_lo
	global_load_b128 v[42:45], v[22:23], off
	global_load_b128 v[46:49], v[46:47], off
	v_lshlrev_b64 v[22:23], 4, v[20:21]
	v_add_nc_u32_e32 v20, 2, v78
	s_delay_alu instid0(VALU_DEP_1) | instskip(SKIP_1) | instid1(VALU_DEP_4)
	v_lshlrev_b64 v[50:51], 4, v[20:21]
	v_add_nc_u32_e32 v20, -2, v19
	v_add_co_u32 v22, vcc_lo, s8, v22
	v_add_co_ci_u32_e32 v23, vcc_lo, s9, v23, vcc_lo
	s_delay_alu instid0(VALU_DEP_3) | instskip(SKIP_3) | instid1(VALU_DEP_4)
	v_lshlrev_b64 v[52:53], 4, v[20:21]
	v_add_co_u32 v54, vcc_lo, s10, v50
	v_add_co_ci_u32_e32 v55, vcc_lo, s11, v51, vcc_lo
	v_add_nc_u32_e32 v20, -6, v19
	v_add_co_u32 v58, vcc_lo, s8, v52
	v_add_co_ci_u32_e32 v59, vcc_lo, s9, v53, vcc_lo
	global_load_b128 v[50:53], v[22:23], off
	global_load_b128 v[54:57], v[54:55], off
	;; [unrolled: 1-line block ×3, first 2 shown]
	v_lshlrev_b64 v[22:23], 4, v[20:21]
	v_add_nc_u32_e32 v20, 3, v78
	s_delay_alu instid0(VALU_DEP_1) | instskip(SKIP_1) | instid1(VALU_DEP_4)
	v_lshlrev_b64 v[62:63], 4, v[20:21]
	v_add_nc_u32_e32 v20, -1, v19
	v_add_co_u32 v22, vcc_lo, s8, v22
	v_add_co_ci_u32_e32 v23, vcc_lo, s9, v23, vcc_lo
	s_delay_alu instid0(VALU_DEP_3) | instskip(SKIP_3) | instid1(VALU_DEP_4)
	v_lshlrev_b64 v[64:65], 4, v[20:21]
	v_add_co_u32 v66, vcc_lo, s10, v62
	v_add_co_ci_u32_e32 v67, vcc_lo, s11, v63, vcc_lo
	v_mov_b32_e32 v20, v21
	v_add_co_u32 v70, vcc_lo, s8, v64
	v_add_co_ci_u32_e32 v71, vcc_lo, s9, v65, vcc_lo
	global_load_b128 v[62:65], v[22:23], off
	global_load_b128 v[66:69], v[66:67], off
	;; [unrolled: 1-line block ×3, first 2 shown]
	v_lshlrev_b64 v[22:23], 4, v[19:20]
	v_add_nc_u32_e32 v20, -5, v19
	v_add_nc_u32_e32 v19, 0x280, v19
	s_delay_alu instid0(VALU_DEP_3) | instskip(NEXT) | instid1(VALU_DEP_4)
	v_add_co_u32 v22, vcc_lo, s8, v22
	v_add_co_ci_u32_e32 v23, vcc_lo, s9, v23, vcc_lo
	global_load_b128 v[74:77], v[22:23], off
	v_lshlrev_b64 v[22:23], 4, v[20:21]
	v_add_nc_u32_e32 v20, 4, v78
	s_delay_alu instid0(VALU_DEP_1) | instskip(NEXT) | instid1(VALU_DEP_3)
	v_lshlrev_b64 v[78:79], 4, v[20:21]
	v_add_co_u32 v22, vcc_lo, s8, v22
	s_delay_alu instid0(VALU_DEP_4) | instskip(NEXT) | instid1(VALU_DEP_3)
	v_add_co_ci_u32_e32 v23, vcc_lo, s9, v23, vcc_lo
	v_add_co_u32 v82, vcc_lo, s10, v78
	s_delay_alu instid0(VALU_DEP_4)
	v_add_co_ci_u32_e32 v83, vcc_lo, s11, v79, vcc_lo
	global_load_b128 v[78:81], v[22:23], off
	global_load_b128 v[82:85], v[82:83], off
	v_cmp_ge_i32_e32 vcc_lo, v15, v24
	s_or_b32 s0, vcc_lo, s0
	s_waitcnt vmcnt(11)
	v_fma_f64 v[11:12], v[30:31], v[38:39], v[11:12]
	v_fma_f64 v[9:10], v[32:33], v[38:39], v[9:10]
	;; [unrolled: 1-line block ×4, first 2 shown]
	s_delay_alu instid0(VALU_DEP_4) | instskip(NEXT) | instid1(VALU_DEP_4)
	v_fma_f64 v[11:12], -v[32:33], v[40:41], v[11:12]
	v_fma_f64 v[9:10], v[30:31], v[40:41], v[9:10]
	s_delay_alu instid0(VALU_DEP_4) | instskip(NEXT) | instid1(VALU_DEP_4)
	v_fma_f64 v[13:14], -v[36:37], v[40:41], v[13:14]
	v_fma_f64 v[16:17], v[34:35], v[40:41], v[16:17]
	s_waitcnt vmcnt(10)
	s_delay_alu instid0(VALU_DEP_4) | instskip(NEXT) | instid1(VALU_DEP_4)
	v_fma_f64 v[11:12], v[26:27], v[42:43], v[11:12]
	v_fma_f64 v[9:10], v[28:29], v[42:43], v[9:10]
	s_waitcnt vmcnt(9)
	s_delay_alu instid0(VALU_DEP_4) | instskip(NEXT) | instid1(VALU_DEP_4)
	v_fma_f64 v[13:14], v[46:47], v[42:43], v[13:14]
	v_fma_f64 v[16:17], v[48:49], v[42:43], v[16:17]
	s_delay_alu instid0(VALU_DEP_4) | instskip(NEXT) | instid1(VALU_DEP_4)
	v_fma_f64 v[11:12], -v[28:29], v[44:45], v[11:12]
	v_fma_f64 v[9:10], v[26:27], v[44:45], v[9:10]
	s_delay_alu instid0(VALU_DEP_4) | instskip(NEXT) | instid1(VALU_DEP_4)
	v_fma_f64 v[13:14], -v[48:49], v[44:45], v[13:14]
	v_fma_f64 v[16:17], v[46:47], v[44:45], v[16:17]
	s_waitcnt vmcnt(7)
	s_delay_alu instid0(VALU_DEP_4) | instskip(NEXT) | instid1(VALU_DEP_4)
	v_fma_f64 v[11:12], v[50:51], v[54:55], v[11:12]
	v_fma_f64 v[9:10], v[52:53], v[54:55], v[9:10]
	s_waitcnt vmcnt(6)
	s_delay_alu instid0(VALU_DEP_4) | instskip(NEXT) | instid1(VALU_DEP_4)
	v_fma_f64 v[13:14], v[58:59], v[54:55], v[13:14]
	v_fma_f64 v[16:17], v[60:61], v[54:55], v[16:17]
	;; [unrolled: 14-line block ×3, first 2 shown]
	s_delay_alu instid0(VALU_DEP_4) | instskip(NEXT) | instid1(VALU_DEP_4)
	v_fma_f64 v[11:12], -v[64:65], v[68:69], v[11:12]
	v_fma_f64 v[9:10], v[62:63], v[68:69], v[9:10]
	s_delay_alu instid0(VALU_DEP_4) | instskip(NEXT) | instid1(VALU_DEP_4)
	v_fma_f64 v[13:14], -v[72:73], v[68:69], v[13:14]
	v_fma_f64 v[16:17], v[70:71], v[68:69], v[16:17]
	s_waitcnt vmcnt(0)
	s_delay_alu instid0(VALU_DEP_4) | instskip(NEXT) | instid1(VALU_DEP_4)
	v_fma_f64 v[11:12], v[78:79], v[82:83], v[11:12]
	v_fma_f64 v[9:10], v[80:81], v[82:83], v[9:10]
	s_delay_alu instid0(VALU_DEP_4) | instskip(NEXT) | instid1(VALU_DEP_4)
	v_fma_f64 v[13:14], v[74:75], v[82:83], v[13:14]
	v_fma_f64 v[16:17], v[76:77], v[82:83], v[16:17]
	s_delay_alu instid0(VALU_DEP_4) | instskip(NEXT) | instid1(VALU_DEP_4)
	v_fma_f64 v[11:12], -v[80:81], v[84:85], v[11:12]
	v_fma_f64 v[9:10], v[78:79], v[84:85], v[9:10]
	s_delay_alu instid0(VALU_DEP_4) | instskip(NEXT) | instid1(VALU_DEP_4)
	v_fma_f64 v[13:14], -v[76:77], v[84:85], v[13:14]
	v_fma_f64 v[17:18], v[74:75], v[84:85], v[16:17]
	s_and_not1_b32 exec_lo, exec_lo, s0
	s_cbranch_execnz .LBB247_17
; %bb.18:
	s_or_b32 exec_lo, exec_lo, s0
.LBB247_19:
	s_delay_alu instid0(SALU_CYCLE_1)
	s_or_b32 exec_lo, exec_lo, s1
.LBB247_20:
	v_mbcnt_lo_u32_b32 v26, -1, 0
	s_delay_alu instid0(VALU_DEP_1) | instskip(NEXT) | instid1(VALU_DEP_1)
	v_or_b32_e32 v15, 32, v26
	v_cmp_gt_i32_e32 vcc_lo, 32, v15
	v_cndmask_b32_e32 v15, v26, v15, vcc_lo
	s_delay_alu instid0(VALU_DEP_1)
	v_lshlrev_b32_e32 v24, 2, v15
	ds_bpermute_b32 v15, v24, v11
	ds_bpermute_b32 v16, v24, v12
	;; [unrolled: 1-line block ×8, first 2 shown]
	s_waitcnt lgkmcnt(6)
	v_add_f64 v[11:12], v[11:12], v[15:16]
	s_waitcnt lgkmcnt(4)
	v_add_f64 v[9:10], v[9:10], v[19:20]
	;; [unrolled: 2-line block ×4, first 2 shown]
	v_xor_b32_e32 v17, 16, v26
	s_delay_alu instid0(VALU_DEP_1) | instskip(SKIP_1) | instid1(VALU_DEP_1)
	v_cmp_gt_i32_e32 vcc_lo, 32, v17
	v_cndmask_b32_e32 v17, v26, v17, vcc_lo
	v_lshlrev_b32_e32 v24, 2, v17
	ds_bpermute_b32 v17, v24, v11
	ds_bpermute_b32 v18, v24, v12
	;; [unrolled: 1-line block ×8, first 2 shown]
	s_waitcnt lgkmcnt(6)
	v_add_f64 v[11:12], v[11:12], v[17:18]
	v_xor_b32_e32 v17, 8, v26
	s_waitcnt lgkmcnt(4)
	v_add_f64 v[9:10], v[9:10], v[19:20]
	s_waitcnt lgkmcnt(2)
	v_add_f64 v[13:14], v[13:14], v[21:22]
	;; [unrolled: 2-line block ×3, first 2 shown]
	v_cmp_gt_i32_e32 vcc_lo, 32, v17
	v_cndmask_b32_e32 v17, v26, v17, vcc_lo
	s_delay_alu instid0(VALU_DEP_1)
	v_lshlrev_b32_e32 v24, 2, v17
	ds_bpermute_b32 v17, v24, v11
	ds_bpermute_b32 v18, v24, v12
	;; [unrolled: 1-line block ×8, first 2 shown]
	s_waitcnt lgkmcnt(6)
	v_add_f64 v[11:12], v[11:12], v[17:18]
	v_xor_b32_e32 v17, 4, v26
	s_waitcnt lgkmcnt(4)
	v_add_f64 v[9:10], v[9:10], v[19:20]
	s_waitcnt lgkmcnt(2)
	v_add_f64 v[13:14], v[13:14], v[21:22]
	;; [unrolled: 2-line block ×3, first 2 shown]
	v_cmp_gt_i32_e32 vcc_lo, 32, v17
	v_cndmask_b32_e32 v17, v26, v17, vcc_lo
	s_delay_alu instid0(VALU_DEP_1)
	v_lshlrev_b32_e32 v24, 2, v17
	ds_bpermute_b32 v17, v24, v11
	ds_bpermute_b32 v18, v24, v12
	;; [unrolled: 1-line block ×8, first 2 shown]
	s_waitcnt lgkmcnt(6)
	v_add_f64 v[11:12], v[11:12], v[17:18]
	s_waitcnt lgkmcnt(4)
	v_add_f64 v[17:18], v[9:10], v[19:20]
	v_xor_b32_e32 v9, 2, v26
	s_waitcnt lgkmcnt(2)
	v_add_f64 v[13:14], v[13:14], v[21:22]
	s_waitcnt lgkmcnt(0)
	v_add_f64 v[19:20], v[15:16], v[23:24]
	v_cmp_gt_i32_e32 vcc_lo, 32, v9
	v_cndmask_b32_e32 v9, v26, v9, vcc_lo
	s_delay_alu instid0(VALU_DEP_1)
	v_lshlrev_b32_e32 v24, 2, v9
	ds_bpermute_b32 v9, v24, v11
	ds_bpermute_b32 v10, v24, v12
	;; [unrolled: 1-line block ×8, first 2 shown]
	s_waitcnt lgkmcnt(6)
	v_add_f64 v[9:10], v[11:12], v[9:10]
	s_waitcnt lgkmcnt(4)
	v_add_f64 v[15:16], v[17:18], v[15:16]
	v_xor_b32_e32 v17, 1, v26
	s_waitcnt lgkmcnt(2)
	v_add_f64 v[11:12], v[13:14], v[21:22]
	s_waitcnt lgkmcnt(0)
	v_add_f64 v[13:14], v[19:20], v[23:24]
	v_cmp_gt_i32_e32 vcc_lo, 32, v17
	v_cndmask_b32_e32 v17, v26, v17, vcc_lo
	v_cmp_eq_u32_e32 vcc_lo, 63, v25
	s_delay_alu instid0(VALU_DEP_2)
	v_lshlrev_b32_e32 v20, 2, v17
	ds_bpermute_b32 v23, v20, v9
	ds_bpermute_b32 v24, v20, v10
	;; [unrolled: 1-line block ×8, first 2 shown]
	s_and_b32 exec_lo, exec_lo, vcc_lo
	s_cbranch_execz .LBB247_25
; %bb.21:
	v_cmp_eq_f64_e32 vcc_lo, 0, v[4:5]
	v_cmp_eq_f64_e64 s0, 0, v[6:7]
	s_waitcnt lgkmcnt(6)
	v_add_f64 v[9:10], v[9:10], v[23:24]
	s_waitcnt lgkmcnt(4)
	v_add_f64 v[15:16], v[15:16], v[21:22]
	;; [unrolled: 2-line block ×4, first 2 shown]
	s_load_b64 s[2:3], s[2:3], 0x48
	s_and_b32 s0, vcc_lo, s0
	s_delay_alu instid0(SALU_CYCLE_1) | instskip(NEXT) | instid1(SALU_CYCLE_1)
	s_and_saveexec_b32 s1, s0
	s_xor_b32 s0, exec_lo, s1
	s_cbranch_execz .LBB247_23
; %bb.22:
	s_delay_alu instid0(VALU_DEP_3) | instskip(SKIP_1) | instid1(VALU_DEP_3)
	v_mul_f64 v[4:5], v[15:16], -v[2:3]
	v_mul_f64 v[6:7], v[0:1], v[15:16]
	v_mul_f64 v[15:16], v[13:14], -v[2:3]
	v_mul_f64 v[13:14], v[0:1], v[13:14]
	v_lshlrev_b32_e32 v8, 1, v8
	v_fma_f64 v[4:5], v[0:1], v[9:10], v[4:5]
	v_fma_f64 v[6:7], v[2:3], v[9:10], v[6:7]
	;; [unrolled: 1-line block ×4, first 2 shown]
	v_ashrrev_i32_e32 v9, 31, v8
                                        ; implicit-def: $vgpr15_vgpr16
                                        ; implicit-def: $vgpr11_vgpr12
                                        ; implicit-def: $vgpr13_vgpr14
	s_delay_alu instid0(VALU_DEP_1) | instskip(SKIP_1) | instid1(VALU_DEP_1)
	v_lshlrev_b64 v[8:9], 4, v[8:9]
	s_waitcnt lgkmcnt(0)
	v_add_co_u32 v8, vcc_lo, s2, v8
	s_delay_alu instid0(VALU_DEP_2)
	v_add_co_ci_u32_e32 v9, vcc_lo, s3, v9, vcc_lo
	s_clause 0x1
	global_store_b128 v[8:9], v[4:7], off
	global_store_b128 v[8:9], v[0:3], off offset:16
                                        ; implicit-def: $vgpr0_vgpr1
                                        ; implicit-def: $vgpr2_vgpr3
                                        ; implicit-def: $vgpr4_vgpr5
                                        ; implicit-def: $vgpr6_vgpr7
                                        ; implicit-def: $vgpr8
                                        ; implicit-def: $vgpr9_vgpr10
.LBB247_23:
	s_and_not1_saveexec_b32 s0, s0
	s_cbranch_execz .LBB247_25
; %bb.24:
	v_lshlrev_b32_e32 v17, 1, v8
	s_delay_alu instid0(VALU_DEP_4) | instskip(SKIP_1) | instid1(VALU_DEP_4)
	v_mul_f64 v[27:28], v[15:16], -v[2:3]
	v_mul_f64 v[15:16], v[0:1], v[15:16]
	v_mul_f64 v[29:30], v[13:14], -v[2:3]
	v_mul_f64 v[13:14], v[0:1], v[13:14]
	v_ashrrev_i32_e32 v18, 31, v17
	s_delay_alu instid0(VALU_DEP_1) | instskip(SKIP_1) | instid1(VALU_DEP_1)
	v_lshlrev_b64 v[17:18], 4, v[17:18]
	s_waitcnt lgkmcnt(0)
	v_add_co_u32 v25, vcc_lo, s2, v17
	s_delay_alu instid0(VALU_DEP_2)
	v_add_co_ci_u32_e32 v26, vcc_lo, s3, v18, vcc_lo
	s_clause 0x1
	global_load_b128 v[17:20], v[25:26], off
	global_load_b128 v[21:24], v[25:26], off offset:16
	v_fma_f64 v[27:28], v[0:1], v[9:10], v[27:28]
	v_fma_f64 v[8:9], v[2:3], v[9:10], v[15:16]
	;; [unrolled: 1-line block ×4, first 2 shown]
	s_waitcnt vmcnt(1)
	s_delay_alu instid0(VALU_DEP_4) | instskip(NEXT) | instid1(VALU_DEP_4)
	v_fma_f64 v[10:11], v[4:5], v[17:18], v[27:28]
	v_fma_f64 v[8:9], v[6:7], v[17:18], v[8:9]
	s_waitcnt vmcnt(0)
	s_delay_alu instid0(VALU_DEP_4) | instskip(NEXT) | instid1(VALU_DEP_4)
	v_fma_f64 v[12:13], v[4:5], v[21:22], v[0:1]
	v_fma_f64 v[14:15], v[6:7], v[21:22], v[2:3]
	s_delay_alu instid0(VALU_DEP_4) | instskip(NEXT) | instid1(VALU_DEP_4)
	v_fma_f64 v[0:1], -v[6:7], v[19:20], v[10:11]
	v_fma_f64 v[2:3], v[4:5], v[19:20], v[8:9]
	s_delay_alu instid0(VALU_DEP_4) | instskip(NEXT) | instid1(VALU_DEP_4)
	v_fma_f64 v[6:7], -v[6:7], v[23:24], v[12:13]
	v_fma_f64 v[8:9], v[4:5], v[23:24], v[14:15]
	s_clause 0x1
	global_store_b128 v[25:26], v[0:3], off
	global_store_b128 v[25:26], v[6:9], off offset:16
.LBB247_25:
	s_nop 0
	s_sendmsg sendmsg(MSG_DEALLOC_VGPRS)
	s_endpgm
	.section	.rodata,"a",@progbits
	.p2align	6, 0x0
	.amdhsa_kernel _ZN9rocsparseL19gebsrmvn_2xn_kernelILj128ELj5ELj64E21rocsparse_complex_numIdEEEvi20rocsparse_direction_NS_24const_host_device_scalarIT2_EEPKiS8_PKS5_SA_S6_PS5_21rocsparse_index_base_b
		.amdhsa_group_segment_fixed_size 2048
		.amdhsa_private_segment_fixed_size 0
		.amdhsa_kernarg_size 88
		.amdhsa_user_sgpr_count 15
		.amdhsa_user_sgpr_dispatch_ptr 1
		.amdhsa_user_sgpr_queue_ptr 0
		.amdhsa_user_sgpr_kernarg_segment_ptr 1
		.amdhsa_user_sgpr_dispatch_id 0
		.amdhsa_user_sgpr_private_segment_size 0
		.amdhsa_wavefront_size32 1
		.amdhsa_uses_dynamic_stack 0
		.amdhsa_enable_private_segment 0
		.amdhsa_system_sgpr_workgroup_id_x 1
		.amdhsa_system_sgpr_workgroup_id_y 0
		.amdhsa_system_sgpr_workgroup_id_z 0
		.amdhsa_system_sgpr_workgroup_info 0
		.amdhsa_system_vgpr_workitem_id 2
		.amdhsa_next_free_vgpr 86
		.amdhsa_next_free_sgpr 18
		.amdhsa_reserve_vcc 1
		.amdhsa_float_round_mode_32 0
		.amdhsa_float_round_mode_16_64 0
		.amdhsa_float_denorm_mode_32 3
		.amdhsa_float_denorm_mode_16_64 3
		.amdhsa_dx10_clamp 1
		.amdhsa_ieee_mode 1
		.amdhsa_fp16_overflow 0
		.amdhsa_workgroup_processor_mode 1
		.amdhsa_memory_ordered 1
		.amdhsa_forward_progress 0
		.amdhsa_shared_vgpr_count 0
		.amdhsa_exception_fp_ieee_invalid_op 0
		.amdhsa_exception_fp_denorm_src 0
		.amdhsa_exception_fp_ieee_div_zero 0
		.amdhsa_exception_fp_ieee_overflow 0
		.amdhsa_exception_fp_ieee_underflow 0
		.amdhsa_exception_fp_ieee_inexact 0
		.amdhsa_exception_int_div_zero 0
	.end_amdhsa_kernel
	.section	.text._ZN9rocsparseL19gebsrmvn_2xn_kernelILj128ELj5ELj64E21rocsparse_complex_numIdEEEvi20rocsparse_direction_NS_24const_host_device_scalarIT2_EEPKiS8_PKS5_SA_S6_PS5_21rocsparse_index_base_b,"axG",@progbits,_ZN9rocsparseL19gebsrmvn_2xn_kernelILj128ELj5ELj64E21rocsparse_complex_numIdEEEvi20rocsparse_direction_NS_24const_host_device_scalarIT2_EEPKiS8_PKS5_SA_S6_PS5_21rocsparse_index_base_b,comdat
.Lfunc_end247:
	.size	_ZN9rocsparseL19gebsrmvn_2xn_kernelILj128ELj5ELj64E21rocsparse_complex_numIdEEEvi20rocsparse_direction_NS_24const_host_device_scalarIT2_EEPKiS8_PKS5_SA_S6_PS5_21rocsparse_index_base_b, .Lfunc_end247-_ZN9rocsparseL19gebsrmvn_2xn_kernelILj128ELj5ELj64E21rocsparse_complex_numIdEEEvi20rocsparse_direction_NS_24const_host_device_scalarIT2_EEPKiS8_PKS5_SA_S6_PS5_21rocsparse_index_base_b
                                        ; -- End function
	.section	.AMDGPU.csdata,"",@progbits
; Kernel info:
; codeLenInByte = 3880
; NumSgprs: 20
; NumVgprs: 86
; ScratchSize: 0
; MemoryBound: 0
; FloatMode: 240
; IeeeMode: 1
; LDSByteSize: 2048 bytes/workgroup (compile time only)
; SGPRBlocks: 2
; VGPRBlocks: 10
; NumSGPRsForWavesPerEU: 20
; NumVGPRsForWavesPerEU: 86
; Occupancy: 16
; WaveLimiterHint : 1
; COMPUTE_PGM_RSRC2:SCRATCH_EN: 0
; COMPUTE_PGM_RSRC2:USER_SGPR: 15
; COMPUTE_PGM_RSRC2:TRAP_HANDLER: 0
; COMPUTE_PGM_RSRC2:TGID_X_EN: 1
; COMPUTE_PGM_RSRC2:TGID_Y_EN: 0
; COMPUTE_PGM_RSRC2:TGID_Z_EN: 0
; COMPUTE_PGM_RSRC2:TIDIG_COMP_CNT: 2
	.section	.text._ZN9rocsparseL19gebsrmvn_2xn_kernelILj128ELj6ELj4E21rocsparse_complex_numIdEEEvi20rocsparse_direction_NS_24const_host_device_scalarIT2_EEPKiS8_PKS5_SA_S6_PS5_21rocsparse_index_base_b,"axG",@progbits,_ZN9rocsparseL19gebsrmvn_2xn_kernelILj128ELj6ELj4E21rocsparse_complex_numIdEEEvi20rocsparse_direction_NS_24const_host_device_scalarIT2_EEPKiS8_PKS5_SA_S6_PS5_21rocsparse_index_base_b,comdat
	.globl	_ZN9rocsparseL19gebsrmvn_2xn_kernelILj128ELj6ELj4E21rocsparse_complex_numIdEEEvi20rocsparse_direction_NS_24const_host_device_scalarIT2_EEPKiS8_PKS5_SA_S6_PS5_21rocsparse_index_base_b ; -- Begin function _ZN9rocsparseL19gebsrmvn_2xn_kernelILj128ELj6ELj4E21rocsparse_complex_numIdEEEvi20rocsparse_direction_NS_24const_host_device_scalarIT2_EEPKiS8_PKS5_SA_S6_PS5_21rocsparse_index_base_b
	.p2align	8
	.type	_ZN9rocsparseL19gebsrmvn_2xn_kernelILj128ELj6ELj4E21rocsparse_complex_numIdEEEvi20rocsparse_direction_NS_24const_host_device_scalarIT2_EEPKiS8_PKS5_SA_S6_PS5_21rocsparse_index_base_b,@function
_ZN9rocsparseL19gebsrmvn_2xn_kernelILj128ELj6ELj4E21rocsparse_complex_numIdEEEvi20rocsparse_direction_NS_24const_host_device_scalarIT2_EEPKiS8_PKS5_SA_S6_PS5_21rocsparse_index_base_b: ; @_ZN9rocsparseL19gebsrmvn_2xn_kernelILj128ELj6ELj4E21rocsparse_complex_numIdEEEvi20rocsparse_direction_NS_24const_host_device_scalarIT2_EEPKiS8_PKS5_SA_S6_PS5_21rocsparse_index_base_b
; %bb.0:
	s_load_b64 s[12:13], s[2:3], 0x50
	s_load_b64 s[16:17], s[0:1], 0x4
	s_load_b128 s[8:11], s[2:3], 0x8
	v_bfe_u32 v1, v0, 10, 10
	s_mov_b64 s[0:1], src_shared_base
	s_load_b128 s[4:7], s[2:3], 0x38
	v_and_b32_e32 v10, 0x3ff, v0
	v_bfe_u32 v0, v0, 20, 10
	s_waitcnt lgkmcnt(0)
	s_bitcmp1_b32 s13, 0
	v_mul_u32_u24_e32 v1, s17, v1
	s_cselect_b32 s0, -1, 0
	s_delay_alu instid0(SALU_CYCLE_1)
	s_and_b32 vcc_lo, s0, exec_lo
	s_cselect_b32 s13, s1, s9
	s_lshr_b32 s14, s16, 16
	v_dual_mov_b32 v2, s4 :: v_dual_mov_b32 v3, s5
	s_mul_i32 s14, s14, s17
	v_mov_b32_e32 v6, s13
	v_mad_u32_u24 v1, s14, v10, v1
	s_delay_alu instid0(VALU_DEP_1) | instskip(SKIP_1) | instid1(VALU_DEP_2)
	v_add_lshl_u32 v4, v1, v0, 3
	v_dual_mov_b32 v0, s8 :: v_dual_mov_b32 v1, s9
	v_add_nc_u32_e32 v5, 0x400, v4
	ds_store_2addr_stride64_b64 v4, v[2:3], v[0:1] offset1:2
	v_dual_mov_b32 v2, s10 :: v_dual_mov_b32 v3, s11
	v_cndmask_b32_e64 v5, s8, v5, s0
	s_xor_b32 s10, s0, -1
	flat_load_b64 v[0:1], v[5:6]
	s_cbranch_vccnz .LBB248_2
; %bb.1:
	v_dual_mov_b32 v2, s8 :: v_dual_mov_b32 v3, s9
	flat_load_b64 v[2:3], v[2:3] offset:8
.LBB248_2:
	s_and_b32 s8, s0, exec_lo
	s_cselect_b32 s1, s1, s5
	v_cndmask_b32_e64 v4, s4, v4, s0
	v_dual_mov_b32 v5, s1 :: v_dual_mov_b32 v6, s6
	v_mov_b32_e32 v7, s7
	s_and_not1_b32 vcc_lo, exec_lo, s10
	flat_load_b64 v[4:5], v[4:5]
	s_cbranch_vccnz .LBB248_4
; %bb.3:
	v_dual_mov_b32 v7, s5 :: v_dual_mov_b32 v6, s4
	flat_load_b64 v[6:7], v[6:7] offset:8
.LBB248_4:
	s_waitcnt vmcnt(1) lgkmcnt(1)
	v_cmp_eq_f64_e32 vcc_lo, 0, v[0:1]
	v_cmp_eq_f64_e64 s0, 0, v[2:3]
	s_delay_alu instid0(VALU_DEP_1)
	s_and_b32 s4, vcc_lo, s0
	s_mov_b32 s0, -1
	s_and_saveexec_b32 s1, s4
	s_cbranch_execz .LBB248_6
; %bb.5:
	s_waitcnt vmcnt(0) lgkmcnt(0)
	v_cmp_neq_f64_e32 vcc_lo, 1.0, v[4:5]
	v_cmp_neq_f64_e64 s0, 0, v[6:7]
	s_delay_alu instid0(VALU_DEP_1) | instskip(NEXT) | instid1(SALU_CYCLE_1)
	s_or_b32 s0, vcc_lo, s0
	s_or_not1_b32 s0, s0, exec_lo
.LBB248_6:
	s_or_b32 exec_lo, exec_lo, s1
	s_and_saveexec_b32 s1, s0
	s_cbranch_execz .LBB248_25
; %bb.7:
	s_load_b64 s[0:1], s[2:3], 0x0
	v_lshrrev_b32_e32 v8, 2, v10
	s_delay_alu instid0(VALU_DEP_1) | instskip(SKIP_1) | instid1(VALU_DEP_1)
	v_lshl_or_b32 v8, s15, 5, v8
	s_waitcnt lgkmcnt(0)
	v_cmp_gt_i32_e32 vcc_lo, s0, v8
	s_and_b32 exec_lo, exec_lo, vcc_lo
	s_cbranch_execz .LBB248_25
; %bb.8:
	s_load_b256 s[4:11], s[2:3], 0x18
	v_ashrrev_i32_e32 v9, 31, v8
	v_and_b32_e32 v25, 3, v10
	s_cmp_lg_u32 s1, 0
	s_delay_alu instid0(VALU_DEP_2) | instskip(SKIP_1) | instid1(VALU_DEP_1)
	v_lshlrev_b64 v[11:12], 2, v[8:9]
	s_waitcnt lgkmcnt(0)
	v_add_co_u32 v11, vcc_lo, s4, v11
	s_delay_alu instid0(VALU_DEP_2) | instskip(SKIP_4) | instid1(VALU_DEP_2)
	v_add_co_ci_u32_e32 v12, vcc_lo, s5, v12, vcc_lo
	global_load_b64 v[11:12], v[11:12], off
	s_waitcnt vmcnt(0)
	v_subrev_nc_u32_e32 v9, s12, v11
	v_subrev_nc_u32_e32 v24, s12, v12
	v_add_nc_u32_e32 v9, v9, v25
	s_delay_alu instid0(VALU_DEP_1)
	v_cmp_lt_i32_e64 s0, v9, v24
	s_cbranch_scc0 .LBB248_14
; %bb.9:
	v_mov_b32_e32 v11, 0
	v_mov_b32_e32 v12, 0
	s_delay_alu instid0(VALU_DEP_1)
	v_dual_mov_b32 v14, v12 :: v_dual_mov_b32 v13, v11
	v_dual_mov_b32 v16, v12 :: v_dual_mov_b32 v15, v11
	;; [unrolled: 1-line block ×3, first 2 shown]
	s_and_saveexec_b32 s1, s0
	s_cbranch_execz .LBB248_13
; %bb.10:
	v_dual_mov_b32 v11, 0 :: v_dual_mov_b32 v22, v9
	v_dual_mov_b32 v12, 0 :: v_dual_mov_b32 v21, 0
	v_mad_u64_u32 v[19:20], null, v9, 12, 10
	s_mov_b32 s4, 0
	s_delay_alu instid0(VALU_DEP_2)
	v_dual_mov_b32 v14, v12 :: v_dual_mov_b32 v13, v11
	v_dual_mov_b32 v16, v12 :: v_dual_mov_b32 v15, v11
	;; [unrolled: 1-line block ×3, first 2 shown]
.LBB248_11:                             ; =>This Inner Loop Header: Depth=1
	v_ashrrev_i32_e32 v23, 31, v22
	v_dual_mov_b32 v75, v21 :: v_dual_add_nc_u32 v20, -10, v19
	s_delay_alu instid0(VALU_DEP_2) | instskip(SKIP_1) | instid1(VALU_DEP_2)
	v_lshlrev_b64 v[26:27], 2, v[22:23]
	v_add_nc_u32_e32 v22, 4, v22
	v_add_co_u32 v26, vcc_lo, s6, v26
	s_delay_alu instid0(VALU_DEP_3) | instskip(SKIP_3) | instid1(VALU_DEP_1)
	v_add_co_ci_u32_e32 v27, vcc_lo, s7, v27, vcc_lo
	global_load_b32 v10, v[26:27], off
	v_lshlrev_b64 v[26:27], 4, v[20:21]
	v_add_nc_u32_e32 v20, -6, v19
	v_lshlrev_b64 v[50:51], 4, v[20:21]
	s_delay_alu instid0(VALU_DEP_3) | instskip(NEXT) | instid1(VALU_DEP_4)
	v_add_co_u32 v46, vcc_lo, s8, v26
	v_add_co_ci_u32_e32 v47, vcc_lo, s9, v27, vcc_lo
	global_load_b128 v[26:29], v[46:47], off offset:16
	s_waitcnt vmcnt(1)
	v_subrev_nc_u32_e32 v10, s12, v10
	s_delay_alu instid0(VALU_DEP_1) | instskip(NEXT) | instid1(VALU_DEP_1)
	v_mul_lo_u32 v74, v10, 6
	v_lshlrev_b64 v[30:31], 4, v[74:75]
	v_add_nc_u32_e32 v20, 2, v74
	s_delay_alu instid0(VALU_DEP_1) | instskip(NEXT) | instid1(VALU_DEP_3)
	v_lshlrev_b64 v[56:57], 4, v[20:21]
	v_add_co_u32 v38, vcc_lo, s10, v30
	s_delay_alu instid0(VALU_DEP_4)
	v_add_co_ci_u32_e32 v39, vcc_lo, s11, v31, vcc_lo
	v_add_co_u32 v54, vcc_lo, s8, v50
	global_load_b128 v[30:33], v[46:47], off
	s_clause 0x1
	global_load_b128 v[34:37], v[38:39], off
	global_load_b128 v[38:41], v[38:39], off offset:16
	s_clause 0x1
	global_load_b128 v[42:45], v[46:47], off offset:32
	global_load_b128 v[46:49], v[46:47], off offset:48
	v_add_co_ci_u32_e32 v55, vcc_lo, s9, v51, vcc_lo
	v_add_co_u32 v62, vcc_lo, s10, v56
	v_add_co_ci_u32_e32 v63, vcc_lo, s11, v57, vcc_lo
	s_clause 0x1
	global_load_b128 v[50:53], v[54:55], off offset:16
	global_load_b128 v[54:57], v[54:55], off
	s_clause 0x1
	global_load_b128 v[58:61], v[62:63], off
	global_load_b128 v[62:65], v[62:63], off offset:16
	v_add_nc_u32_e32 v20, -4, v19
	s_delay_alu instid0(VALU_DEP_1) | instskip(SKIP_1) | instid1(VALU_DEP_2)
	v_lshlrev_b64 v[66:67], 4, v[20:21]
	v_add_nc_u32_e32 v20, -2, v19
	v_add_co_u32 v70, vcc_lo, s8, v66
	s_delay_alu instid0(VALU_DEP_3)
	v_add_co_ci_u32_e32 v71, vcc_lo, s9, v67, vcc_lo
	s_clause 0x1
	global_load_b128 v[66:69], v[70:71], off
	global_load_b128 v[70:73], v[70:71], off offset:16
	v_lshlrev_b64 v[75:76], 4, v[20:21]
	v_add_nc_u32_e32 v20, 4, v74
	s_delay_alu instid0(VALU_DEP_1) | instskip(NEXT) | instid1(VALU_DEP_3)
	v_lshlrev_b64 v[77:78], 4, v[20:21]
	v_add_co_u32 v79, vcc_lo, s8, v75
	s_delay_alu instid0(VALU_DEP_4) | instskip(SKIP_1) | instid1(VALU_DEP_4)
	v_add_co_ci_u32_e32 v80, vcc_lo, s9, v76, vcc_lo
	v_mov_b32_e32 v20, v21
	v_add_co_u32 v86, vcc_lo, s10, v77
	v_add_co_ci_u32_e32 v87, vcc_lo, s11, v78, vcc_lo
	s_clause 0x1
	global_load_b128 v[74:77], v[79:80], off offset:16
	global_load_b128 v[78:81], v[79:80], off
	s_clause 0x1
	global_load_b128 v[82:85], v[86:87], off
	global_load_b128 v[86:89], v[86:87], off offset:16
	s_waitcnt vmcnt(13)
	v_fma_f64 v[13:14], v[30:31], v[34:35], v[13:14]
	v_fma_f64 v[10:11], v[32:33], v[34:35], v[11:12]
	;; [unrolled: 1-line block ×4, first 2 shown]
	s_delay_alu instid0(VALU_DEP_4) | instskip(NEXT) | instid1(VALU_DEP_4)
	v_fma_f64 v[32:33], -v[32:33], v[36:37], v[13:14]
	v_fma_f64 v[30:31], v[30:31], v[36:37], v[10:11]
	s_delay_alu instid0(VALU_DEP_4) | instskip(NEXT) | instid1(VALU_DEP_4)
	v_fma_f64 v[14:15], -v[28:29], v[36:37], v[15:16]
	v_fma_f64 v[16:17], v[26:27], v[36:37], v[17:18]
	v_lshlrev_b64 v[10:11], 4, v[19:20]
	v_add_nc_u32_e32 v19, 48, v19
	s_delay_alu instid0(VALU_DEP_2) | instskip(NEXT) | instid1(VALU_DEP_3)
	v_add_co_u32 v26, vcc_lo, s8, v10
	v_add_co_ci_u32_e32 v27, vcc_lo, s9, v11, vcc_lo
	s_clause 0x1
	global_load_b128 v[10:13], v[26:27], off
	global_load_b128 v[26:29], v[26:27], off offset:16
	v_cmp_ge_i32_e32 vcc_lo, v22, v24
	s_or_b32 s4, vcc_lo, s4
	s_waitcnt vmcnt(13)
	v_fma_f64 v[32:33], v[42:43], v[38:39], v[32:33]
	v_fma_f64 v[30:31], v[44:45], v[38:39], v[30:31]
	s_waitcnt vmcnt(12)
	v_fma_f64 v[14:15], v[46:47], v[38:39], v[14:15]
	v_fma_f64 v[16:17], v[48:49], v[38:39], v[16:17]
	s_delay_alu instid0(VALU_DEP_4) | instskip(NEXT) | instid1(VALU_DEP_4)
	v_fma_f64 v[32:33], -v[44:45], v[40:41], v[32:33]
	v_fma_f64 v[30:31], v[42:43], v[40:41], v[30:31]
	s_delay_alu instid0(VALU_DEP_4) | instskip(NEXT) | instid1(VALU_DEP_4)
	v_fma_f64 v[14:15], -v[48:49], v[40:41], v[14:15]
	v_fma_f64 v[16:17], v[46:47], v[40:41], v[16:17]
	s_waitcnt vmcnt(9)
	s_delay_alu instid0(VALU_DEP_4) | instskip(NEXT) | instid1(VALU_DEP_4)
	v_fma_f64 v[32:33], v[54:55], v[58:59], v[32:33]
	v_fma_f64 v[30:31], v[56:57], v[58:59], v[30:31]
	s_delay_alu instid0(VALU_DEP_4) | instskip(NEXT) | instid1(VALU_DEP_4)
	v_fma_f64 v[14:15], v[50:51], v[58:59], v[14:15]
	v_fma_f64 v[16:17], v[52:53], v[58:59], v[16:17]
	s_delay_alu instid0(VALU_DEP_4) | instskip(NEXT) | instid1(VALU_DEP_4)
	v_fma_f64 v[32:33], -v[56:57], v[60:61], v[32:33]
	v_fma_f64 v[30:31], v[54:55], v[60:61], v[30:31]
	s_delay_alu instid0(VALU_DEP_4) | instskip(NEXT) | instid1(VALU_DEP_4)
	v_fma_f64 v[14:15], -v[52:53], v[60:61], v[14:15]
	v_fma_f64 v[16:17], v[50:51], v[60:61], v[16:17]
	s_waitcnt vmcnt(7)
	s_delay_alu instid0(VALU_DEP_4) | instskip(NEXT) | instid1(VALU_DEP_4)
	v_fma_f64 v[32:33], v[66:67], v[62:63], v[32:33]
	v_fma_f64 v[30:31], v[68:69], v[62:63], v[30:31]
	s_waitcnt vmcnt(6)
	s_delay_alu instid0(VALU_DEP_4) | instskip(NEXT) | instid1(VALU_DEP_4)
	v_fma_f64 v[14:15], v[70:71], v[62:63], v[14:15]
	v_fma_f64 v[16:17], v[72:73], v[62:63], v[16:17]
	s_delay_alu instid0(VALU_DEP_4) | instskip(NEXT) | instid1(VALU_DEP_4)
	v_fma_f64 v[32:33], -v[68:69], v[64:65], v[32:33]
	v_fma_f64 v[30:31], v[66:67], v[64:65], v[30:31]
	s_delay_alu instid0(VALU_DEP_4) | instskip(NEXT) | instid1(VALU_DEP_4)
	v_fma_f64 v[14:15], -v[72:73], v[64:65], v[14:15]
	v_fma_f64 v[16:17], v[70:71], v[64:65], v[16:17]
	s_waitcnt vmcnt(3)
	s_delay_alu instid0(VALU_DEP_4) | instskip(NEXT) | instid1(VALU_DEP_4)
	v_fma_f64 v[32:33], v[78:79], v[82:83], v[32:33]
	v_fma_f64 v[30:31], v[80:81], v[82:83], v[30:31]
	s_delay_alu instid0(VALU_DEP_4) | instskip(NEXT) | instid1(VALU_DEP_4)
	v_fma_f64 v[14:15], v[74:75], v[82:83], v[14:15]
	v_fma_f64 v[16:17], v[76:77], v[82:83], v[16:17]
	s_delay_alu instid0(VALU_DEP_4) | instskip(NEXT) | instid1(VALU_DEP_4)
	v_fma_f64 v[32:33], -v[80:81], v[84:85], v[32:33]
	v_fma_f64 v[30:31], v[78:79], v[84:85], v[30:31]
	s_delay_alu instid0(VALU_DEP_4) | instskip(NEXT) | instid1(VALU_DEP_4)
	v_fma_f64 v[14:15], -v[76:77], v[84:85], v[14:15]
	v_fma_f64 v[16:17], v[74:75], v[84:85], v[16:17]
	s_waitcnt vmcnt(1)
	s_delay_alu instid0(VALU_DEP_4) | instskip(NEXT) | instid1(VALU_DEP_4)
	v_fma_f64 v[32:33], v[10:11], v[86:87], v[32:33]
	v_fma_f64 v[30:31], v[12:13], v[86:87], v[30:31]
	s_waitcnt vmcnt(0)
	s_delay_alu instid0(VALU_DEP_4) | instskip(NEXT) | instid1(VALU_DEP_4)
	v_fma_f64 v[34:35], v[26:27], v[86:87], v[14:15]
	v_fma_f64 v[17:18], v[28:29], v[86:87], v[16:17]
	s_delay_alu instid0(VALU_DEP_4) | instskip(NEXT) | instid1(VALU_DEP_4)
	v_fma_f64 v[13:14], -v[12:13], v[88:89], v[32:33]
	v_fma_f64 v[11:12], v[10:11], v[88:89], v[30:31]
	s_delay_alu instid0(VALU_DEP_4) | instskip(NEXT) | instid1(VALU_DEP_4)
	v_fma_f64 v[15:16], -v[28:29], v[88:89], v[34:35]
	v_fma_f64 v[17:18], v[26:27], v[88:89], v[17:18]
	s_and_not1_b32 exec_lo, exec_lo, s4
	s_cbranch_execnz .LBB248_11
; %bb.12:
	s_or_b32 exec_lo, exec_lo, s4
.LBB248_13:
	s_delay_alu instid0(SALU_CYCLE_1)
	s_or_b32 exec_lo, exec_lo, s1
	s_cbranch_execz .LBB248_15
	s_branch .LBB248_20
.LBB248_14:
                                        ; implicit-def: $vgpr11_vgpr12
                                        ; implicit-def: $vgpr13_vgpr14
                                        ; implicit-def: $vgpr15_vgpr16
                                        ; implicit-def: $vgpr17_vgpr18
.LBB248_15:
	v_mov_b32_e32 v11, 0
	v_mov_b32_e32 v12, 0
	s_delay_alu instid0(VALU_DEP_1)
	v_dual_mov_b32 v14, v12 :: v_dual_mov_b32 v13, v11
	v_dual_mov_b32 v16, v12 :: v_dual_mov_b32 v15, v11
	;; [unrolled: 1-line block ×3, first 2 shown]
	s_and_saveexec_b32 s1, s0
	s_cbranch_execz .LBB248_19
; %bb.16:
	v_mov_b32_e32 v11, 0
	v_dual_mov_b32 v12, 0 :: v_dual_mov_b32 v21, 0
	v_mad_u64_u32 v[19:20], null, v9, 12, 11
	s_mov_b32 s0, 0
	s_delay_alu instid0(VALU_DEP_2)
	v_dual_mov_b32 v14, v12 :: v_dual_mov_b32 v13, v11
	v_dual_mov_b32 v16, v12 :: v_dual_mov_b32 v15, v11
	;; [unrolled: 1-line block ×3, first 2 shown]
.LBB248_17:                             ; =>This Inner Loop Header: Depth=1
	v_ashrrev_i32_e32 v10, 31, v9
	v_dual_mov_b32 v75, v21 :: v_dual_add_nc_u32 v20, -11, v19
	s_delay_alu instid0(VALU_DEP_2) | instskip(NEXT) | instid1(VALU_DEP_2)
	v_lshlrev_b64 v[22:23], 2, v[9:10]
	v_lshlrev_b64 v[26:27], 4, v[20:21]
	v_add_nc_u32_e32 v20, -4, v19
	v_add_nc_u32_e32 v9, 4, v9
	s_delay_alu instid0(VALU_DEP_4)
	v_add_co_u32 v22, vcc_lo, s6, v22
	v_add_co_ci_u32_e32 v23, vcc_lo, s7, v23, vcc_lo
	v_add_co_u32 v54, vcc_lo, s8, v26
	v_add_co_ci_u32_e32 v55, vcc_lo, s9, v27, vcc_lo
	global_load_b32 v10, v[22:23], off
	v_dual_mov_b32 v23, v21 :: v_dual_add_nc_u32 v22, -5, v19
	s_clause 0x1
	global_load_b128 v[26:29], v[54:55], off offset:16
	global_load_b128 v[30:33], v[54:55], off
	v_lshlrev_b64 v[22:23], 4, v[22:23]
	s_delay_alu instid0(VALU_DEP_1) | instskip(NEXT) | instid1(VALU_DEP_2)
	v_add_co_u32 v22, vcc_lo, s8, v22
	v_add_co_ci_u32_e32 v23, vcc_lo, s9, v23, vcc_lo
	s_waitcnt vmcnt(2)
	v_subrev_nc_u32_e32 v10, s12, v10
	s_delay_alu instid0(VALU_DEP_1) | instskip(NEXT) | instid1(VALU_DEP_1)
	v_mul_lo_u32 v74, v10, 6
	v_lshlrev_b64 v[34:35], 4, v[74:75]
	s_delay_alu instid0(VALU_DEP_1) | instskip(NEXT) | instid1(VALU_DEP_2)
	v_add_co_u32 v42, vcc_lo, s10, v34
	v_add_co_ci_u32_e32 v43, vcc_lo, s11, v35, vcc_lo
	global_load_b128 v[34:37], v[22:23], off
	s_clause 0x1
	global_load_b128 v[38:41], v[42:43], off
	global_load_b128 v[42:45], v[42:43], off offset:16
	v_lshlrev_b64 v[22:23], 4, v[20:21]
	v_add_nc_u32_e32 v20, 2, v74
	global_load_b128 v[50:53], v[54:55], off offset:48
	v_add_co_u32 v22, vcc_lo, s8, v22
	v_add_co_ci_u32_e32 v23, vcc_lo, s9, v23, vcc_lo
	global_load_b128 v[46:49], v[22:23], off
	v_lshlrev_b64 v[22:23], 4, v[20:21]
	v_add_nc_u32_e32 v20, -3, v19
	s_delay_alu instid0(VALU_DEP_1) | instskip(NEXT) | instid1(VALU_DEP_3)
	v_lshlrev_b64 v[56:57], 4, v[20:21]
	v_add_co_u32 v22, vcc_lo, s10, v22
	s_delay_alu instid0(VALU_DEP_4) | instskip(SKIP_1) | instid1(VALU_DEP_4)
	v_add_co_ci_u32_e32 v23, vcc_lo, s11, v23, vcc_lo
	v_add_nc_u32_e32 v20, -2, v19
	v_add_co_u32 v66, vcc_lo, s8, v56
	v_add_co_ci_u32_e32 v67, vcc_lo, s9, v57, vcc_lo
	global_load_b128 v[54:57], v[54:55], off offset:32
	s_clause 0x1
	global_load_b128 v[58:61], v[22:23], off
	global_load_b128 v[62:65], v[22:23], off offset:16
	global_load_b128 v[66:69], v[66:67], off
	v_lshlrev_b64 v[22:23], 4, v[20:21]
	v_add_nc_u32_e32 v20, -7, v19
	s_delay_alu instid0(VALU_DEP_2) | instskip(NEXT) | instid1(VALU_DEP_3)
	v_add_co_u32 v22, vcc_lo, s8, v22
	v_add_co_ci_u32_e32 v23, vcc_lo, s9, v23, vcc_lo
	global_load_b128 v[70:73], v[22:23], off
	v_lshlrev_b64 v[22:23], 4, v[20:21]
	v_add_nc_u32_e32 v20, 4, v74
	s_delay_alu instid0(VALU_DEP_1) | instskip(SKIP_1) | instid1(VALU_DEP_4)
	v_lshlrev_b64 v[74:75], 4, v[20:21]
	v_add_nc_u32_e32 v20, -1, v19
	v_add_co_u32 v22, vcc_lo, s8, v22
	v_add_co_ci_u32_e32 v23, vcc_lo, s9, v23, vcc_lo
	s_delay_alu instid0(VALU_DEP_3) | instskip(SKIP_3) | instid1(VALU_DEP_4)
	v_lshlrev_b64 v[76:77], 4, v[20:21]
	v_add_co_u32 v82, vcc_lo, s10, v74
	v_add_co_ci_u32_e32 v83, vcc_lo, s11, v75, vcc_lo
	v_mov_b32_e32 v20, v21
	v_add_co_u32 v86, vcc_lo, s8, v76
	v_add_co_ci_u32_e32 v87, vcc_lo, s9, v77, vcc_lo
	global_load_b128 v[74:77], v[22:23], off
	s_clause 0x1
	global_load_b128 v[78:81], v[82:83], off
	global_load_b128 v[82:85], v[82:83], off offset:16
	global_load_b128 v[86:89], v[86:87], off
	v_lshlrev_b64 v[22:23], 4, v[19:20]
	v_add_nc_u32_e32 v20, -6, v19
	v_add_nc_u32_e32 v19, 48, v19
	s_delay_alu instid0(VALU_DEP_3) | instskip(NEXT) | instid1(VALU_DEP_4)
	v_add_co_u32 v22, vcc_lo, s8, v22
	v_add_co_ci_u32_e32 v23, vcc_lo, s9, v23, vcc_lo
	s_waitcnt vmcnt(12)
	v_fma_f64 v[13:14], v[30:31], v[38:39], v[13:14]
	v_fma_f64 v[10:11], v[32:33], v[38:39], v[11:12]
	;; [unrolled: 1-line block ×4, first 2 shown]
	s_delay_alu instid0(VALU_DEP_4) | instskip(NEXT) | instid1(VALU_DEP_4)
	v_fma_f64 v[38:39], -v[32:33], v[40:41], v[13:14]
	v_fma_f64 v[90:91], v[30:31], v[40:41], v[10:11]
	s_delay_alu instid0(VALU_DEP_4) | instskip(NEXT) | instid1(VALU_DEP_4)
	v_fma_f64 v[14:15], -v[36:37], v[40:41], v[15:16]
	v_fma_f64 v[16:17], v[34:35], v[40:41], v[17:18]
	v_lshlrev_b64 v[10:11], 4, v[20:21]
	s_delay_alu instid0(VALU_DEP_1) | instskip(NEXT) | instid1(VALU_DEP_2)
	v_add_co_u32 v10, vcc_lo, s8, v10
	v_add_co_ci_u32_e32 v11, vcc_lo, s9, v11, vcc_lo
	s_clause 0x1
	global_load_b128 v[30:33], v[22:23], off
	global_load_b128 v[10:13], v[10:11], off
	v_cmp_ge_i32_e32 vcc_lo, v9, v24
	s_or_b32 s0, vcc_lo, s0
	s_waitcnt vmcnt(13)
	v_fma_f64 v[22:23], v[26:27], v[42:43], v[38:39]
	v_fma_f64 v[34:35], v[28:29], v[42:43], v[90:91]
	s_waitcnt vmcnt(11)
	v_fma_f64 v[14:15], v[46:47], v[42:43], v[14:15]
	v_fma_f64 v[16:17], v[48:49], v[42:43], v[16:17]
	s_delay_alu instid0(VALU_DEP_4) | instskip(NEXT) | instid1(VALU_DEP_4)
	v_fma_f64 v[22:23], -v[28:29], v[44:45], v[22:23]
	v_fma_f64 v[26:27], v[26:27], v[44:45], v[34:35]
	s_delay_alu instid0(VALU_DEP_4) | instskip(NEXT) | instid1(VALU_DEP_4)
	v_fma_f64 v[14:15], -v[48:49], v[44:45], v[14:15]
	v_fma_f64 v[16:17], v[46:47], v[44:45], v[16:17]
	s_waitcnt vmcnt(9)
	s_delay_alu instid0(VALU_DEP_4) | instskip(NEXT) | instid1(VALU_DEP_4)
	v_fma_f64 v[22:23], v[54:55], v[58:59], v[22:23]
	v_fma_f64 v[26:27], v[56:57], v[58:59], v[26:27]
	s_waitcnt vmcnt(7)
	s_delay_alu instid0(VALU_DEP_4) | instskip(NEXT) | instid1(VALU_DEP_4)
	v_fma_f64 v[14:15], v[66:67], v[58:59], v[14:15]
	v_fma_f64 v[16:17], v[68:69], v[58:59], v[16:17]
	s_delay_alu instid0(VALU_DEP_4) | instskip(NEXT) | instid1(VALU_DEP_4)
	v_fma_f64 v[22:23], -v[56:57], v[60:61], v[22:23]
	v_fma_f64 v[26:27], v[54:55], v[60:61], v[26:27]
	s_delay_alu instid0(VALU_DEP_4) | instskip(NEXT) | instid1(VALU_DEP_4)
	v_fma_f64 v[14:15], -v[68:69], v[60:61], v[14:15]
	v_fma_f64 v[16:17], v[66:67], v[60:61], v[16:17]
	s_delay_alu instid0(VALU_DEP_4) | instskip(NEXT) | instid1(VALU_DEP_4)
	v_fma_f64 v[22:23], v[50:51], v[62:63], v[22:23]
	v_fma_f64 v[26:27], v[52:53], v[62:63], v[26:27]
	s_waitcnt vmcnt(6)
	s_delay_alu instid0(VALU_DEP_4) | instskip(NEXT) | instid1(VALU_DEP_4)
	v_fma_f64 v[14:15], v[70:71], v[62:63], v[14:15]
	v_fma_f64 v[16:17], v[72:73], v[62:63], v[16:17]
	s_delay_alu instid0(VALU_DEP_4) | instskip(NEXT) | instid1(VALU_DEP_4)
	v_fma_f64 v[22:23], -v[52:53], v[64:65], v[22:23]
	v_fma_f64 v[26:27], v[50:51], v[64:65], v[26:27]
	s_delay_alu instid0(VALU_DEP_4) | instskip(NEXT) | instid1(VALU_DEP_4)
	v_fma_f64 v[14:15], -v[72:73], v[64:65], v[14:15]
	v_fma_f64 v[16:17], v[70:71], v[64:65], v[16:17]
	s_waitcnt vmcnt(4)
	s_delay_alu instid0(VALU_DEP_4) | instskip(NEXT) | instid1(VALU_DEP_4)
	v_fma_f64 v[22:23], v[74:75], v[78:79], v[22:23]
	v_fma_f64 v[26:27], v[76:77], v[78:79], v[26:27]
	s_waitcnt vmcnt(2)
	s_delay_alu instid0(VALU_DEP_4) | instskip(NEXT) | instid1(VALU_DEP_4)
	v_fma_f64 v[14:15], v[86:87], v[78:79], v[14:15]
	v_fma_f64 v[16:17], v[88:89], v[78:79], v[16:17]
	s_delay_alu instid0(VALU_DEP_4) | instskip(NEXT) | instid1(VALU_DEP_4)
	v_fma_f64 v[22:23], -v[76:77], v[80:81], v[22:23]
	v_fma_f64 v[26:27], v[74:75], v[80:81], v[26:27]
	s_delay_alu instid0(VALU_DEP_4) | instskip(NEXT) | instid1(VALU_DEP_4)
	v_fma_f64 v[14:15], -v[88:89], v[80:81], v[14:15]
	v_fma_f64 v[16:17], v[86:87], v[80:81], v[16:17]
	s_waitcnt vmcnt(0)
	s_delay_alu instid0(VALU_DEP_4) | instskip(NEXT) | instid1(VALU_DEP_4)
	v_fma_f64 v[22:23], v[10:11], v[82:83], v[22:23]
	v_fma_f64 v[26:27], v[12:13], v[82:83], v[26:27]
	s_delay_alu instid0(VALU_DEP_4) | instskip(NEXT) | instid1(VALU_DEP_4)
	v_fma_f64 v[28:29], v[30:31], v[82:83], v[14:15]
	v_fma_f64 v[17:18], v[32:33], v[82:83], v[16:17]
	s_delay_alu instid0(VALU_DEP_4) | instskip(NEXT) | instid1(VALU_DEP_4)
	v_fma_f64 v[13:14], -v[12:13], v[84:85], v[22:23]
	v_fma_f64 v[11:12], v[10:11], v[84:85], v[26:27]
	s_delay_alu instid0(VALU_DEP_4) | instskip(NEXT) | instid1(VALU_DEP_4)
	v_fma_f64 v[15:16], -v[32:33], v[84:85], v[28:29]
	v_fma_f64 v[17:18], v[30:31], v[84:85], v[17:18]
	s_and_not1_b32 exec_lo, exec_lo, s0
	s_cbranch_execnz .LBB248_17
; %bb.18:
	s_or_b32 exec_lo, exec_lo, s0
.LBB248_19:
	s_delay_alu instid0(SALU_CYCLE_1)
	s_or_b32 exec_lo, exec_lo, s1
.LBB248_20:
	v_mbcnt_lo_u32_b32 v26, -1, 0
	s_delay_alu instid0(VALU_DEP_1) | instskip(NEXT) | instid1(VALU_DEP_1)
	v_xor_b32_e32 v9, 2, v26
	v_cmp_gt_i32_e32 vcc_lo, 32, v9
	v_cndmask_b32_e32 v9, v26, v9, vcc_lo
	s_delay_alu instid0(VALU_DEP_1)
	v_lshlrev_b32_e32 v24, 2, v9
	ds_bpermute_b32 v19, v24, v11
	ds_bpermute_b32 v20, v24, v12
	;; [unrolled: 1-line block ×4, first 2 shown]
	s_waitcnt lgkmcnt(2)
	v_add_f64 v[19:20], v[11:12], v[19:20]
	s_waitcnt lgkmcnt(0)
	v_add_f64 v[11:12], v[15:16], v[21:22]
	v_xor_b32_e32 v15, 1, v26
	s_delay_alu instid0(VALU_DEP_1)
	v_cmp_gt_i32_e32 vcc_lo, 32, v15
	v_cndmask_b32_e32 v15, v26, v15, vcc_lo
	ds_bpermute_b32 v9, v24, v13
	ds_bpermute_b32 v10, v24, v14
	;; [unrolled: 1-line block ×4, first 2 shown]
	v_lshlrev_b32_e32 v22, 2, v15
	v_cmp_eq_u32_e32 vcc_lo, 3, v25
	s_waitcnt lgkmcnt(2)
	v_add_f64 v[9:10], v[13:14], v[9:10]
	s_waitcnt lgkmcnt(0)
	v_add_f64 v[13:14], v[17:18], v[23:24]
	ds_bpermute_b32 v15, v22, v19
	ds_bpermute_b32 v16, v22, v20
	;; [unrolled: 1-line block ×8, first 2 shown]
	s_and_b32 exec_lo, exec_lo, vcc_lo
	s_cbranch_execz .LBB248_25
; %bb.21:
	v_cmp_eq_f64_e32 vcc_lo, 0, v[4:5]
	v_cmp_eq_f64_e64 s0, 0, v[6:7]
	s_waitcnt lgkmcnt(2)
	v_add_f64 v[9:10], v[9:10], v[23:24]
	v_add_f64 v[15:16], v[19:20], v[15:16]
	v_add_f64 v[11:12], v[11:12], v[17:18]
	s_waitcnt lgkmcnt(0)
	v_add_f64 v[13:14], v[13:14], v[21:22]
	s_load_b64 s[2:3], s[2:3], 0x48
	s_and_b32 s0, vcc_lo, s0
	s_delay_alu instid0(SALU_CYCLE_1) | instskip(NEXT) | instid1(SALU_CYCLE_1)
	s_and_saveexec_b32 s1, s0
	s_xor_b32 s0, exec_lo, s1
	s_cbranch_execz .LBB248_23
; %bb.22:
	s_delay_alu instid0(VALU_DEP_3) | instskip(SKIP_1) | instid1(VALU_DEP_3)
	v_mul_f64 v[4:5], v[15:16], -v[2:3]
	v_mul_f64 v[6:7], v[0:1], v[15:16]
	v_mul_f64 v[15:16], v[13:14], -v[2:3]
	v_mul_f64 v[13:14], v[0:1], v[13:14]
	v_lshlrev_b32_e32 v8, 1, v8
	v_fma_f64 v[4:5], v[0:1], v[9:10], v[4:5]
	v_fma_f64 v[6:7], v[2:3], v[9:10], v[6:7]
	;; [unrolled: 1-line block ×4, first 2 shown]
	v_ashrrev_i32_e32 v9, 31, v8
                                        ; implicit-def: $vgpr15_vgpr16
                                        ; implicit-def: $vgpr11_vgpr12
                                        ; implicit-def: $vgpr13_vgpr14
	s_delay_alu instid0(VALU_DEP_1) | instskip(SKIP_1) | instid1(VALU_DEP_1)
	v_lshlrev_b64 v[8:9], 4, v[8:9]
	s_waitcnt lgkmcnt(0)
	v_add_co_u32 v8, vcc_lo, s2, v8
	s_delay_alu instid0(VALU_DEP_2)
	v_add_co_ci_u32_e32 v9, vcc_lo, s3, v9, vcc_lo
	s_clause 0x1
	global_store_b128 v[8:9], v[4:7], off
	global_store_b128 v[8:9], v[0:3], off offset:16
                                        ; implicit-def: $vgpr0_vgpr1
                                        ; implicit-def: $vgpr2_vgpr3
                                        ; implicit-def: $vgpr4_vgpr5
                                        ; implicit-def: $vgpr6_vgpr7
                                        ; implicit-def: $vgpr8
                                        ; implicit-def: $vgpr9_vgpr10
.LBB248_23:
	s_and_not1_saveexec_b32 s0, s0
	s_cbranch_execz .LBB248_25
; %bb.24:
	v_lshlrev_b32_e32 v17, 1, v8
	s_delay_alu instid0(VALU_DEP_4) | instskip(SKIP_1) | instid1(VALU_DEP_4)
	v_mul_f64 v[27:28], v[15:16], -v[2:3]
	v_mul_f64 v[15:16], v[0:1], v[15:16]
	v_mul_f64 v[29:30], v[13:14], -v[2:3]
	v_mul_f64 v[13:14], v[0:1], v[13:14]
	v_ashrrev_i32_e32 v18, 31, v17
	s_delay_alu instid0(VALU_DEP_1) | instskip(SKIP_1) | instid1(VALU_DEP_1)
	v_lshlrev_b64 v[17:18], 4, v[17:18]
	s_waitcnt lgkmcnt(0)
	v_add_co_u32 v25, vcc_lo, s2, v17
	s_delay_alu instid0(VALU_DEP_2)
	v_add_co_ci_u32_e32 v26, vcc_lo, s3, v18, vcc_lo
	s_clause 0x1
	global_load_b128 v[17:20], v[25:26], off
	global_load_b128 v[21:24], v[25:26], off offset:16
	v_fma_f64 v[27:28], v[0:1], v[9:10], v[27:28]
	v_fma_f64 v[8:9], v[2:3], v[9:10], v[15:16]
	;; [unrolled: 1-line block ×4, first 2 shown]
	s_waitcnt vmcnt(1)
	s_delay_alu instid0(VALU_DEP_4) | instskip(NEXT) | instid1(VALU_DEP_4)
	v_fma_f64 v[10:11], v[4:5], v[17:18], v[27:28]
	v_fma_f64 v[8:9], v[6:7], v[17:18], v[8:9]
	s_waitcnt vmcnt(0)
	s_delay_alu instid0(VALU_DEP_4) | instskip(NEXT) | instid1(VALU_DEP_4)
	v_fma_f64 v[12:13], v[4:5], v[21:22], v[0:1]
	v_fma_f64 v[14:15], v[6:7], v[21:22], v[2:3]
	s_delay_alu instid0(VALU_DEP_4) | instskip(NEXT) | instid1(VALU_DEP_4)
	v_fma_f64 v[0:1], -v[6:7], v[19:20], v[10:11]
	v_fma_f64 v[2:3], v[4:5], v[19:20], v[8:9]
	s_delay_alu instid0(VALU_DEP_4) | instskip(NEXT) | instid1(VALU_DEP_4)
	v_fma_f64 v[6:7], -v[6:7], v[23:24], v[12:13]
	v_fma_f64 v[8:9], v[4:5], v[23:24], v[14:15]
	s_clause 0x1
	global_store_b128 v[25:26], v[0:3], off
	global_store_b128 v[25:26], v[6:9], off offset:16
.LBB248_25:
	s_nop 0
	s_sendmsg sendmsg(MSG_DEALLOC_VGPRS)
	s_endpgm
	.section	.rodata,"a",@progbits
	.p2align	6, 0x0
	.amdhsa_kernel _ZN9rocsparseL19gebsrmvn_2xn_kernelILj128ELj6ELj4E21rocsparse_complex_numIdEEEvi20rocsparse_direction_NS_24const_host_device_scalarIT2_EEPKiS8_PKS5_SA_S6_PS5_21rocsparse_index_base_b
		.amdhsa_group_segment_fixed_size 2048
		.amdhsa_private_segment_fixed_size 0
		.amdhsa_kernarg_size 88
		.amdhsa_user_sgpr_count 15
		.amdhsa_user_sgpr_dispatch_ptr 1
		.amdhsa_user_sgpr_queue_ptr 0
		.amdhsa_user_sgpr_kernarg_segment_ptr 1
		.amdhsa_user_sgpr_dispatch_id 0
		.amdhsa_user_sgpr_private_segment_size 0
		.amdhsa_wavefront_size32 1
		.amdhsa_uses_dynamic_stack 0
		.amdhsa_enable_private_segment 0
		.amdhsa_system_sgpr_workgroup_id_x 1
		.amdhsa_system_sgpr_workgroup_id_y 0
		.amdhsa_system_sgpr_workgroup_id_z 0
		.amdhsa_system_sgpr_workgroup_info 0
		.amdhsa_system_vgpr_workitem_id 2
		.amdhsa_next_free_vgpr 92
		.amdhsa_next_free_sgpr 18
		.amdhsa_reserve_vcc 1
		.amdhsa_float_round_mode_32 0
		.amdhsa_float_round_mode_16_64 0
		.amdhsa_float_denorm_mode_32 3
		.amdhsa_float_denorm_mode_16_64 3
		.amdhsa_dx10_clamp 1
		.amdhsa_ieee_mode 1
		.amdhsa_fp16_overflow 0
		.amdhsa_workgroup_processor_mode 1
		.amdhsa_memory_ordered 1
		.amdhsa_forward_progress 0
		.amdhsa_shared_vgpr_count 0
		.amdhsa_exception_fp_ieee_invalid_op 0
		.amdhsa_exception_fp_denorm_src 0
		.amdhsa_exception_fp_ieee_div_zero 0
		.amdhsa_exception_fp_ieee_overflow 0
		.amdhsa_exception_fp_ieee_underflow 0
		.amdhsa_exception_fp_ieee_inexact 0
		.amdhsa_exception_int_div_zero 0
	.end_amdhsa_kernel
	.section	.text._ZN9rocsparseL19gebsrmvn_2xn_kernelILj128ELj6ELj4E21rocsparse_complex_numIdEEEvi20rocsparse_direction_NS_24const_host_device_scalarIT2_EEPKiS8_PKS5_SA_S6_PS5_21rocsparse_index_base_b,"axG",@progbits,_ZN9rocsparseL19gebsrmvn_2xn_kernelILj128ELj6ELj4E21rocsparse_complex_numIdEEEvi20rocsparse_direction_NS_24const_host_device_scalarIT2_EEPKiS8_PKS5_SA_S6_PS5_21rocsparse_index_base_b,comdat
.Lfunc_end248:
	.size	_ZN9rocsparseL19gebsrmvn_2xn_kernelILj128ELj6ELj4E21rocsparse_complex_numIdEEEvi20rocsparse_direction_NS_24const_host_device_scalarIT2_EEPKiS8_PKS5_SA_S6_PS5_21rocsparse_index_base_b, .Lfunc_end248-_ZN9rocsparseL19gebsrmvn_2xn_kernelILj128ELj6ELj4E21rocsparse_complex_numIdEEEvi20rocsparse_direction_NS_24const_host_device_scalarIT2_EEPKiS8_PKS5_SA_S6_PS5_21rocsparse_index_base_b
                                        ; -- End function
	.section	.AMDGPU.csdata,"",@progbits
; Kernel info:
; codeLenInByte = 3460
; NumSgprs: 20
; NumVgprs: 92
; ScratchSize: 0
; MemoryBound: 0
; FloatMode: 240
; IeeeMode: 1
; LDSByteSize: 2048 bytes/workgroup (compile time only)
; SGPRBlocks: 2
; VGPRBlocks: 11
; NumSGPRsForWavesPerEU: 20
; NumVGPRsForWavesPerEU: 92
; Occupancy: 16
; WaveLimiterHint : 1
; COMPUTE_PGM_RSRC2:SCRATCH_EN: 0
; COMPUTE_PGM_RSRC2:USER_SGPR: 15
; COMPUTE_PGM_RSRC2:TRAP_HANDLER: 0
; COMPUTE_PGM_RSRC2:TGID_X_EN: 1
; COMPUTE_PGM_RSRC2:TGID_Y_EN: 0
; COMPUTE_PGM_RSRC2:TGID_Z_EN: 0
; COMPUTE_PGM_RSRC2:TIDIG_COMP_CNT: 2
	.section	.text._ZN9rocsparseL19gebsrmvn_2xn_kernelILj128ELj6ELj8E21rocsparse_complex_numIdEEEvi20rocsparse_direction_NS_24const_host_device_scalarIT2_EEPKiS8_PKS5_SA_S6_PS5_21rocsparse_index_base_b,"axG",@progbits,_ZN9rocsparseL19gebsrmvn_2xn_kernelILj128ELj6ELj8E21rocsparse_complex_numIdEEEvi20rocsparse_direction_NS_24const_host_device_scalarIT2_EEPKiS8_PKS5_SA_S6_PS5_21rocsparse_index_base_b,comdat
	.globl	_ZN9rocsparseL19gebsrmvn_2xn_kernelILj128ELj6ELj8E21rocsparse_complex_numIdEEEvi20rocsparse_direction_NS_24const_host_device_scalarIT2_EEPKiS8_PKS5_SA_S6_PS5_21rocsparse_index_base_b ; -- Begin function _ZN9rocsparseL19gebsrmvn_2xn_kernelILj128ELj6ELj8E21rocsparse_complex_numIdEEEvi20rocsparse_direction_NS_24const_host_device_scalarIT2_EEPKiS8_PKS5_SA_S6_PS5_21rocsparse_index_base_b
	.p2align	8
	.type	_ZN9rocsparseL19gebsrmvn_2xn_kernelILj128ELj6ELj8E21rocsparse_complex_numIdEEEvi20rocsparse_direction_NS_24const_host_device_scalarIT2_EEPKiS8_PKS5_SA_S6_PS5_21rocsparse_index_base_b,@function
_ZN9rocsparseL19gebsrmvn_2xn_kernelILj128ELj6ELj8E21rocsparse_complex_numIdEEEvi20rocsparse_direction_NS_24const_host_device_scalarIT2_EEPKiS8_PKS5_SA_S6_PS5_21rocsparse_index_base_b: ; @_ZN9rocsparseL19gebsrmvn_2xn_kernelILj128ELj6ELj8E21rocsparse_complex_numIdEEEvi20rocsparse_direction_NS_24const_host_device_scalarIT2_EEPKiS8_PKS5_SA_S6_PS5_21rocsparse_index_base_b
; %bb.0:
	s_load_b64 s[12:13], s[2:3], 0x50
	s_load_b64 s[16:17], s[0:1], 0x4
	s_load_b128 s[8:11], s[2:3], 0x8
	v_bfe_u32 v1, v0, 10, 10
	s_mov_b64 s[0:1], src_shared_base
	s_load_b128 s[4:7], s[2:3], 0x38
	v_and_b32_e32 v10, 0x3ff, v0
	v_bfe_u32 v0, v0, 20, 10
	s_waitcnt lgkmcnt(0)
	s_bitcmp1_b32 s13, 0
	v_mul_u32_u24_e32 v1, s17, v1
	s_cselect_b32 s0, -1, 0
	s_delay_alu instid0(SALU_CYCLE_1)
	s_and_b32 vcc_lo, s0, exec_lo
	s_cselect_b32 s13, s1, s9
	s_lshr_b32 s14, s16, 16
	v_dual_mov_b32 v2, s4 :: v_dual_mov_b32 v3, s5
	s_mul_i32 s14, s14, s17
	v_mov_b32_e32 v6, s13
	v_mad_u32_u24 v1, s14, v10, v1
	s_delay_alu instid0(VALU_DEP_1) | instskip(SKIP_1) | instid1(VALU_DEP_2)
	v_add_lshl_u32 v4, v1, v0, 3
	v_dual_mov_b32 v0, s8 :: v_dual_mov_b32 v1, s9
	v_add_nc_u32_e32 v5, 0x400, v4
	ds_store_2addr_stride64_b64 v4, v[2:3], v[0:1] offset1:2
	v_dual_mov_b32 v2, s10 :: v_dual_mov_b32 v3, s11
	v_cndmask_b32_e64 v5, s8, v5, s0
	s_xor_b32 s10, s0, -1
	flat_load_b64 v[0:1], v[5:6]
	s_cbranch_vccnz .LBB249_2
; %bb.1:
	v_dual_mov_b32 v2, s8 :: v_dual_mov_b32 v3, s9
	flat_load_b64 v[2:3], v[2:3] offset:8
.LBB249_2:
	s_and_b32 s8, s0, exec_lo
	s_cselect_b32 s1, s1, s5
	v_cndmask_b32_e64 v4, s4, v4, s0
	v_dual_mov_b32 v5, s1 :: v_dual_mov_b32 v6, s6
	v_mov_b32_e32 v7, s7
	s_and_not1_b32 vcc_lo, exec_lo, s10
	flat_load_b64 v[4:5], v[4:5]
	s_cbranch_vccnz .LBB249_4
; %bb.3:
	v_dual_mov_b32 v7, s5 :: v_dual_mov_b32 v6, s4
	flat_load_b64 v[6:7], v[6:7] offset:8
.LBB249_4:
	s_waitcnt vmcnt(1) lgkmcnt(1)
	v_cmp_eq_f64_e32 vcc_lo, 0, v[0:1]
	v_cmp_eq_f64_e64 s0, 0, v[2:3]
	s_delay_alu instid0(VALU_DEP_1)
	s_and_b32 s4, vcc_lo, s0
	s_mov_b32 s0, -1
	s_and_saveexec_b32 s1, s4
	s_cbranch_execz .LBB249_6
; %bb.5:
	s_waitcnt vmcnt(0) lgkmcnt(0)
	v_cmp_neq_f64_e32 vcc_lo, 1.0, v[4:5]
	v_cmp_neq_f64_e64 s0, 0, v[6:7]
	s_delay_alu instid0(VALU_DEP_1) | instskip(NEXT) | instid1(SALU_CYCLE_1)
	s_or_b32 s0, vcc_lo, s0
	s_or_not1_b32 s0, s0, exec_lo
.LBB249_6:
	s_or_b32 exec_lo, exec_lo, s1
	s_and_saveexec_b32 s1, s0
	s_cbranch_execz .LBB249_25
; %bb.7:
	s_load_b64 s[0:1], s[2:3], 0x0
	v_lshrrev_b32_e32 v8, 3, v10
	s_delay_alu instid0(VALU_DEP_1) | instskip(SKIP_1) | instid1(VALU_DEP_1)
	v_lshl_or_b32 v8, s15, 4, v8
	s_waitcnt lgkmcnt(0)
	v_cmp_gt_i32_e32 vcc_lo, s0, v8
	s_and_b32 exec_lo, exec_lo, vcc_lo
	s_cbranch_execz .LBB249_25
; %bb.8:
	s_load_b256 s[4:11], s[2:3], 0x18
	v_ashrrev_i32_e32 v9, 31, v8
	v_and_b32_e32 v25, 7, v10
	s_cmp_lg_u32 s1, 0
	s_delay_alu instid0(VALU_DEP_2) | instskip(SKIP_1) | instid1(VALU_DEP_1)
	v_lshlrev_b64 v[11:12], 2, v[8:9]
	s_waitcnt lgkmcnt(0)
	v_add_co_u32 v11, vcc_lo, s4, v11
	s_delay_alu instid0(VALU_DEP_2) | instskip(SKIP_4) | instid1(VALU_DEP_2)
	v_add_co_ci_u32_e32 v12, vcc_lo, s5, v12, vcc_lo
	global_load_b64 v[11:12], v[11:12], off
	s_waitcnt vmcnt(0)
	v_subrev_nc_u32_e32 v9, s12, v11
	v_subrev_nc_u32_e32 v24, s12, v12
	v_add_nc_u32_e32 v9, v9, v25
	s_delay_alu instid0(VALU_DEP_1)
	v_cmp_lt_i32_e64 s0, v9, v24
	s_cbranch_scc0 .LBB249_14
; %bb.9:
	v_mov_b32_e32 v11, 0
	v_mov_b32_e32 v12, 0
	s_delay_alu instid0(VALU_DEP_1)
	v_dual_mov_b32 v14, v12 :: v_dual_mov_b32 v13, v11
	v_dual_mov_b32 v16, v12 :: v_dual_mov_b32 v15, v11
	;; [unrolled: 1-line block ×3, first 2 shown]
	s_and_saveexec_b32 s1, s0
	s_cbranch_execz .LBB249_13
; %bb.10:
	v_dual_mov_b32 v11, 0 :: v_dual_mov_b32 v22, v9
	v_dual_mov_b32 v12, 0 :: v_dual_mov_b32 v21, 0
	v_mad_u64_u32 v[19:20], null, v9, 12, 10
	s_mov_b32 s4, 0
	s_delay_alu instid0(VALU_DEP_2)
	v_dual_mov_b32 v14, v12 :: v_dual_mov_b32 v13, v11
	v_dual_mov_b32 v16, v12 :: v_dual_mov_b32 v15, v11
	;; [unrolled: 1-line block ×3, first 2 shown]
.LBB249_11:                             ; =>This Inner Loop Header: Depth=1
	v_ashrrev_i32_e32 v23, 31, v22
	v_dual_mov_b32 v75, v21 :: v_dual_add_nc_u32 v20, -10, v19
	s_delay_alu instid0(VALU_DEP_2) | instskip(SKIP_1) | instid1(VALU_DEP_2)
	v_lshlrev_b64 v[26:27], 2, v[22:23]
	v_add_nc_u32_e32 v22, 8, v22
	v_add_co_u32 v26, vcc_lo, s6, v26
	s_delay_alu instid0(VALU_DEP_3) | instskip(SKIP_3) | instid1(VALU_DEP_1)
	v_add_co_ci_u32_e32 v27, vcc_lo, s7, v27, vcc_lo
	global_load_b32 v10, v[26:27], off
	v_lshlrev_b64 v[26:27], 4, v[20:21]
	v_add_nc_u32_e32 v20, -6, v19
	v_lshlrev_b64 v[50:51], 4, v[20:21]
	s_delay_alu instid0(VALU_DEP_3) | instskip(NEXT) | instid1(VALU_DEP_4)
	v_add_co_u32 v46, vcc_lo, s8, v26
	v_add_co_ci_u32_e32 v47, vcc_lo, s9, v27, vcc_lo
	global_load_b128 v[26:29], v[46:47], off offset:16
	s_waitcnt vmcnt(1)
	v_subrev_nc_u32_e32 v10, s12, v10
	s_delay_alu instid0(VALU_DEP_1) | instskip(NEXT) | instid1(VALU_DEP_1)
	v_mul_lo_u32 v74, v10, 6
	v_lshlrev_b64 v[30:31], 4, v[74:75]
	v_add_nc_u32_e32 v20, 2, v74
	s_delay_alu instid0(VALU_DEP_1) | instskip(NEXT) | instid1(VALU_DEP_3)
	v_lshlrev_b64 v[56:57], 4, v[20:21]
	v_add_co_u32 v38, vcc_lo, s10, v30
	s_delay_alu instid0(VALU_DEP_4)
	v_add_co_ci_u32_e32 v39, vcc_lo, s11, v31, vcc_lo
	v_add_co_u32 v54, vcc_lo, s8, v50
	global_load_b128 v[30:33], v[46:47], off
	s_clause 0x1
	global_load_b128 v[34:37], v[38:39], off
	global_load_b128 v[38:41], v[38:39], off offset:16
	s_clause 0x1
	global_load_b128 v[42:45], v[46:47], off offset:32
	global_load_b128 v[46:49], v[46:47], off offset:48
	v_add_co_ci_u32_e32 v55, vcc_lo, s9, v51, vcc_lo
	v_add_co_u32 v62, vcc_lo, s10, v56
	v_add_co_ci_u32_e32 v63, vcc_lo, s11, v57, vcc_lo
	s_clause 0x1
	global_load_b128 v[50:53], v[54:55], off offset:16
	global_load_b128 v[54:57], v[54:55], off
	s_clause 0x1
	global_load_b128 v[58:61], v[62:63], off
	global_load_b128 v[62:65], v[62:63], off offset:16
	v_add_nc_u32_e32 v20, -4, v19
	s_delay_alu instid0(VALU_DEP_1) | instskip(SKIP_1) | instid1(VALU_DEP_2)
	v_lshlrev_b64 v[66:67], 4, v[20:21]
	v_add_nc_u32_e32 v20, -2, v19
	v_add_co_u32 v70, vcc_lo, s8, v66
	s_delay_alu instid0(VALU_DEP_3)
	v_add_co_ci_u32_e32 v71, vcc_lo, s9, v67, vcc_lo
	s_clause 0x1
	global_load_b128 v[66:69], v[70:71], off
	global_load_b128 v[70:73], v[70:71], off offset:16
	v_lshlrev_b64 v[75:76], 4, v[20:21]
	v_add_nc_u32_e32 v20, 4, v74
	s_delay_alu instid0(VALU_DEP_1) | instskip(NEXT) | instid1(VALU_DEP_3)
	v_lshlrev_b64 v[77:78], 4, v[20:21]
	v_add_co_u32 v79, vcc_lo, s8, v75
	s_delay_alu instid0(VALU_DEP_4) | instskip(SKIP_1) | instid1(VALU_DEP_4)
	v_add_co_ci_u32_e32 v80, vcc_lo, s9, v76, vcc_lo
	v_mov_b32_e32 v20, v21
	v_add_co_u32 v86, vcc_lo, s10, v77
	v_add_co_ci_u32_e32 v87, vcc_lo, s11, v78, vcc_lo
	s_clause 0x1
	global_load_b128 v[74:77], v[79:80], off offset:16
	global_load_b128 v[78:81], v[79:80], off
	s_clause 0x1
	global_load_b128 v[82:85], v[86:87], off
	global_load_b128 v[86:89], v[86:87], off offset:16
	s_waitcnt vmcnt(13)
	v_fma_f64 v[13:14], v[30:31], v[34:35], v[13:14]
	v_fma_f64 v[10:11], v[32:33], v[34:35], v[11:12]
	;; [unrolled: 1-line block ×4, first 2 shown]
	s_delay_alu instid0(VALU_DEP_4) | instskip(NEXT) | instid1(VALU_DEP_4)
	v_fma_f64 v[32:33], -v[32:33], v[36:37], v[13:14]
	v_fma_f64 v[30:31], v[30:31], v[36:37], v[10:11]
	s_delay_alu instid0(VALU_DEP_4) | instskip(NEXT) | instid1(VALU_DEP_4)
	v_fma_f64 v[14:15], -v[28:29], v[36:37], v[15:16]
	v_fma_f64 v[16:17], v[26:27], v[36:37], v[17:18]
	v_lshlrev_b64 v[10:11], 4, v[19:20]
	v_add_nc_u32_e32 v19, 0x60, v19
	s_delay_alu instid0(VALU_DEP_2) | instskip(NEXT) | instid1(VALU_DEP_3)
	v_add_co_u32 v26, vcc_lo, s8, v10
	v_add_co_ci_u32_e32 v27, vcc_lo, s9, v11, vcc_lo
	s_clause 0x1
	global_load_b128 v[10:13], v[26:27], off
	global_load_b128 v[26:29], v[26:27], off offset:16
	v_cmp_ge_i32_e32 vcc_lo, v22, v24
	s_or_b32 s4, vcc_lo, s4
	s_waitcnt vmcnt(13)
	v_fma_f64 v[32:33], v[42:43], v[38:39], v[32:33]
	v_fma_f64 v[30:31], v[44:45], v[38:39], v[30:31]
	s_waitcnt vmcnt(12)
	v_fma_f64 v[14:15], v[46:47], v[38:39], v[14:15]
	v_fma_f64 v[16:17], v[48:49], v[38:39], v[16:17]
	s_delay_alu instid0(VALU_DEP_4) | instskip(NEXT) | instid1(VALU_DEP_4)
	v_fma_f64 v[32:33], -v[44:45], v[40:41], v[32:33]
	v_fma_f64 v[30:31], v[42:43], v[40:41], v[30:31]
	s_delay_alu instid0(VALU_DEP_4) | instskip(NEXT) | instid1(VALU_DEP_4)
	v_fma_f64 v[14:15], -v[48:49], v[40:41], v[14:15]
	v_fma_f64 v[16:17], v[46:47], v[40:41], v[16:17]
	s_waitcnt vmcnt(9)
	s_delay_alu instid0(VALU_DEP_4) | instskip(NEXT) | instid1(VALU_DEP_4)
	v_fma_f64 v[32:33], v[54:55], v[58:59], v[32:33]
	v_fma_f64 v[30:31], v[56:57], v[58:59], v[30:31]
	s_delay_alu instid0(VALU_DEP_4) | instskip(NEXT) | instid1(VALU_DEP_4)
	v_fma_f64 v[14:15], v[50:51], v[58:59], v[14:15]
	v_fma_f64 v[16:17], v[52:53], v[58:59], v[16:17]
	s_delay_alu instid0(VALU_DEP_4) | instskip(NEXT) | instid1(VALU_DEP_4)
	v_fma_f64 v[32:33], -v[56:57], v[60:61], v[32:33]
	v_fma_f64 v[30:31], v[54:55], v[60:61], v[30:31]
	s_delay_alu instid0(VALU_DEP_4) | instskip(NEXT) | instid1(VALU_DEP_4)
	v_fma_f64 v[14:15], -v[52:53], v[60:61], v[14:15]
	v_fma_f64 v[16:17], v[50:51], v[60:61], v[16:17]
	s_waitcnt vmcnt(7)
	s_delay_alu instid0(VALU_DEP_4) | instskip(NEXT) | instid1(VALU_DEP_4)
	v_fma_f64 v[32:33], v[66:67], v[62:63], v[32:33]
	v_fma_f64 v[30:31], v[68:69], v[62:63], v[30:31]
	s_waitcnt vmcnt(6)
	s_delay_alu instid0(VALU_DEP_4) | instskip(NEXT) | instid1(VALU_DEP_4)
	v_fma_f64 v[14:15], v[70:71], v[62:63], v[14:15]
	v_fma_f64 v[16:17], v[72:73], v[62:63], v[16:17]
	s_delay_alu instid0(VALU_DEP_4) | instskip(NEXT) | instid1(VALU_DEP_4)
	v_fma_f64 v[32:33], -v[68:69], v[64:65], v[32:33]
	v_fma_f64 v[30:31], v[66:67], v[64:65], v[30:31]
	s_delay_alu instid0(VALU_DEP_4) | instskip(NEXT) | instid1(VALU_DEP_4)
	v_fma_f64 v[14:15], -v[72:73], v[64:65], v[14:15]
	v_fma_f64 v[16:17], v[70:71], v[64:65], v[16:17]
	s_waitcnt vmcnt(3)
	s_delay_alu instid0(VALU_DEP_4) | instskip(NEXT) | instid1(VALU_DEP_4)
	v_fma_f64 v[32:33], v[78:79], v[82:83], v[32:33]
	v_fma_f64 v[30:31], v[80:81], v[82:83], v[30:31]
	s_delay_alu instid0(VALU_DEP_4) | instskip(NEXT) | instid1(VALU_DEP_4)
	v_fma_f64 v[14:15], v[74:75], v[82:83], v[14:15]
	v_fma_f64 v[16:17], v[76:77], v[82:83], v[16:17]
	s_delay_alu instid0(VALU_DEP_4) | instskip(NEXT) | instid1(VALU_DEP_4)
	v_fma_f64 v[32:33], -v[80:81], v[84:85], v[32:33]
	v_fma_f64 v[30:31], v[78:79], v[84:85], v[30:31]
	s_delay_alu instid0(VALU_DEP_4) | instskip(NEXT) | instid1(VALU_DEP_4)
	v_fma_f64 v[14:15], -v[76:77], v[84:85], v[14:15]
	v_fma_f64 v[16:17], v[74:75], v[84:85], v[16:17]
	s_waitcnt vmcnt(1)
	s_delay_alu instid0(VALU_DEP_4) | instskip(NEXT) | instid1(VALU_DEP_4)
	v_fma_f64 v[32:33], v[10:11], v[86:87], v[32:33]
	v_fma_f64 v[30:31], v[12:13], v[86:87], v[30:31]
	s_waitcnt vmcnt(0)
	s_delay_alu instid0(VALU_DEP_4) | instskip(NEXT) | instid1(VALU_DEP_4)
	v_fma_f64 v[34:35], v[26:27], v[86:87], v[14:15]
	v_fma_f64 v[17:18], v[28:29], v[86:87], v[16:17]
	s_delay_alu instid0(VALU_DEP_4) | instskip(NEXT) | instid1(VALU_DEP_4)
	v_fma_f64 v[13:14], -v[12:13], v[88:89], v[32:33]
	v_fma_f64 v[11:12], v[10:11], v[88:89], v[30:31]
	s_delay_alu instid0(VALU_DEP_4) | instskip(NEXT) | instid1(VALU_DEP_4)
	v_fma_f64 v[15:16], -v[28:29], v[88:89], v[34:35]
	v_fma_f64 v[17:18], v[26:27], v[88:89], v[17:18]
	s_and_not1_b32 exec_lo, exec_lo, s4
	s_cbranch_execnz .LBB249_11
; %bb.12:
	s_or_b32 exec_lo, exec_lo, s4
.LBB249_13:
	s_delay_alu instid0(SALU_CYCLE_1)
	s_or_b32 exec_lo, exec_lo, s1
	s_cbranch_execz .LBB249_15
	s_branch .LBB249_20
.LBB249_14:
                                        ; implicit-def: $vgpr11_vgpr12
                                        ; implicit-def: $vgpr13_vgpr14
                                        ; implicit-def: $vgpr15_vgpr16
                                        ; implicit-def: $vgpr17_vgpr18
.LBB249_15:
	v_mov_b32_e32 v11, 0
	v_mov_b32_e32 v12, 0
	s_delay_alu instid0(VALU_DEP_1)
	v_dual_mov_b32 v14, v12 :: v_dual_mov_b32 v13, v11
	v_dual_mov_b32 v16, v12 :: v_dual_mov_b32 v15, v11
	;; [unrolled: 1-line block ×3, first 2 shown]
	s_and_saveexec_b32 s1, s0
	s_cbranch_execz .LBB249_19
; %bb.16:
	v_mov_b32_e32 v11, 0
	v_dual_mov_b32 v12, 0 :: v_dual_mov_b32 v21, 0
	v_mad_u64_u32 v[19:20], null, v9, 12, 11
	s_mov_b32 s0, 0
	s_delay_alu instid0(VALU_DEP_2)
	v_dual_mov_b32 v14, v12 :: v_dual_mov_b32 v13, v11
	v_dual_mov_b32 v16, v12 :: v_dual_mov_b32 v15, v11
	;; [unrolled: 1-line block ×3, first 2 shown]
.LBB249_17:                             ; =>This Inner Loop Header: Depth=1
	v_ashrrev_i32_e32 v10, 31, v9
	v_dual_mov_b32 v75, v21 :: v_dual_add_nc_u32 v20, -11, v19
	s_delay_alu instid0(VALU_DEP_2) | instskip(NEXT) | instid1(VALU_DEP_2)
	v_lshlrev_b64 v[22:23], 2, v[9:10]
	v_lshlrev_b64 v[26:27], 4, v[20:21]
	v_add_nc_u32_e32 v20, -4, v19
	v_add_nc_u32_e32 v9, 8, v9
	s_delay_alu instid0(VALU_DEP_4)
	v_add_co_u32 v22, vcc_lo, s6, v22
	v_add_co_ci_u32_e32 v23, vcc_lo, s7, v23, vcc_lo
	v_add_co_u32 v54, vcc_lo, s8, v26
	v_add_co_ci_u32_e32 v55, vcc_lo, s9, v27, vcc_lo
	global_load_b32 v10, v[22:23], off
	v_dual_mov_b32 v23, v21 :: v_dual_add_nc_u32 v22, -5, v19
	s_clause 0x1
	global_load_b128 v[26:29], v[54:55], off offset:16
	global_load_b128 v[30:33], v[54:55], off
	v_lshlrev_b64 v[22:23], 4, v[22:23]
	s_delay_alu instid0(VALU_DEP_1) | instskip(NEXT) | instid1(VALU_DEP_2)
	v_add_co_u32 v22, vcc_lo, s8, v22
	v_add_co_ci_u32_e32 v23, vcc_lo, s9, v23, vcc_lo
	s_waitcnt vmcnt(2)
	v_subrev_nc_u32_e32 v10, s12, v10
	s_delay_alu instid0(VALU_DEP_1) | instskip(NEXT) | instid1(VALU_DEP_1)
	v_mul_lo_u32 v74, v10, 6
	v_lshlrev_b64 v[34:35], 4, v[74:75]
	s_delay_alu instid0(VALU_DEP_1) | instskip(NEXT) | instid1(VALU_DEP_2)
	v_add_co_u32 v42, vcc_lo, s10, v34
	v_add_co_ci_u32_e32 v43, vcc_lo, s11, v35, vcc_lo
	global_load_b128 v[34:37], v[22:23], off
	s_clause 0x1
	global_load_b128 v[38:41], v[42:43], off
	global_load_b128 v[42:45], v[42:43], off offset:16
	v_lshlrev_b64 v[22:23], 4, v[20:21]
	v_add_nc_u32_e32 v20, 2, v74
	global_load_b128 v[50:53], v[54:55], off offset:48
	v_add_co_u32 v22, vcc_lo, s8, v22
	v_add_co_ci_u32_e32 v23, vcc_lo, s9, v23, vcc_lo
	global_load_b128 v[46:49], v[22:23], off
	v_lshlrev_b64 v[22:23], 4, v[20:21]
	v_add_nc_u32_e32 v20, -3, v19
	s_delay_alu instid0(VALU_DEP_1) | instskip(NEXT) | instid1(VALU_DEP_3)
	v_lshlrev_b64 v[56:57], 4, v[20:21]
	v_add_co_u32 v22, vcc_lo, s10, v22
	s_delay_alu instid0(VALU_DEP_4) | instskip(SKIP_1) | instid1(VALU_DEP_4)
	v_add_co_ci_u32_e32 v23, vcc_lo, s11, v23, vcc_lo
	v_add_nc_u32_e32 v20, -2, v19
	v_add_co_u32 v66, vcc_lo, s8, v56
	v_add_co_ci_u32_e32 v67, vcc_lo, s9, v57, vcc_lo
	global_load_b128 v[54:57], v[54:55], off offset:32
	s_clause 0x1
	global_load_b128 v[58:61], v[22:23], off
	global_load_b128 v[62:65], v[22:23], off offset:16
	global_load_b128 v[66:69], v[66:67], off
	v_lshlrev_b64 v[22:23], 4, v[20:21]
	v_add_nc_u32_e32 v20, -7, v19
	s_delay_alu instid0(VALU_DEP_2) | instskip(NEXT) | instid1(VALU_DEP_3)
	v_add_co_u32 v22, vcc_lo, s8, v22
	v_add_co_ci_u32_e32 v23, vcc_lo, s9, v23, vcc_lo
	global_load_b128 v[70:73], v[22:23], off
	v_lshlrev_b64 v[22:23], 4, v[20:21]
	v_add_nc_u32_e32 v20, 4, v74
	s_delay_alu instid0(VALU_DEP_1) | instskip(SKIP_1) | instid1(VALU_DEP_4)
	v_lshlrev_b64 v[74:75], 4, v[20:21]
	v_add_nc_u32_e32 v20, -1, v19
	v_add_co_u32 v22, vcc_lo, s8, v22
	v_add_co_ci_u32_e32 v23, vcc_lo, s9, v23, vcc_lo
	s_delay_alu instid0(VALU_DEP_3) | instskip(SKIP_3) | instid1(VALU_DEP_4)
	v_lshlrev_b64 v[76:77], 4, v[20:21]
	v_add_co_u32 v82, vcc_lo, s10, v74
	v_add_co_ci_u32_e32 v83, vcc_lo, s11, v75, vcc_lo
	v_mov_b32_e32 v20, v21
	v_add_co_u32 v86, vcc_lo, s8, v76
	v_add_co_ci_u32_e32 v87, vcc_lo, s9, v77, vcc_lo
	global_load_b128 v[74:77], v[22:23], off
	s_clause 0x1
	global_load_b128 v[78:81], v[82:83], off
	global_load_b128 v[82:85], v[82:83], off offset:16
	global_load_b128 v[86:89], v[86:87], off
	v_lshlrev_b64 v[22:23], 4, v[19:20]
	v_add_nc_u32_e32 v20, -6, v19
	v_add_nc_u32_e32 v19, 0x60, v19
	s_delay_alu instid0(VALU_DEP_3) | instskip(NEXT) | instid1(VALU_DEP_4)
	v_add_co_u32 v22, vcc_lo, s8, v22
	v_add_co_ci_u32_e32 v23, vcc_lo, s9, v23, vcc_lo
	s_waitcnt vmcnt(12)
	v_fma_f64 v[13:14], v[30:31], v[38:39], v[13:14]
	v_fma_f64 v[10:11], v[32:33], v[38:39], v[11:12]
	;; [unrolled: 1-line block ×4, first 2 shown]
	s_delay_alu instid0(VALU_DEP_4) | instskip(NEXT) | instid1(VALU_DEP_4)
	v_fma_f64 v[38:39], -v[32:33], v[40:41], v[13:14]
	v_fma_f64 v[90:91], v[30:31], v[40:41], v[10:11]
	s_delay_alu instid0(VALU_DEP_4) | instskip(NEXT) | instid1(VALU_DEP_4)
	v_fma_f64 v[14:15], -v[36:37], v[40:41], v[15:16]
	v_fma_f64 v[16:17], v[34:35], v[40:41], v[17:18]
	v_lshlrev_b64 v[10:11], 4, v[20:21]
	s_delay_alu instid0(VALU_DEP_1) | instskip(NEXT) | instid1(VALU_DEP_2)
	v_add_co_u32 v10, vcc_lo, s8, v10
	v_add_co_ci_u32_e32 v11, vcc_lo, s9, v11, vcc_lo
	s_clause 0x1
	global_load_b128 v[30:33], v[22:23], off
	global_load_b128 v[10:13], v[10:11], off
	v_cmp_ge_i32_e32 vcc_lo, v9, v24
	s_or_b32 s0, vcc_lo, s0
	s_waitcnt vmcnt(13)
	v_fma_f64 v[22:23], v[26:27], v[42:43], v[38:39]
	v_fma_f64 v[34:35], v[28:29], v[42:43], v[90:91]
	s_waitcnt vmcnt(11)
	v_fma_f64 v[14:15], v[46:47], v[42:43], v[14:15]
	v_fma_f64 v[16:17], v[48:49], v[42:43], v[16:17]
	s_delay_alu instid0(VALU_DEP_4) | instskip(NEXT) | instid1(VALU_DEP_4)
	v_fma_f64 v[22:23], -v[28:29], v[44:45], v[22:23]
	v_fma_f64 v[26:27], v[26:27], v[44:45], v[34:35]
	s_delay_alu instid0(VALU_DEP_4) | instskip(NEXT) | instid1(VALU_DEP_4)
	v_fma_f64 v[14:15], -v[48:49], v[44:45], v[14:15]
	v_fma_f64 v[16:17], v[46:47], v[44:45], v[16:17]
	s_waitcnt vmcnt(9)
	s_delay_alu instid0(VALU_DEP_4) | instskip(NEXT) | instid1(VALU_DEP_4)
	v_fma_f64 v[22:23], v[54:55], v[58:59], v[22:23]
	v_fma_f64 v[26:27], v[56:57], v[58:59], v[26:27]
	s_waitcnt vmcnt(7)
	s_delay_alu instid0(VALU_DEP_4) | instskip(NEXT) | instid1(VALU_DEP_4)
	v_fma_f64 v[14:15], v[66:67], v[58:59], v[14:15]
	v_fma_f64 v[16:17], v[68:69], v[58:59], v[16:17]
	s_delay_alu instid0(VALU_DEP_4) | instskip(NEXT) | instid1(VALU_DEP_4)
	v_fma_f64 v[22:23], -v[56:57], v[60:61], v[22:23]
	v_fma_f64 v[26:27], v[54:55], v[60:61], v[26:27]
	s_delay_alu instid0(VALU_DEP_4) | instskip(NEXT) | instid1(VALU_DEP_4)
	v_fma_f64 v[14:15], -v[68:69], v[60:61], v[14:15]
	v_fma_f64 v[16:17], v[66:67], v[60:61], v[16:17]
	s_delay_alu instid0(VALU_DEP_4) | instskip(NEXT) | instid1(VALU_DEP_4)
	v_fma_f64 v[22:23], v[50:51], v[62:63], v[22:23]
	v_fma_f64 v[26:27], v[52:53], v[62:63], v[26:27]
	s_waitcnt vmcnt(6)
	s_delay_alu instid0(VALU_DEP_4) | instskip(NEXT) | instid1(VALU_DEP_4)
	v_fma_f64 v[14:15], v[70:71], v[62:63], v[14:15]
	v_fma_f64 v[16:17], v[72:73], v[62:63], v[16:17]
	s_delay_alu instid0(VALU_DEP_4) | instskip(NEXT) | instid1(VALU_DEP_4)
	v_fma_f64 v[22:23], -v[52:53], v[64:65], v[22:23]
	v_fma_f64 v[26:27], v[50:51], v[64:65], v[26:27]
	s_delay_alu instid0(VALU_DEP_4) | instskip(NEXT) | instid1(VALU_DEP_4)
	v_fma_f64 v[14:15], -v[72:73], v[64:65], v[14:15]
	v_fma_f64 v[16:17], v[70:71], v[64:65], v[16:17]
	s_waitcnt vmcnt(4)
	s_delay_alu instid0(VALU_DEP_4) | instskip(NEXT) | instid1(VALU_DEP_4)
	v_fma_f64 v[22:23], v[74:75], v[78:79], v[22:23]
	v_fma_f64 v[26:27], v[76:77], v[78:79], v[26:27]
	s_waitcnt vmcnt(2)
	s_delay_alu instid0(VALU_DEP_4) | instskip(NEXT) | instid1(VALU_DEP_4)
	v_fma_f64 v[14:15], v[86:87], v[78:79], v[14:15]
	v_fma_f64 v[16:17], v[88:89], v[78:79], v[16:17]
	s_delay_alu instid0(VALU_DEP_4) | instskip(NEXT) | instid1(VALU_DEP_4)
	v_fma_f64 v[22:23], -v[76:77], v[80:81], v[22:23]
	v_fma_f64 v[26:27], v[74:75], v[80:81], v[26:27]
	s_delay_alu instid0(VALU_DEP_4) | instskip(NEXT) | instid1(VALU_DEP_4)
	v_fma_f64 v[14:15], -v[88:89], v[80:81], v[14:15]
	v_fma_f64 v[16:17], v[86:87], v[80:81], v[16:17]
	s_waitcnt vmcnt(0)
	s_delay_alu instid0(VALU_DEP_4) | instskip(NEXT) | instid1(VALU_DEP_4)
	v_fma_f64 v[22:23], v[10:11], v[82:83], v[22:23]
	v_fma_f64 v[26:27], v[12:13], v[82:83], v[26:27]
	s_delay_alu instid0(VALU_DEP_4) | instskip(NEXT) | instid1(VALU_DEP_4)
	v_fma_f64 v[28:29], v[30:31], v[82:83], v[14:15]
	v_fma_f64 v[17:18], v[32:33], v[82:83], v[16:17]
	s_delay_alu instid0(VALU_DEP_4) | instskip(NEXT) | instid1(VALU_DEP_4)
	v_fma_f64 v[13:14], -v[12:13], v[84:85], v[22:23]
	v_fma_f64 v[11:12], v[10:11], v[84:85], v[26:27]
	s_delay_alu instid0(VALU_DEP_4) | instskip(NEXT) | instid1(VALU_DEP_4)
	v_fma_f64 v[15:16], -v[32:33], v[84:85], v[28:29]
	v_fma_f64 v[17:18], v[30:31], v[84:85], v[17:18]
	s_and_not1_b32 exec_lo, exec_lo, s0
	s_cbranch_execnz .LBB249_17
; %bb.18:
	s_or_b32 exec_lo, exec_lo, s0
.LBB249_19:
	s_delay_alu instid0(SALU_CYCLE_1)
	s_or_b32 exec_lo, exec_lo, s1
.LBB249_20:
	v_mbcnt_lo_u32_b32 v26, -1, 0
	s_delay_alu instid0(VALU_DEP_1) | instskip(NEXT) | instid1(VALU_DEP_1)
	v_xor_b32_e32 v9, 4, v26
	v_cmp_gt_i32_e32 vcc_lo, 32, v9
	v_cndmask_b32_e32 v9, v26, v9, vcc_lo
	s_delay_alu instid0(VALU_DEP_1)
	v_lshlrev_b32_e32 v24, 2, v9
	ds_bpermute_b32 v9, v24, v13
	ds_bpermute_b32 v10, v24, v14
	;; [unrolled: 1-line block ×4, first 2 shown]
	s_waitcnt lgkmcnt(2)
	v_add_f64 v[9:10], v[13:14], v[9:10]
	s_waitcnt lgkmcnt(0)
	v_add_f64 v[13:14], v[15:16], v[21:22]
	v_xor_b32_e32 v15, 2, v26
	s_delay_alu instid0(VALU_DEP_1)
	v_cmp_gt_i32_e32 vcc_lo, 32, v15
	v_cndmask_b32_e32 v15, v26, v15, vcc_lo
	ds_bpermute_b32 v19, v24, v11
	ds_bpermute_b32 v20, v24, v12
	;; [unrolled: 1-line block ×4, first 2 shown]
	s_waitcnt lgkmcnt(2)
	v_add_f64 v[11:12], v[11:12], v[19:20]
	s_waitcnt lgkmcnt(0)
	v_add_f64 v[17:18], v[17:18], v[23:24]
	v_lshlrev_b32_e32 v24, 2, v15
	ds_bpermute_b32 v15, v24, v9
	ds_bpermute_b32 v16, v24, v10
	;; [unrolled: 1-line block ×4, first 2 shown]
	s_waitcnt lgkmcnt(2)
	v_add_f64 v[9:10], v[9:10], v[15:16]
	ds_bpermute_b32 v19, v24, v11
	ds_bpermute_b32 v20, v24, v12
	;; [unrolled: 1-line block ×4, first 2 shown]
	s_waitcnt lgkmcnt(2)
	v_add_f64 v[15:16], v[11:12], v[19:20]
	v_add_f64 v[11:12], v[13:14], v[21:22]
	s_waitcnt lgkmcnt(0)
	v_add_f64 v[13:14], v[17:18], v[23:24]
	v_xor_b32_e32 v17, 1, v26
	s_delay_alu instid0(VALU_DEP_1) | instskip(SKIP_2) | instid1(VALU_DEP_2)
	v_cmp_gt_i32_e32 vcc_lo, 32, v17
	v_cndmask_b32_e32 v17, v26, v17, vcc_lo
	v_cmp_eq_u32_e32 vcc_lo, 7, v25
	v_lshlrev_b32_e32 v20, 2, v17
	ds_bpermute_b32 v23, v20, v9
	ds_bpermute_b32 v24, v20, v10
	;; [unrolled: 1-line block ×8, first 2 shown]
	s_and_b32 exec_lo, exec_lo, vcc_lo
	s_cbranch_execz .LBB249_25
; %bb.21:
	v_cmp_eq_f64_e32 vcc_lo, 0, v[4:5]
	v_cmp_eq_f64_e64 s0, 0, v[6:7]
	s_waitcnt lgkmcnt(6)
	v_add_f64 v[9:10], v[9:10], v[23:24]
	s_waitcnt lgkmcnt(4)
	v_add_f64 v[15:16], v[15:16], v[21:22]
	;; [unrolled: 2-line block ×4, first 2 shown]
	s_load_b64 s[2:3], s[2:3], 0x48
	s_and_b32 s0, vcc_lo, s0
	s_delay_alu instid0(SALU_CYCLE_1) | instskip(NEXT) | instid1(SALU_CYCLE_1)
	s_and_saveexec_b32 s1, s0
	s_xor_b32 s0, exec_lo, s1
	s_cbranch_execz .LBB249_23
; %bb.22:
	s_delay_alu instid0(VALU_DEP_3) | instskip(SKIP_1) | instid1(VALU_DEP_3)
	v_mul_f64 v[4:5], v[15:16], -v[2:3]
	v_mul_f64 v[6:7], v[0:1], v[15:16]
	v_mul_f64 v[15:16], v[13:14], -v[2:3]
	v_mul_f64 v[13:14], v[0:1], v[13:14]
	v_lshlrev_b32_e32 v8, 1, v8
	v_fma_f64 v[4:5], v[0:1], v[9:10], v[4:5]
	v_fma_f64 v[6:7], v[2:3], v[9:10], v[6:7]
	;; [unrolled: 1-line block ×4, first 2 shown]
	v_ashrrev_i32_e32 v9, 31, v8
                                        ; implicit-def: $vgpr15_vgpr16
                                        ; implicit-def: $vgpr11_vgpr12
                                        ; implicit-def: $vgpr13_vgpr14
	s_delay_alu instid0(VALU_DEP_1) | instskip(SKIP_1) | instid1(VALU_DEP_1)
	v_lshlrev_b64 v[8:9], 4, v[8:9]
	s_waitcnt lgkmcnt(0)
	v_add_co_u32 v8, vcc_lo, s2, v8
	s_delay_alu instid0(VALU_DEP_2)
	v_add_co_ci_u32_e32 v9, vcc_lo, s3, v9, vcc_lo
	s_clause 0x1
	global_store_b128 v[8:9], v[4:7], off
	global_store_b128 v[8:9], v[0:3], off offset:16
                                        ; implicit-def: $vgpr0_vgpr1
                                        ; implicit-def: $vgpr2_vgpr3
                                        ; implicit-def: $vgpr4_vgpr5
                                        ; implicit-def: $vgpr6_vgpr7
                                        ; implicit-def: $vgpr8
                                        ; implicit-def: $vgpr9_vgpr10
.LBB249_23:
	s_and_not1_saveexec_b32 s0, s0
	s_cbranch_execz .LBB249_25
; %bb.24:
	v_lshlrev_b32_e32 v17, 1, v8
	s_delay_alu instid0(VALU_DEP_4) | instskip(SKIP_1) | instid1(VALU_DEP_4)
	v_mul_f64 v[27:28], v[15:16], -v[2:3]
	v_mul_f64 v[15:16], v[0:1], v[15:16]
	v_mul_f64 v[29:30], v[13:14], -v[2:3]
	v_mul_f64 v[13:14], v[0:1], v[13:14]
	v_ashrrev_i32_e32 v18, 31, v17
	s_delay_alu instid0(VALU_DEP_1) | instskip(SKIP_1) | instid1(VALU_DEP_1)
	v_lshlrev_b64 v[17:18], 4, v[17:18]
	s_waitcnt lgkmcnt(0)
	v_add_co_u32 v25, vcc_lo, s2, v17
	s_delay_alu instid0(VALU_DEP_2)
	v_add_co_ci_u32_e32 v26, vcc_lo, s3, v18, vcc_lo
	s_clause 0x1
	global_load_b128 v[17:20], v[25:26], off
	global_load_b128 v[21:24], v[25:26], off offset:16
	v_fma_f64 v[27:28], v[0:1], v[9:10], v[27:28]
	v_fma_f64 v[8:9], v[2:3], v[9:10], v[15:16]
	;; [unrolled: 1-line block ×4, first 2 shown]
	s_waitcnt vmcnt(1)
	s_delay_alu instid0(VALU_DEP_4) | instskip(NEXT) | instid1(VALU_DEP_4)
	v_fma_f64 v[10:11], v[4:5], v[17:18], v[27:28]
	v_fma_f64 v[8:9], v[6:7], v[17:18], v[8:9]
	s_waitcnt vmcnt(0)
	s_delay_alu instid0(VALU_DEP_4) | instskip(NEXT) | instid1(VALU_DEP_4)
	v_fma_f64 v[12:13], v[4:5], v[21:22], v[0:1]
	v_fma_f64 v[14:15], v[6:7], v[21:22], v[2:3]
	s_delay_alu instid0(VALU_DEP_4) | instskip(NEXT) | instid1(VALU_DEP_4)
	v_fma_f64 v[0:1], -v[6:7], v[19:20], v[10:11]
	v_fma_f64 v[2:3], v[4:5], v[19:20], v[8:9]
	s_delay_alu instid0(VALU_DEP_4) | instskip(NEXT) | instid1(VALU_DEP_4)
	v_fma_f64 v[6:7], -v[6:7], v[23:24], v[12:13]
	v_fma_f64 v[8:9], v[4:5], v[23:24], v[14:15]
	s_clause 0x1
	global_store_b128 v[25:26], v[0:3], off
	global_store_b128 v[25:26], v[6:9], off offset:16
.LBB249_25:
	s_nop 0
	s_sendmsg sendmsg(MSG_DEALLOC_VGPRS)
	s_endpgm
	.section	.rodata,"a",@progbits
	.p2align	6, 0x0
	.amdhsa_kernel _ZN9rocsparseL19gebsrmvn_2xn_kernelILj128ELj6ELj8E21rocsparse_complex_numIdEEEvi20rocsparse_direction_NS_24const_host_device_scalarIT2_EEPKiS8_PKS5_SA_S6_PS5_21rocsparse_index_base_b
		.amdhsa_group_segment_fixed_size 2048
		.amdhsa_private_segment_fixed_size 0
		.amdhsa_kernarg_size 88
		.amdhsa_user_sgpr_count 15
		.amdhsa_user_sgpr_dispatch_ptr 1
		.amdhsa_user_sgpr_queue_ptr 0
		.amdhsa_user_sgpr_kernarg_segment_ptr 1
		.amdhsa_user_sgpr_dispatch_id 0
		.amdhsa_user_sgpr_private_segment_size 0
		.amdhsa_wavefront_size32 1
		.amdhsa_uses_dynamic_stack 0
		.amdhsa_enable_private_segment 0
		.amdhsa_system_sgpr_workgroup_id_x 1
		.amdhsa_system_sgpr_workgroup_id_y 0
		.amdhsa_system_sgpr_workgroup_id_z 0
		.amdhsa_system_sgpr_workgroup_info 0
		.amdhsa_system_vgpr_workitem_id 2
		.amdhsa_next_free_vgpr 92
		.amdhsa_next_free_sgpr 18
		.amdhsa_reserve_vcc 1
		.amdhsa_float_round_mode_32 0
		.amdhsa_float_round_mode_16_64 0
		.amdhsa_float_denorm_mode_32 3
		.amdhsa_float_denorm_mode_16_64 3
		.amdhsa_dx10_clamp 1
		.amdhsa_ieee_mode 1
		.amdhsa_fp16_overflow 0
		.amdhsa_workgroup_processor_mode 1
		.amdhsa_memory_ordered 1
		.amdhsa_forward_progress 0
		.amdhsa_shared_vgpr_count 0
		.amdhsa_exception_fp_ieee_invalid_op 0
		.amdhsa_exception_fp_denorm_src 0
		.amdhsa_exception_fp_ieee_div_zero 0
		.amdhsa_exception_fp_ieee_overflow 0
		.amdhsa_exception_fp_ieee_underflow 0
		.amdhsa_exception_fp_ieee_inexact 0
		.amdhsa_exception_int_div_zero 0
	.end_amdhsa_kernel
	.section	.text._ZN9rocsparseL19gebsrmvn_2xn_kernelILj128ELj6ELj8E21rocsparse_complex_numIdEEEvi20rocsparse_direction_NS_24const_host_device_scalarIT2_EEPKiS8_PKS5_SA_S6_PS5_21rocsparse_index_base_b,"axG",@progbits,_ZN9rocsparseL19gebsrmvn_2xn_kernelILj128ELj6ELj8E21rocsparse_complex_numIdEEEvi20rocsparse_direction_NS_24const_host_device_scalarIT2_EEPKiS8_PKS5_SA_S6_PS5_21rocsparse_index_base_b,comdat
.Lfunc_end249:
	.size	_ZN9rocsparseL19gebsrmvn_2xn_kernelILj128ELj6ELj8E21rocsparse_complex_numIdEEEvi20rocsparse_direction_NS_24const_host_device_scalarIT2_EEPKiS8_PKS5_SA_S6_PS5_21rocsparse_index_base_b, .Lfunc_end249-_ZN9rocsparseL19gebsrmvn_2xn_kernelILj128ELj6ELj8E21rocsparse_complex_numIdEEEvi20rocsparse_direction_NS_24const_host_device_scalarIT2_EEPKiS8_PKS5_SA_S6_PS5_21rocsparse_index_base_b
                                        ; -- End function
	.section	.AMDGPU.csdata,"",@progbits
; Kernel info:
; codeLenInByte = 3604
; NumSgprs: 20
; NumVgprs: 92
; ScratchSize: 0
; MemoryBound: 0
; FloatMode: 240
; IeeeMode: 1
; LDSByteSize: 2048 bytes/workgroup (compile time only)
; SGPRBlocks: 2
; VGPRBlocks: 11
; NumSGPRsForWavesPerEU: 20
; NumVGPRsForWavesPerEU: 92
; Occupancy: 16
; WaveLimiterHint : 1
; COMPUTE_PGM_RSRC2:SCRATCH_EN: 0
; COMPUTE_PGM_RSRC2:USER_SGPR: 15
; COMPUTE_PGM_RSRC2:TRAP_HANDLER: 0
; COMPUTE_PGM_RSRC2:TGID_X_EN: 1
; COMPUTE_PGM_RSRC2:TGID_Y_EN: 0
; COMPUTE_PGM_RSRC2:TGID_Z_EN: 0
; COMPUTE_PGM_RSRC2:TIDIG_COMP_CNT: 2
	.section	.text._ZN9rocsparseL19gebsrmvn_2xn_kernelILj128ELj6ELj16E21rocsparse_complex_numIdEEEvi20rocsparse_direction_NS_24const_host_device_scalarIT2_EEPKiS8_PKS5_SA_S6_PS5_21rocsparse_index_base_b,"axG",@progbits,_ZN9rocsparseL19gebsrmvn_2xn_kernelILj128ELj6ELj16E21rocsparse_complex_numIdEEEvi20rocsparse_direction_NS_24const_host_device_scalarIT2_EEPKiS8_PKS5_SA_S6_PS5_21rocsparse_index_base_b,comdat
	.globl	_ZN9rocsparseL19gebsrmvn_2xn_kernelILj128ELj6ELj16E21rocsparse_complex_numIdEEEvi20rocsparse_direction_NS_24const_host_device_scalarIT2_EEPKiS8_PKS5_SA_S6_PS5_21rocsparse_index_base_b ; -- Begin function _ZN9rocsparseL19gebsrmvn_2xn_kernelILj128ELj6ELj16E21rocsparse_complex_numIdEEEvi20rocsparse_direction_NS_24const_host_device_scalarIT2_EEPKiS8_PKS5_SA_S6_PS5_21rocsparse_index_base_b
	.p2align	8
	.type	_ZN9rocsparseL19gebsrmvn_2xn_kernelILj128ELj6ELj16E21rocsparse_complex_numIdEEEvi20rocsparse_direction_NS_24const_host_device_scalarIT2_EEPKiS8_PKS5_SA_S6_PS5_21rocsparse_index_base_b,@function
_ZN9rocsparseL19gebsrmvn_2xn_kernelILj128ELj6ELj16E21rocsparse_complex_numIdEEEvi20rocsparse_direction_NS_24const_host_device_scalarIT2_EEPKiS8_PKS5_SA_S6_PS5_21rocsparse_index_base_b: ; @_ZN9rocsparseL19gebsrmvn_2xn_kernelILj128ELj6ELj16E21rocsparse_complex_numIdEEEvi20rocsparse_direction_NS_24const_host_device_scalarIT2_EEPKiS8_PKS5_SA_S6_PS5_21rocsparse_index_base_b
; %bb.0:
	s_load_b64 s[12:13], s[2:3], 0x50
	s_load_b64 s[16:17], s[0:1], 0x4
	s_load_b128 s[8:11], s[2:3], 0x8
	v_bfe_u32 v1, v0, 10, 10
	s_mov_b64 s[0:1], src_shared_base
	s_load_b128 s[4:7], s[2:3], 0x38
	v_and_b32_e32 v10, 0x3ff, v0
	v_bfe_u32 v0, v0, 20, 10
	s_waitcnt lgkmcnt(0)
	s_bitcmp1_b32 s13, 0
	v_mul_u32_u24_e32 v1, s17, v1
	s_cselect_b32 s0, -1, 0
	s_delay_alu instid0(SALU_CYCLE_1)
	s_and_b32 vcc_lo, s0, exec_lo
	s_cselect_b32 s13, s1, s9
	s_lshr_b32 s14, s16, 16
	v_dual_mov_b32 v2, s4 :: v_dual_mov_b32 v3, s5
	s_mul_i32 s14, s14, s17
	v_mov_b32_e32 v6, s13
	v_mad_u32_u24 v1, s14, v10, v1
	s_delay_alu instid0(VALU_DEP_1) | instskip(SKIP_1) | instid1(VALU_DEP_2)
	v_add_lshl_u32 v4, v1, v0, 3
	v_dual_mov_b32 v0, s8 :: v_dual_mov_b32 v1, s9
	v_add_nc_u32_e32 v5, 0x400, v4
	ds_store_2addr_stride64_b64 v4, v[2:3], v[0:1] offset1:2
	v_dual_mov_b32 v2, s10 :: v_dual_mov_b32 v3, s11
	v_cndmask_b32_e64 v5, s8, v5, s0
	s_xor_b32 s10, s0, -1
	flat_load_b64 v[0:1], v[5:6]
	s_cbranch_vccnz .LBB250_2
; %bb.1:
	v_dual_mov_b32 v2, s8 :: v_dual_mov_b32 v3, s9
	flat_load_b64 v[2:3], v[2:3] offset:8
.LBB250_2:
	s_and_b32 s8, s0, exec_lo
	s_cselect_b32 s1, s1, s5
	v_cndmask_b32_e64 v4, s4, v4, s0
	v_dual_mov_b32 v5, s1 :: v_dual_mov_b32 v6, s6
	v_mov_b32_e32 v7, s7
	s_and_not1_b32 vcc_lo, exec_lo, s10
	flat_load_b64 v[4:5], v[4:5]
	s_cbranch_vccnz .LBB250_4
; %bb.3:
	v_dual_mov_b32 v7, s5 :: v_dual_mov_b32 v6, s4
	flat_load_b64 v[6:7], v[6:7] offset:8
.LBB250_4:
	s_waitcnt vmcnt(1) lgkmcnt(1)
	v_cmp_eq_f64_e32 vcc_lo, 0, v[0:1]
	v_cmp_eq_f64_e64 s0, 0, v[2:3]
	s_delay_alu instid0(VALU_DEP_1)
	s_and_b32 s4, vcc_lo, s0
	s_mov_b32 s0, -1
	s_and_saveexec_b32 s1, s4
	s_cbranch_execz .LBB250_6
; %bb.5:
	s_waitcnt vmcnt(0) lgkmcnt(0)
	v_cmp_neq_f64_e32 vcc_lo, 1.0, v[4:5]
	v_cmp_neq_f64_e64 s0, 0, v[6:7]
	s_delay_alu instid0(VALU_DEP_1) | instskip(NEXT) | instid1(SALU_CYCLE_1)
	s_or_b32 s0, vcc_lo, s0
	s_or_not1_b32 s0, s0, exec_lo
.LBB250_6:
	s_or_b32 exec_lo, exec_lo, s1
	s_and_saveexec_b32 s1, s0
	s_cbranch_execz .LBB250_25
; %bb.7:
	s_load_b64 s[0:1], s[2:3], 0x0
	v_lshrrev_b32_e32 v8, 4, v10
	s_delay_alu instid0(VALU_DEP_1) | instskip(SKIP_1) | instid1(VALU_DEP_1)
	v_lshl_or_b32 v8, s15, 3, v8
	s_waitcnt lgkmcnt(0)
	v_cmp_gt_i32_e32 vcc_lo, s0, v8
	s_and_b32 exec_lo, exec_lo, vcc_lo
	s_cbranch_execz .LBB250_25
; %bb.8:
	s_load_b256 s[4:11], s[2:3], 0x18
	v_ashrrev_i32_e32 v9, 31, v8
	v_and_b32_e32 v25, 15, v10
	s_cmp_lg_u32 s1, 0
	s_delay_alu instid0(VALU_DEP_2) | instskip(SKIP_1) | instid1(VALU_DEP_1)
	v_lshlrev_b64 v[11:12], 2, v[8:9]
	s_waitcnt lgkmcnt(0)
	v_add_co_u32 v11, vcc_lo, s4, v11
	s_delay_alu instid0(VALU_DEP_2) | instskip(SKIP_4) | instid1(VALU_DEP_2)
	v_add_co_ci_u32_e32 v12, vcc_lo, s5, v12, vcc_lo
	global_load_b64 v[11:12], v[11:12], off
	s_waitcnt vmcnt(0)
	v_subrev_nc_u32_e32 v9, s12, v11
	v_subrev_nc_u32_e32 v24, s12, v12
	v_add_nc_u32_e32 v9, v9, v25
	s_delay_alu instid0(VALU_DEP_1)
	v_cmp_lt_i32_e64 s0, v9, v24
	s_cbranch_scc0 .LBB250_14
; %bb.9:
	v_mov_b32_e32 v11, 0
	v_mov_b32_e32 v12, 0
	s_delay_alu instid0(VALU_DEP_1)
	v_dual_mov_b32 v14, v12 :: v_dual_mov_b32 v13, v11
	v_dual_mov_b32 v16, v12 :: v_dual_mov_b32 v15, v11
	;; [unrolled: 1-line block ×3, first 2 shown]
	s_and_saveexec_b32 s1, s0
	s_cbranch_execz .LBB250_13
; %bb.10:
	v_dual_mov_b32 v11, 0 :: v_dual_mov_b32 v22, v9
	v_dual_mov_b32 v12, 0 :: v_dual_mov_b32 v21, 0
	v_mad_u64_u32 v[19:20], null, v9, 12, 10
	s_mov_b32 s4, 0
	s_delay_alu instid0(VALU_DEP_2)
	v_dual_mov_b32 v14, v12 :: v_dual_mov_b32 v13, v11
	v_dual_mov_b32 v16, v12 :: v_dual_mov_b32 v15, v11
	;; [unrolled: 1-line block ×3, first 2 shown]
.LBB250_11:                             ; =>This Inner Loop Header: Depth=1
	v_ashrrev_i32_e32 v23, 31, v22
	v_dual_mov_b32 v75, v21 :: v_dual_add_nc_u32 v20, -10, v19
	s_delay_alu instid0(VALU_DEP_2) | instskip(SKIP_1) | instid1(VALU_DEP_2)
	v_lshlrev_b64 v[26:27], 2, v[22:23]
	v_add_nc_u32_e32 v22, 16, v22
	v_add_co_u32 v26, vcc_lo, s6, v26
	s_delay_alu instid0(VALU_DEP_3) | instskip(SKIP_3) | instid1(VALU_DEP_1)
	v_add_co_ci_u32_e32 v27, vcc_lo, s7, v27, vcc_lo
	global_load_b32 v10, v[26:27], off
	v_lshlrev_b64 v[26:27], 4, v[20:21]
	v_add_nc_u32_e32 v20, -6, v19
	v_lshlrev_b64 v[50:51], 4, v[20:21]
	s_delay_alu instid0(VALU_DEP_3) | instskip(NEXT) | instid1(VALU_DEP_4)
	v_add_co_u32 v46, vcc_lo, s8, v26
	v_add_co_ci_u32_e32 v47, vcc_lo, s9, v27, vcc_lo
	global_load_b128 v[26:29], v[46:47], off offset:16
	s_waitcnt vmcnt(1)
	v_subrev_nc_u32_e32 v10, s12, v10
	s_delay_alu instid0(VALU_DEP_1) | instskip(NEXT) | instid1(VALU_DEP_1)
	v_mul_lo_u32 v74, v10, 6
	v_lshlrev_b64 v[30:31], 4, v[74:75]
	v_add_nc_u32_e32 v20, 2, v74
	s_delay_alu instid0(VALU_DEP_1) | instskip(NEXT) | instid1(VALU_DEP_3)
	v_lshlrev_b64 v[56:57], 4, v[20:21]
	v_add_co_u32 v38, vcc_lo, s10, v30
	s_delay_alu instid0(VALU_DEP_4)
	v_add_co_ci_u32_e32 v39, vcc_lo, s11, v31, vcc_lo
	v_add_co_u32 v54, vcc_lo, s8, v50
	global_load_b128 v[30:33], v[46:47], off
	s_clause 0x1
	global_load_b128 v[34:37], v[38:39], off
	global_load_b128 v[38:41], v[38:39], off offset:16
	s_clause 0x1
	global_load_b128 v[42:45], v[46:47], off offset:32
	global_load_b128 v[46:49], v[46:47], off offset:48
	v_add_co_ci_u32_e32 v55, vcc_lo, s9, v51, vcc_lo
	v_add_co_u32 v62, vcc_lo, s10, v56
	v_add_co_ci_u32_e32 v63, vcc_lo, s11, v57, vcc_lo
	s_clause 0x1
	global_load_b128 v[50:53], v[54:55], off offset:16
	global_load_b128 v[54:57], v[54:55], off
	s_clause 0x1
	global_load_b128 v[58:61], v[62:63], off
	global_load_b128 v[62:65], v[62:63], off offset:16
	v_add_nc_u32_e32 v20, -4, v19
	s_delay_alu instid0(VALU_DEP_1) | instskip(SKIP_1) | instid1(VALU_DEP_2)
	v_lshlrev_b64 v[66:67], 4, v[20:21]
	v_add_nc_u32_e32 v20, -2, v19
	v_add_co_u32 v70, vcc_lo, s8, v66
	s_delay_alu instid0(VALU_DEP_3)
	v_add_co_ci_u32_e32 v71, vcc_lo, s9, v67, vcc_lo
	s_clause 0x1
	global_load_b128 v[66:69], v[70:71], off
	global_load_b128 v[70:73], v[70:71], off offset:16
	v_lshlrev_b64 v[75:76], 4, v[20:21]
	v_add_nc_u32_e32 v20, 4, v74
	s_delay_alu instid0(VALU_DEP_1) | instskip(NEXT) | instid1(VALU_DEP_3)
	v_lshlrev_b64 v[77:78], 4, v[20:21]
	v_add_co_u32 v79, vcc_lo, s8, v75
	s_delay_alu instid0(VALU_DEP_4) | instskip(SKIP_1) | instid1(VALU_DEP_4)
	v_add_co_ci_u32_e32 v80, vcc_lo, s9, v76, vcc_lo
	v_mov_b32_e32 v20, v21
	v_add_co_u32 v86, vcc_lo, s10, v77
	v_add_co_ci_u32_e32 v87, vcc_lo, s11, v78, vcc_lo
	s_clause 0x1
	global_load_b128 v[74:77], v[79:80], off offset:16
	global_load_b128 v[78:81], v[79:80], off
	s_clause 0x1
	global_load_b128 v[82:85], v[86:87], off
	global_load_b128 v[86:89], v[86:87], off offset:16
	s_waitcnt vmcnt(13)
	v_fma_f64 v[13:14], v[30:31], v[34:35], v[13:14]
	v_fma_f64 v[10:11], v[32:33], v[34:35], v[11:12]
	;; [unrolled: 1-line block ×4, first 2 shown]
	s_delay_alu instid0(VALU_DEP_4) | instskip(NEXT) | instid1(VALU_DEP_4)
	v_fma_f64 v[32:33], -v[32:33], v[36:37], v[13:14]
	v_fma_f64 v[30:31], v[30:31], v[36:37], v[10:11]
	s_delay_alu instid0(VALU_DEP_4) | instskip(NEXT) | instid1(VALU_DEP_4)
	v_fma_f64 v[14:15], -v[28:29], v[36:37], v[15:16]
	v_fma_f64 v[16:17], v[26:27], v[36:37], v[17:18]
	v_lshlrev_b64 v[10:11], 4, v[19:20]
	v_add_nc_u32_e32 v19, 0xc0, v19
	s_delay_alu instid0(VALU_DEP_2) | instskip(NEXT) | instid1(VALU_DEP_3)
	v_add_co_u32 v26, vcc_lo, s8, v10
	v_add_co_ci_u32_e32 v27, vcc_lo, s9, v11, vcc_lo
	s_clause 0x1
	global_load_b128 v[10:13], v[26:27], off
	global_load_b128 v[26:29], v[26:27], off offset:16
	v_cmp_ge_i32_e32 vcc_lo, v22, v24
	s_or_b32 s4, vcc_lo, s4
	s_waitcnt vmcnt(13)
	v_fma_f64 v[32:33], v[42:43], v[38:39], v[32:33]
	v_fma_f64 v[30:31], v[44:45], v[38:39], v[30:31]
	s_waitcnt vmcnt(12)
	v_fma_f64 v[14:15], v[46:47], v[38:39], v[14:15]
	v_fma_f64 v[16:17], v[48:49], v[38:39], v[16:17]
	s_delay_alu instid0(VALU_DEP_4) | instskip(NEXT) | instid1(VALU_DEP_4)
	v_fma_f64 v[32:33], -v[44:45], v[40:41], v[32:33]
	v_fma_f64 v[30:31], v[42:43], v[40:41], v[30:31]
	s_delay_alu instid0(VALU_DEP_4) | instskip(NEXT) | instid1(VALU_DEP_4)
	v_fma_f64 v[14:15], -v[48:49], v[40:41], v[14:15]
	v_fma_f64 v[16:17], v[46:47], v[40:41], v[16:17]
	s_waitcnt vmcnt(9)
	s_delay_alu instid0(VALU_DEP_4) | instskip(NEXT) | instid1(VALU_DEP_4)
	v_fma_f64 v[32:33], v[54:55], v[58:59], v[32:33]
	v_fma_f64 v[30:31], v[56:57], v[58:59], v[30:31]
	s_delay_alu instid0(VALU_DEP_4) | instskip(NEXT) | instid1(VALU_DEP_4)
	v_fma_f64 v[14:15], v[50:51], v[58:59], v[14:15]
	v_fma_f64 v[16:17], v[52:53], v[58:59], v[16:17]
	s_delay_alu instid0(VALU_DEP_4) | instskip(NEXT) | instid1(VALU_DEP_4)
	v_fma_f64 v[32:33], -v[56:57], v[60:61], v[32:33]
	v_fma_f64 v[30:31], v[54:55], v[60:61], v[30:31]
	s_delay_alu instid0(VALU_DEP_4) | instskip(NEXT) | instid1(VALU_DEP_4)
	v_fma_f64 v[14:15], -v[52:53], v[60:61], v[14:15]
	v_fma_f64 v[16:17], v[50:51], v[60:61], v[16:17]
	s_waitcnt vmcnt(7)
	s_delay_alu instid0(VALU_DEP_4) | instskip(NEXT) | instid1(VALU_DEP_4)
	v_fma_f64 v[32:33], v[66:67], v[62:63], v[32:33]
	v_fma_f64 v[30:31], v[68:69], v[62:63], v[30:31]
	s_waitcnt vmcnt(6)
	s_delay_alu instid0(VALU_DEP_4) | instskip(NEXT) | instid1(VALU_DEP_4)
	v_fma_f64 v[14:15], v[70:71], v[62:63], v[14:15]
	v_fma_f64 v[16:17], v[72:73], v[62:63], v[16:17]
	s_delay_alu instid0(VALU_DEP_4) | instskip(NEXT) | instid1(VALU_DEP_4)
	v_fma_f64 v[32:33], -v[68:69], v[64:65], v[32:33]
	v_fma_f64 v[30:31], v[66:67], v[64:65], v[30:31]
	s_delay_alu instid0(VALU_DEP_4) | instskip(NEXT) | instid1(VALU_DEP_4)
	v_fma_f64 v[14:15], -v[72:73], v[64:65], v[14:15]
	v_fma_f64 v[16:17], v[70:71], v[64:65], v[16:17]
	s_waitcnt vmcnt(3)
	s_delay_alu instid0(VALU_DEP_4) | instskip(NEXT) | instid1(VALU_DEP_4)
	v_fma_f64 v[32:33], v[78:79], v[82:83], v[32:33]
	v_fma_f64 v[30:31], v[80:81], v[82:83], v[30:31]
	s_delay_alu instid0(VALU_DEP_4) | instskip(NEXT) | instid1(VALU_DEP_4)
	v_fma_f64 v[14:15], v[74:75], v[82:83], v[14:15]
	v_fma_f64 v[16:17], v[76:77], v[82:83], v[16:17]
	s_delay_alu instid0(VALU_DEP_4) | instskip(NEXT) | instid1(VALU_DEP_4)
	v_fma_f64 v[32:33], -v[80:81], v[84:85], v[32:33]
	v_fma_f64 v[30:31], v[78:79], v[84:85], v[30:31]
	s_delay_alu instid0(VALU_DEP_4) | instskip(NEXT) | instid1(VALU_DEP_4)
	v_fma_f64 v[14:15], -v[76:77], v[84:85], v[14:15]
	v_fma_f64 v[16:17], v[74:75], v[84:85], v[16:17]
	s_waitcnt vmcnt(1)
	s_delay_alu instid0(VALU_DEP_4) | instskip(NEXT) | instid1(VALU_DEP_4)
	v_fma_f64 v[32:33], v[10:11], v[86:87], v[32:33]
	v_fma_f64 v[30:31], v[12:13], v[86:87], v[30:31]
	s_waitcnt vmcnt(0)
	s_delay_alu instid0(VALU_DEP_4) | instskip(NEXT) | instid1(VALU_DEP_4)
	v_fma_f64 v[34:35], v[26:27], v[86:87], v[14:15]
	v_fma_f64 v[17:18], v[28:29], v[86:87], v[16:17]
	s_delay_alu instid0(VALU_DEP_4) | instskip(NEXT) | instid1(VALU_DEP_4)
	v_fma_f64 v[13:14], -v[12:13], v[88:89], v[32:33]
	v_fma_f64 v[11:12], v[10:11], v[88:89], v[30:31]
	s_delay_alu instid0(VALU_DEP_4) | instskip(NEXT) | instid1(VALU_DEP_4)
	v_fma_f64 v[15:16], -v[28:29], v[88:89], v[34:35]
	v_fma_f64 v[17:18], v[26:27], v[88:89], v[17:18]
	s_and_not1_b32 exec_lo, exec_lo, s4
	s_cbranch_execnz .LBB250_11
; %bb.12:
	s_or_b32 exec_lo, exec_lo, s4
.LBB250_13:
	s_delay_alu instid0(SALU_CYCLE_1)
	s_or_b32 exec_lo, exec_lo, s1
	s_cbranch_execz .LBB250_15
	s_branch .LBB250_20
.LBB250_14:
                                        ; implicit-def: $vgpr11_vgpr12
                                        ; implicit-def: $vgpr13_vgpr14
                                        ; implicit-def: $vgpr15_vgpr16
                                        ; implicit-def: $vgpr17_vgpr18
.LBB250_15:
	v_mov_b32_e32 v11, 0
	v_mov_b32_e32 v12, 0
	s_delay_alu instid0(VALU_DEP_1)
	v_dual_mov_b32 v14, v12 :: v_dual_mov_b32 v13, v11
	v_dual_mov_b32 v16, v12 :: v_dual_mov_b32 v15, v11
	;; [unrolled: 1-line block ×3, first 2 shown]
	s_and_saveexec_b32 s1, s0
	s_cbranch_execz .LBB250_19
; %bb.16:
	v_mov_b32_e32 v11, 0
	v_dual_mov_b32 v12, 0 :: v_dual_mov_b32 v21, 0
	v_mad_u64_u32 v[19:20], null, v9, 12, 11
	s_mov_b32 s0, 0
	s_delay_alu instid0(VALU_DEP_2)
	v_dual_mov_b32 v14, v12 :: v_dual_mov_b32 v13, v11
	v_dual_mov_b32 v16, v12 :: v_dual_mov_b32 v15, v11
	;; [unrolled: 1-line block ×3, first 2 shown]
.LBB250_17:                             ; =>This Inner Loop Header: Depth=1
	v_ashrrev_i32_e32 v10, 31, v9
	v_dual_mov_b32 v75, v21 :: v_dual_add_nc_u32 v20, -11, v19
	s_delay_alu instid0(VALU_DEP_2) | instskip(NEXT) | instid1(VALU_DEP_2)
	v_lshlrev_b64 v[22:23], 2, v[9:10]
	v_lshlrev_b64 v[26:27], 4, v[20:21]
	v_add_nc_u32_e32 v20, -4, v19
	v_add_nc_u32_e32 v9, 16, v9
	s_delay_alu instid0(VALU_DEP_4)
	v_add_co_u32 v22, vcc_lo, s6, v22
	v_add_co_ci_u32_e32 v23, vcc_lo, s7, v23, vcc_lo
	v_add_co_u32 v54, vcc_lo, s8, v26
	v_add_co_ci_u32_e32 v55, vcc_lo, s9, v27, vcc_lo
	global_load_b32 v10, v[22:23], off
	v_dual_mov_b32 v23, v21 :: v_dual_add_nc_u32 v22, -5, v19
	s_clause 0x1
	global_load_b128 v[26:29], v[54:55], off offset:16
	global_load_b128 v[30:33], v[54:55], off
	v_lshlrev_b64 v[22:23], 4, v[22:23]
	s_delay_alu instid0(VALU_DEP_1) | instskip(NEXT) | instid1(VALU_DEP_2)
	v_add_co_u32 v22, vcc_lo, s8, v22
	v_add_co_ci_u32_e32 v23, vcc_lo, s9, v23, vcc_lo
	s_waitcnt vmcnt(2)
	v_subrev_nc_u32_e32 v10, s12, v10
	s_delay_alu instid0(VALU_DEP_1) | instskip(NEXT) | instid1(VALU_DEP_1)
	v_mul_lo_u32 v74, v10, 6
	v_lshlrev_b64 v[34:35], 4, v[74:75]
	s_delay_alu instid0(VALU_DEP_1) | instskip(NEXT) | instid1(VALU_DEP_2)
	v_add_co_u32 v42, vcc_lo, s10, v34
	v_add_co_ci_u32_e32 v43, vcc_lo, s11, v35, vcc_lo
	global_load_b128 v[34:37], v[22:23], off
	s_clause 0x1
	global_load_b128 v[38:41], v[42:43], off
	global_load_b128 v[42:45], v[42:43], off offset:16
	v_lshlrev_b64 v[22:23], 4, v[20:21]
	v_add_nc_u32_e32 v20, 2, v74
	global_load_b128 v[50:53], v[54:55], off offset:48
	v_add_co_u32 v22, vcc_lo, s8, v22
	v_add_co_ci_u32_e32 v23, vcc_lo, s9, v23, vcc_lo
	global_load_b128 v[46:49], v[22:23], off
	v_lshlrev_b64 v[22:23], 4, v[20:21]
	v_add_nc_u32_e32 v20, -3, v19
	s_delay_alu instid0(VALU_DEP_1) | instskip(NEXT) | instid1(VALU_DEP_3)
	v_lshlrev_b64 v[56:57], 4, v[20:21]
	v_add_co_u32 v22, vcc_lo, s10, v22
	s_delay_alu instid0(VALU_DEP_4) | instskip(SKIP_1) | instid1(VALU_DEP_4)
	v_add_co_ci_u32_e32 v23, vcc_lo, s11, v23, vcc_lo
	v_add_nc_u32_e32 v20, -2, v19
	v_add_co_u32 v66, vcc_lo, s8, v56
	v_add_co_ci_u32_e32 v67, vcc_lo, s9, v57, vcc_lo
	global_load_b128 v[54:57], v[54:55], off offset:32
	s_clause 0x1
	global_load_b128 v[58:61], v[22:23], off
	global_load_b128 v[62:65], v[22:23], off offset:16
	global_load_b128 v[66:69], v[66:67], off
	v_lshlrev_b64 v[22:23], 4, v[20:21]
	v_add_nc_u32_e32 v20, -7, v19
	s_delay_alu instid0(VALU_DEP_2) | instskip(NEXT) | instid1(VALU_DEP_3)
	v_add_co_u32 v22, vcc_lo, s8, v22
	v_add_co_ci_u32_e32 v23, vcc_lo, s9, v23, vcc_lo
	global_load_b128 v[70:73], v[22:23], off
	v_lshlrev_b64 v[22:23], 4, v[20:21]
	v_add_nc_u32_e32 v20, 4, v74
	s_delay_alu instid0(VALU_DEP_1) | instskip(SKIP_1) | instid1(VALU_DEP_4)
	v_lshlrev_b64 v[74:75], 4, v[20:21]
	v_add_nc_u32_e32 v20, -1, v19
	v_add_co_u32 v22, vcc_lo, s8, v22
	v_add_co_ci_u32_e32 v23, vcc_lo, s9, v23, vcc_lo
	s_delay_alu instid0(VALU_DEP_3) | instskip(SKIP_3) | instid1(VALU_DEP_4)
	v_lshlrev_b64 v[76:77], 4, v[20:21]
	v_add_co_u32 v82, vcc_lo, s10, v74
	v_add_co_ci_u32_e32 v83, vcc_lo, s11, v75, vcc_lo
	v_mov_b32_e32 v20, v21
	v_add_co_u32 v86, vcc_lo, s8, v76
	v_add_co_ci_u32_e32 v87, vcc_lo, s9, v77, vcc_lo
	global_load_b128 v[74:77], v[22:23], off
	s_clause 0x1
	global_load_b128 v[78:81], v[82:83], off
	global_load_b128 v[82:85], v[82:83], off offset:16
	global_load_b128 v[86:89], v[86:87], off
	v_lshlrev_b64 v[22:23], 4, v[19:20]
	v_add_nc_u32_e32 v20, -6, v19
	v_add_nc_u32_e32 v19, 0xc0, v19
	s_delay_alu instid0(VALU_DEP_3) | instskip(NEXT) | instid1(VALU_DEP_4)
	v_add_co_u32 v22, vcc_lo, s8, v22
	v_add_co_ci_u32_e32 v23, vcc_lo, s9, v23, vcc_lo
	s_waitcnt vmcnt(12)
	v_fma_f64 v[13:14], v[30:31], v[38:39], v[13:14]
	v_fma_f64 v[10:11], v[32:33], v[38:39], v[11:12]
	;; [unrolled: 1-line block ×4, first 2 shown]
	s_delay_alu instid0(VALU_DEP_4) | instskip(NEXT) | instid1(VALU_DEP_4)
	v_fma_f64 v[38:39], -v[32:33], v[40:41], v[13:14]
	v_fma_f64 v[90:91], v[30:31], v[40:41], v[10:11]
	s_delay_alu instid0(VALU_DEP_4) | instskip(NEXT) | instid1(VALU_DEP_4)
	v_fma_f64 v[14:15], -v[36:37], v[40:41], v[15:16]
	v_fma_f64 v[16:17], v[34:35], v[40:41], v[17:18]
	v_lshlrev_b64 v[10:11], 4, v[20:21]
	s_delay_alu instid0(VALU_DEP_1) | instskip(NEXT) | instid1(VALU_DEP_2)
	v_add_co_u32 v10, vcc_lo, s8, v10
	v_add_co_ci_u32_e32 v11, vcc_lo, s9, v11, vcc_lo
	s_clause 0x1
	global_load_b128 v[30:33], v[22:23], off
	global_load_b128 v[10:13], v[10:11], off
	v_cmp_ge_i32_e32 vcc_lo, v9, v24
	s_or_b32 s0, vcc_lo, s0
	s_waitcnt vmcnt(13)
	v_fma_f64 v[22:23], v[26:27], v[42:43], v[38:39]
	v_fma_f64 v[34:35], v[28:29], v[42:43], v[90:91]
	s_waitcnt vmcnt(11)
	v_fma_f64 v[14:15], v[46:47], v[42:43], v[14:15]
	v_fma_f64 v[16:17], v[48:49], v[42:43], v[16:17]
	s_delay_alu instid0(VALU_DEP_4) | instskip(NEXT) | instid1(VALU_DEP_4)
	v_fma_f64 v[22:23], -v[28:29], v[44:45], v[22:23]
	v_fma_f64 v[26:27], v[26:27], v[44:45], v[34:35]
	s_delay_alu instid0(VALU_DEP_4) | instskip(NEXT) | instid1(VALU_DEP_4)
	v_fma_f64 v[14:15], -v[48:49], v[44:45], v[14:15]
	v_fma_f64 v[16:17], v[46:47], v[44:45], v[16:17]
	s_waitcnt vmcnt(9)
	s_delay_alu instid0(VALU_DEP_4) | instskip(NEXT) | instid1(VALU_DEP_4)
	v_fma_f64 v[22:23], v[54:55], v[58:59], v[22:23]
	v_fma_f64 v[26:27], v[56:57], v[58:59], v[26:27]
	s_waitcnt vmcnt(7)
	s_delay_alu instid0(VALU_DEP_4) | instskip(NEXT) | instid1(VALU_DEP_4)
	v_fma_f64 v[14:15], v[66:67], v[58:59], v[14:15]
	v_fma_f64 v[16:17], v[68:69], v[58:59], v[16:17]
	s_delay_alu instid0(VALU_DEP_4) | instskip(NEXT) | instid1(VALU_DEP_4)
	v_fma_f64 v[22:23], -v[56:57], v[60:61], v[22:23]
	v_fma_f64 v[26:27], v[54:55], v[60:61], v[26:27]
	s_delay_alu instid0(VALU_DEP_4) | instskip(NEXT) | instid1(VALU_DEP_4)
	v_fma_f64 v[14:15], -v[68:69], v[60:61], v[14:15]
	v_fma_f64 v[16:17], v[66:67], v[60:61], v[16:17]
	s_delay_alu instid0(VALU_DEP_4) | instskip(NEXT) | instid1(VALU_DEP_4)
	v_fma_f64 v[22:23], v[50:51], v[62:63], v[22:23]
	v_fma_f64 v[26:27], v[52:53], v[62:63], v[26:27]
	s_waitcnt vmcnt(6)
	s_delay_alu instid0(VALU_DEP_4) | instskip(NEXT) | instid1(VALU_DEP_4)
	v_fma_f64 v[14:15], v[70:71], v[62:63], v[14:15]
	v_fma_f64 v[16:17], v[72:73], v[62:63], v[16:17]
	s_delay_alu instid0(VALU_DEP_4) | instskip(NEXT) | instid1(VALU_DEP_4)
	v_fma_f64 v[22:23], -v[52:53], v[64:65], v[22:23]
	v_fma_f64 v[26:27], v[50:51], v[64:65], v[26:27]
	s_delay_alu instid0(VALU_DEP_4) | instskip(NEXT) | instid1(VALU_DEP_4)
	v_fma_f64 v[14:15], -v[72:73], v[64:65], v[14:15]
	v_fma_f64 v[16:17], v[70:71], v[64:65], v[16:17]
	s_waitcnt vmcnt(4)
	s_delay_alu instid0(VALU_DEP_4) | instskip(NEXT) | instid1(VALU_DEP_4)
	v_fma_f64 v[22:23], v[74:75], v[78:79], v[22:23]
	v_fma_f64 v[26:27], v[76:77], v[78:79], v[26:27]
	s_waitcnt vmcnt(2)
	s_delay_alu instid0(VALU_DEP_4) | instskip(NEXT) | instid1(VALU_DEP_4)
	v_fma_f64 v[14:15], v[86:87], v[78:79], v[14:15]
	v_fma_f64 v[16:17], v[88:89], v[78:79], v[16:17]
	s_delay_alu instid0(VALU_DEP_4) | instskip(NEXT) | instid1(VALU_DEP_4)
	v_fma_f64 v[22:23], -v[76:77], v[80:81], v[22:23]
	v_fma_f64 v[26:27], v[74:75], v[80:81], v[26:27]
	s_delay_alu instid0(VALU_DEP_4) | instskip(NEXT) | instid1(VALU_DEP_4)
	v_fma_f64 v[14:15], -v[88:89], v[80:81], v[14:15]
	v_fma_f64 v[16:17], v[86:87], v[80:81], v[16:17]
	s_waitcnt vmcnt(0)
	s_delay_alu instid0(VALU_DEP_4) | instskip(NEXT) | instid1(VALU_DEP_4)
	v_fma_f64 v[22:23], v[10:11], v[82:83], v[22:23]
	v_fma_f64 v[26:27], v[12:13], v[82:83], v[26:27]
	s_delay_alu instid0(VALU_DEP_4) | instskip(NEXT) | instid1(VALU_DEP_4)
	v_fma_f64 v[28:29], v[30:31], v[82:83], v[14:15]
	v_fma_f64 v[17:18], v[32:33], v[82:83], v[16:17]
	s_delay_alu instid0(VALU_DEP_4) | instskip(NEXT) | instid1(VALU_DEP_4)
	v_fma_f64 v[13:14], -v[12:13], v[84:85], v[22:23]
	v_fma_f64 v[11:12], v[10:11], v[84:85], v[26:27]
	s_delay_alu instid0(VALU_DEP_4) | instskip(NEXT) | instid1(VALU_DEP_4)
	v_fma_f64 v[15:16], -v[32:33], v[84:85], v[28:29]
	v_fma_f64 v[17:18], v[30:31], v[84:85], v[17:18]
	s_and_not1_b32 exec_lo, exec_lo, s0
	s_cbranch_execnz .LBB250_17
; %bb.18:
	s_or_b32 exec_lo, exec_lo, s0
.LBB250_19:
	s_delay_alu instid0(SALU_CYCLE_1)
	s_or_b32 exec_lo, exec_lo, s1
.LBB250_20:
	v_mbcnt_lo_u32_b32 v26, -1, 0
	s_delay_alu instid0(VALU_DEP_1) | instskip(NEXT) | instid1(VALU_DEP_1)
	v_xor_b32_e32 v9, 8, v26
	v_cmp_gt_i32_e32 vcc_lo, 32, v9
	v_cndmask_b32_e32 v9, v26, v9, vcc_lo
	s_delay_alu instid0(VALU_DEP_1)
	v_lshlrev_b32_e32 v24, 2, v9
	ds_bpermute_b32 v9, v24, v13
	ds_bpermute_b32 v10, v24, v14
	;; [unrolled: 1-line block ×8, first 2 shown]
	s_waitcnt lgkmcnt(6)
	v_add_f64 v[9:10], v[13:14], v[9:10]
	s_waitcnt lgkmcnt(4)
	v_add_f64 v[11:12], v[11:12], v[19:20]
	;; [unrolled: 2-line block ×4, first 2 shown]
	v_xor_b32_e32 v17, 4, v26
	s_delay_alu instid0(VALU_DEP_1) | instskip(SKIP_1) | instid1(VALU_DEP_1)
	v_cmp_gt_i32_e32 vcc_lo, 32, v17
	v_cndmask_b32_e32 v17, v26, v17, vcc_lo
	v_lshlrev_b32_e32 v24, 2, v17
	ds_bpermute_b32 v17, v24, v9
	ds_bpermute_b32 v18, v24, v10
	;; [unrolled: 1-line block ×8, first 2 shown]
	s_waitcnt lgkmcnt(6)
	v_add_f64 v[9:10], v[9:10], v[17:18]
	s_waitcnt lgkmcnt(4)
	v_add_f64 v[11:12], v[11:12], v[19:20]
	;; [unrolled: 2-line block ×4, first 2 shown]
	v_xor_b32_e32 v15, 2, v26
	s_delay_alu instid0(VALU_DEP_1) | instskip(SKIP_1) | instid1(VALU_DEP_1)
	v_cmp_gt_i32_e32 vcc_lo, 32, v15
	v_cndmask_b32_e32 v15, v26, v15, vcc_lo
	v_lshlrev_b32_e32 v24, 2, v15
	ds_bpermute_b32 v15, v24, v9
	ds_bpermute_b32 v16, v24, v10
	;; [unrolled: 1-line block ×8, first 2 shown]
	s_waitcnt lgkmcnt(6)
	v_add_f64 v[9:10], v[9:10], v[15:16]
	s_waitcnt lgkmcnt(4)
	v_add_f64 v[15:16], v[11:12], v[19:20]
	;; [unrolled: 2-line block ×4, first 2 shown]
	v_xor_b32_e32 v17, 1, v26
	s_delay_alu instid0(VALU_DEP_1) | instskip(SKIP_2) | instid1(VALU_DEP_2)
	v_cmp_gt_i32_e32 vcc_lo, 32, v17
	v_cndmask_b32_e32 v17, v26, v17, vcc_lo
	v_cmp_eq_u32_e32 vcc_lo, 15, v25
	v_lshlrev_b32_e32 v20, 2, v17
	ds_bpermute_b32 v23, v20, v9
	ds_bpermute_b32 v24, v20, v10
	;; [unrolled: 1-line block ×8, first 2 shown]
	s_and_b32 exec_lo, exec_lo, vcc_lo
	s_cbranch_execz .LBB250_25
; %bb.21:
	v_cmp_eq_f64_e32 vcc_lo, 0, v[4:5]
	v_cmp_eq_f64_e64 s0, 0, v[6:7]
	s_waitcnt lgkmcnt(6)
	v_add_f64 v[9:10], v[9:10], v[23:24]
	s_waitcnt lgkmcnt(4)
	v_add_f64 v[15:16], v[15:16], v[21:22]
	;; [unrolled: 2-line block ×4, first 2 shown]
	s_load_b64 s[2:3], s[2:3], 0x48
	s_and_b32 s0, vcc_lo, s0
	s_delay_alu instid0(SALU_CYCLE_1) | instskip(NEXT) | instid1(SALU_CYCLE_1)
	s_and_saveexec_b32 s1, s0
	s_xor_b32 s0, exec_lo, s1
	s_cbranch_execz .LBB250_23
; %bb.22:
	s_delay_alu instid0(VALU_DEP_3) | instskip(SKIP_1) | instid1(VALU_DEP_3)
	v_mul_f64 v[4:5], v[15:16], -v[2:3]
	v_mul_f64 v[6:7], v[0:1], v[15:16]
	v_mul_f64 v[15:16], v[13:14], -v[2:3]
	v_mul_f64 v[13:14], v[0:1], v[13:14]
	v_lshlrev_b32_e32 v8, 1, v8
	v_fma_f64 v[4:5], v[0:1], v[9:10], v[4:5]
	v_fma_f64 v[6:7], v[2:3], v[9:10], v[6:7]
	;; [unrolled: 1-line block ×4, first 2 shown]
	v_ashrrev_i32_e32 v9, 31, v8
                                        ; implicit-def: $vgpr15_vgpr16
                                        ; implicit-def: $vgpr11_vgpr12
                                        ; implicit-def: $vgpr13_vgpr14
	s_delay_alu instid0(VALU_DEP_1) | instskip(SKIP_1) | instid1(VALU_DEP_1)
	v_lshlrev_b64 v[8:9], 4, v[8:9]
	s_waitcnt lgkmcnt(0)
	v_add_co_u32 v8, vcc_lo, s2, v8
	s_delay_alu instid0(VALU_DEP_2)
	v_add_co_ci_u32_e32 v9, vcc_lo, s3, v9, vcc_lo
	s_clause 0x1
	global_store_b128 v[8:9], v[4:7], off
	global_store_b128 v[8:9], v[0:3], off offset:16
                                        ; implicit-def: $vgpr0_vgpr1
                                        ; implicit-def: $vgpr2_vgpr3
                                        ; implicit-def: $vgpr4_vgpr5
                                        ; implicit-def: $vgpr6_vgpr7
                                        ; implicit-def: $vgpr8
                                        ; implicit-def: $vgpr9_vgpr10
.LBB250_23:
	s_and_not1_saveexec_b32 s0, s0
	s_cbranch_execz .LBB250_25
; %bb.24:
	v_lshlrev_b32_e32 v17, 1, v8
	s_delay_alu instid0(VALU_DEP_4) | instskip(SKIP_1) | instid1(VALU_DEP_4)
	v_mul_f64 v[27:28], v[15:16], -v[2:3]
	v_mul_f64 v[15:16], v[0:1], v[15:16]
	v_mul_f64 v[29:30], v[13:14], -v[2:3]
	v_mul_f64 v[13:14], v[0:1], v[13:14]
	v_ashrrev_i32_e32 v18, 31, v17
	s_delay_alu instid0(VALU_DEP_1) | instskip(SKIP_1) | instid1(VALU_DEP_1)
	v_lshlrev_b64 v[17:18], 4, v[17:18]
	s_waitcnt lgkmcnt(0)
	v_add_co_u32 v25, vcc_lo, s2, v17
	s_delay_alu instid0(VALU_DEP_2)
	v_add_co_ci_u32_e32 v26, vcc_lo, s3, v18, vcc_lo
	s_clause 0x1
	global_load_b128 v[17:20], v[25:26], off
	global_load_b128 v[21:24], v[25:26], off offset:16
	v_fma_f64 v[27:28], v[0:1], v[9:10], v[27:28]
	v_fma_f64 v[8:9], v[2:3], v[9:10], v[15:16]
	;; [unrolled: 1-line block ×4, first 2 shown]
	s_waitcnt vmcnt(1)
	s_delay_alu instid0(VALU_DEP_4) | instskip(NEXT) | instid1(VALU_DEP_4)
	v_fma_f64 v[10:11], v[4:5], v[17:18], v[27:28]
	v_fma_f64 v[8:9], v[6:7], v[17:18], v[8:9]
	s_waitcnt vmcnt(0)
	s_delay_alu instid0(VALU_DEP_4) | instskip(NEXT) | instid1(VALU_DEP_4)
	v_fma_f64 v[12:13], v[4:5], v[21:22], v[0:1]
	v_fma_f64 v[14:15], v[6:7], v[21:22], v[2:3]
	s_delay_alu instid0(VALU_DEP_4) | instskip(NEXT) | instid1(VALU_DEP_4)
	v_fma_f64 v[0:1], -v[6:7], v[19:20], v[10:11]
	v_fma_f64 v[2:3], v[4:5], v[19:20], v[8:9]
	s_delay_alu instid0(VALU_DEP_4) | instskip(NEXT) | instid1(VALU_DEP_4)
	v_fma_f64 v[6:7], -v[6:7], v[23:24], v[12:13]
	v_fma_f64 v[8:9], v[4:5], v[23:24], v[14:15]
	s_clause 0x1
	global_store_b128 v[25:26], v[0:3], off
	global_store_b128 v[25:26], v[6:9], off offset:16
.LBB250_25:
	s_nop 0
	s_sendmsg sendmsg(MSG_DEALLOC_VGPRS)
	s_endpgm
	.section	.rodata,"a",@progbits
	.p2align	6, 0x0
	.amdhsa_kernel _ZN9rocsparseL19gebsrmvn_2xn_kernelILj128ELj6ELj16E21rocsparse_complex_numIdEEEvi20rocsparse_direction_NS_24const_host_device_scalarIT2_EEPKiS8_PKS5_SA_S6_PS5_21rocsparse_index_base_b
		.amdhsa_group_segment_fixed_size 2048
		.amdhsa_private_segment_fixed_size 0
		.amdhsa_kernarg_size 88
		.amdhsa_user_sgpr_count 15
		.amdhsa_user_sgpr_dispatch_ptr 1
		.amdhsa_user_sgpr_queue_ptr 0
		.amdhsa_user_sgpr_kernarg_segment_ptr 1
		.amdhsa_user_sgpr_dispatch_id 0
		.amdhsa_user_sgpr_private_segment_size 0
		.amdhsa_wavefront_size32 1
		.amdhsa_uses_dynamic_stack 0
		.amdhsa_enable_private_segment 0
		.amdhsa_system_sgpr_workgroup_id_x 1
		.amdhsa_system_sgpr_workgroup_id_y 0
		.amdhsa_system_sgpr_workgroup_id_z 0
		.amdhsa_system_sgpr_workgroup_info 0
		.amdhsa_system_vgpr_workitem_id 2
		.amdhsa_next_free_vgpr 92
		.amdhsa_next_free_sgpr 18
		.amdhsa_reserve_vcc 1
		.amdhsa_float_round_mode_32 0
		.amdhsa_float_round_mode_16_64 0
		.amdhsa_float_denorm_mode_32 3
		.amdhsa_float_denorm_mode_16_64 3
		.amdhsa_dx10_clamp 1
		.amdhsa_ieee_mode 1
		.amdhsa_fp16_overflow 0
		.amdhsa_workgroup_processor_mode 1
		.amdhsa_memory_ordered 1
		.amdhsa_forward_progress 0
		.amdhsa_shared_vgpr_count 0
		.amdhsa_exception_fp_ieee_invalid_op 0
		.amdhsa_exception_fp_denorm_src 0
		.amdhsa_exception_fp_ieee_div_zero 0
		.amdhsa_exception_fp_ieee_overflow 0
		.amdhsa_exception_fp_ieee_underflow 0
		.amdhsa_exception_fp_ieee_inexact 0
		.amdhsa_exception_int_div_zero 0
	.end_amdhsa_kernel
	.section	.text._ZN9rocsparseL19gebsrmvn_2xn_kernelILj128ELj6ELj16E21rocsparse_complex_numIdEEEvi20rocsparse_direction_NS_24const_host_device_scalarIT2_EEPKiS8_PKS5_SA_S6_PS5_21rocsparse_index_base_b,"axG",@progbits,_ZN9rocsparseL19gebsrmvn_2xn_kernelILj128ELj6ELj16E21rocsparse_complex_numIdEEEvi20rocsparse_direction_NS_24const_host_device_scalarIT2_EEPKiS8_PKS5_SA_S6_PS5_21rocsparse_index_base_b,comdat
.Lfunc_end250:
	.size	_ZN9rocsparseL19gebsrmvn_2xn_kernelILj128ELj6ELj16E21rocsparse_complex_numIdEEEvi20rocsparse_direction_NS_24const_host_device_scalarIT2_EEPKiS8_PKS5_SA_S6_PS5_21rocsparse_index_base_b, .Lfunc_end250-_ZN9rocsparseL19gebsrmvn_2xn_kernelILj128ELj6ELj16E21rocsparse_complex_numIdEEEvi20rocsparse_direction_NS_24const_host_device_scalarIT2_EEPKiS8_PKS5_SA_S6_PS5_21rocsparse_index_base_b
                                        ; -- End function
	.section	.AMDGPU.csdata,"",@progbits
; Kernel info:
; codeLenInByte = 3740
; NumSgprs: 20
; NumVgprs: 92
; ScratchSize: 0
; MemoryBound: 0
; FloatMode: 240
; IeeeMode: 1
; LDSByteSize: 2048 bytes/workgroup (compile time only)
; SGPRBlocks: 2
; VGPRBlocks: 11
; NumSGPRsForWavesPerEU: 20
; NumVGPRsForWavesPerEU: 92
; Occupancy: 16
; WaveLimiterHint : 1
; COMPUTE_PGM_RSRC2:SCRATCH_EN: 0
; COMPUTE_PGM_RSRC2:USER_SGPR: 15
; COMPUTE_PGM_RSRC2:TRAP_HANDLER: 0
; COMPUTE_PGM_RSRC2:TGID_X_EN: 1
; COMPUTE_PGM_RSRC2:TGID_Y_EN: 0
; COMPUTE_PGM_RSRC2:TGID_Z_EN: 0
; COMPUTE_PGM_RSRC2:TIDIG_COMP_CNT: 2
	.section	.text._ZN9rocsparseL19gebsrmvn_2xn_kernelILj128ELj6ELj32E21rocsparse_complex_numIdEEEvi20rocsparse_direction_NS_24const_host_device_scalarIT2_EEPKiS8_PKS5_SA_S6_PS5_21rocsparse_index_base_b,"axG",@progbits,_ZN9rocsparseL19gebsrmvn_2xn_kernelILj128ELj6ELj32E21rocsparse_complex_numIdEEEvi20rocsparse_direction_NS_24const_host_device_scalarIT2_EEPKiS8_PKS5_SA_S6_PS5_21rocsparse_index_base_b,comdat
	.globl	_ZN9rocsparseL19gebsrmvn_2xn_kernelILj128ELj6ELj32E21rocsparse_complex_numIdEEEvi20rocsparse_direction_NS_24const_host_device_scalarIT2_EEPKiS8_PKS5_SA_S6_PS5_21rocsparse_index_base_b ; -- Begin function _ZN9rocsparseL19gebsrmvn_2xn_kernelILj128ELj6ELj32E21rocsparse_complex_numIdEEEvi20rocsparse_direction_NS_24const_host_device_scalarIT2_EEPKiS8_PKS5_SA_S6_PS5_21rocsparse_index_base_b
	.p2align	8
	.type	_ZN9rocsparseL19gebsrmvn_2xn_kernelILj128ELj6ELj32E21rocsparse_complex_numIdEEEvi20rocsparse_direction_NS_24const_host_device_scalarIT2_EEPKiS8_PKS5_SA_S6_PS5_21rocsparse_index_base_b,@function
_ZN9rocsparseL19gebsrmvn_2xn_kernelILj128ELj6ELj32E21rocsparse_complex_numIdEEEvi20rocsparse_direction_NS_24const_host_device_scalarIT2_EEPKiS8_PKS5_SA_S6_PS5_21rocsparse_index_base_b: ; @_ZN9rocsparseL19gebsrmvn_2xn_kernelILj128ELj6ELj32E21rocsparse_complex_numIdEEEvi20rocsparse_direction_NS_24const_host_device_scalarIT2_EEPKiS8_PKS5_SA_S6_PS5_21rocsparse_index_base_b
; %bb.0:
	s_load_b64 s[12:13], s[2:3], 0x50
	s_load_b64 s[16:17], s[0:1], 0x4
	s_load_b128 s[8:11], s[2:3], 0x8
	v_bfe_u32 v1, v0, 10, 10
	s_mov_b64 s[0:1], src_shared_base
	s_load_b128 s[4:7], s[2:3], 0x38
	v_and_b32_e32 v10, 0x3ff, v0
	v_bfe_u32 v0, v0, 20, 10
	s_waitcnt lgkmcnt(0)
	s_bitcmp1_b32 s13, 0
	v_mul_u32_u24_e32 v1, s17, v1
	s_cselect_b32 s0, -1, 0
	s_delay_alu instid0(SALU_CYCLE_1)
	s_and_b32 vcc_lo, s0, exec_lo
	s_cselect_b32 s13, s1, s9
	s_lshr_b32 s14, s16, 16
	v_dual_mov_b32 v2, s4 :: v_dual_mov_b32 v3, s5
	s_mul_i32 s14, s14, s17
	v_mov_b32_e32 v6, s13
	v_mad_u32_u24 v1, s14, v10, v1
	s_delay_alu instid0(VALU_DEP_1) | instskip(SKIP_1) | instid1(VALU_DEP_2)
	v_add_lshl_u32 v4, v1, v0, 3
	v_dual_mov_b32 v0, s8 :: v_dual_mov_b32 v1, s9
	v_add_nc_u32_e32 v5, 0x400, v4
	ds_store_2addr_stride64_b64 v4, v[2:3], v[0:1] offset1:2
	v_dual_mov_b32 v2, s10 :: v_dual_mov_b32 v3, s11
	v_cndmask_b32_e64 v5, s8, v5, s0
	s_xor_b32 s10, s0, -1
	flat_load_b64 v[0:1], v[5:6]
	s_cbranch_vccnz .LBB251_2
; %bb.1:
	v_dual_mov_b32 v2, s8 :: v_dual_mov_b32 v3, s9
	flat_load_b64 v[2:3], v[2:3] offset:8
.LBB251_2:
	s_and_b32 s8, s0, exec_lo
	s_cselect_b32 s1, s1, s5
	v_cndmask_b32_e64 v4, s4, v4, s0
	v_dual_mov_b32 v5, s1 :: v_dual_mov_b32 v6, s6
	v_mov_b32_e32 v7, s7
	s_and_not1_b32 vcc_lo, exec_lo, s10
	flat_load_b64 v[4:5], v[4:5]
	s_cbranch_vccnz .LBB251_4
; %bb.3:
	v_dual_mov_b32 v7, s5 :: v_dual_mov_b32 v6, s4
	flat_load_b64 v[6:7], v[6:7] offset:8
.LBB251_4:
	s_waitcnt vmcnt(1) lgkmcnt(1)
	v_cmp_eq_f64_e32 vcc_lo, 0, v[0:1]
	v_cmp_eq_f64_e64 s0, 0, v[2:3]
	s_delay_alu instid0(VALU_DEP_1)
	s_and_b32 s4, vcc_lo, s0
	s_mov_b32 s0, -1
	s_and_saveexec_b32 s1, s4
	s_cbranch_execz .LBB251_6
; %bb.5:
	s_waitcnt vmcnt(0) lgkmcnt(0)
	v_cmp_neq_f64_e32 vcc_lo, 1.0, v[4:5]
	v_cmp_neq_f64_e64 s0, 0, v[6:7]
	s_delay_alu instid0(VALU_DEP_1) | instskip(NEXT) | instid1(SALU_CYCLE_1)
	s_or_b32 s0, vcc_lo, s0
	s_or_not1_b32 s0, s0, exec_lo
.LBB251_6:
	s_or_b32 exec_lo, exec_lo, s1
	s_and_saveexec_b32 s1, s0
	s_cbranch_execz .LBB251_25
; %bb.7:
	s_load_b64 s[0:1], s[2:3], 0x0
	v_lshrrev_b32_e32 v8, 5, v10
	s_delay_alu instid0(VALU_DEP_1) | instskip(SKIP_1) | instid1(VALU_DEP_1)
	v_lshl_or_b32 v8, s15, 2, v8
	s_waitcnt lgkmcnt(0)
	v_cmp_gt_i32_e32 vcc_lo, s0, v8
	s_and_b32 exec_lo, exec_lo, vcc_lo
	s_cbranch_execz .LBB251_25
; %bb.8:
	s_load_b256 s[4:11], s[2:3], 0x18
	v_ashrrev_i32_e32 v9, 31, v8
	v_and_b32_e32 v25, 31, v10
	s_cmp_lg_u32 s1, 0
	s_delay_alu instid0(VALU_DEP_2) | instskip(SKIP_1) | instid1(VALU_DEP_1)
	v_lshlrev_b64 v[11:12], 2, v[8:9]
	s_waitcnt lgkmcnt(0)
	v_add_co_u32 v11, vcc_lo, s4, v11
	s_delay_alu instid0(VALU_DEP_2) | instskip(SKIP_4) | instid1(VALU_DEP_2)
	v_add_co_ci_u32_e32 v12, vcc_lo, s5, v12, vcc_lo
	global_load_b64 v[11:12], v[11:12], off
	s_waitcnt vmcnt(0)
	v_subrev_nc_u32_e32 v9, s12, v11
	v_subrev_nc_u32_e32 v24, s12, v12
	v_add_nc_u32_e32 v9, v9, v25
	s_delay_alu instid0(VALU_DEP_1)
	v_cmp_lt_i32_e64 s0, v9, v24
	s_cbranch_scc0 .LBB251_14
; %bb.9:
	v_mov_b32_e32 v11, 0
	v_mov_b32_e32 v12, 0
	s_delay_alu instid0(VALU_DEP_1)
	v_dual_mov_b32 v14, v12 :: v_dual_mov_b32 v13, v11
	v_dual_mov_b32 v16, v12 :: v_dual_mov_b32 v15, v11
	;; [unrolled: 1-line block ×3, first 2 shown]
	s_and_saveexec_b32 s1, s0
	s_cbranch_execz .LBB251_13
; %bb.10:
	v_dual_mov_b32 v11, 0 :: v_dual_mov_b32 v22, v9
	v_dual_mov_b32 v12, 0 :: v_dual_mov_b32 v21, 0
	v_mad_u64_u32 v[19:20], null, v9, 12, 10
	s_mov_b32 s4, 0
	s_delay_alu instid0(VALU_DEP_2)
	v_dual_mov_b32 v14, v12 :: v_dual_mov_b32 v13, v11
	v_dual_mov_b32 v16, v12 :: v_dual_mov_b32 v15, v11
	v_dual_mov_b32 v18, v12 :: v_dual_mov_b32 v17, v11
.LBB251_11:                             ; =>This Inner Loop Header: Depth=1
	v_ashrrev_i32_e32 v23, 31, v22
	v_dual_mov_b32 v75, v21 :: v_dual_add_nc_u32 v20, -10, v19
	s_delay_alu instid0(VALU_DEP_2) | instskip(SKIP_1) | instid1(VALU_DEP_2)
	v_lshlrev_b64 v[26:27], 2, v[22:23]
	v_add_nc_u32_e32 v22, 32, v22
	v_add_co_u32 v26, vcc_lo, s6, v26
	s_delay_alu instid0(VALU_DEP_3) | instskip(SKIP_3) | instid1(VALU_DEP_1)
	v_add_co_ci_u32_e32 v27, vcc_lo, s7, v27, vcc_lo
	global_load_b32 v10, v[26:27], off
	v_lshlrev_b64 v[26:27], 4, v[20:21]
	v_add_nc_u32_e32 v20, -6, v19
	v_lshlrev_b64 v[50:51], 4, v[20:21]
	s_delay_alu instid0(VALU_DEP_3) | instskip(NEXT) | instid1(VALU_DEP_4)
	v_add_co_u32 v46, vcc_lo, s8, v26
	v_add_co_ci_u32_e32 v47, vcc_lo, s9, v27, vcc_lo
	global_load_b128 v[26:29], v[46:47], off offset:16
	s_waitcnt vmcnt(1)
	v_subrev_nc_u32_e32 v10, s12, v10
	s_delay_alu instid0(VALU_DEP_1) | instskip(NEXT) | instid1(VALU_DEP_1)
	v_mul_lo_u32 v74, v10, 6
	v_lshlrev_b64 v[30:31], 4, v[74:75]
	v_add_nc_u32_e32 v20, 2, v74
	s_delay_alu instid0(VALU_DEP_1) | instskip(NEXT) | instid1(VALU_DEP_3)
	v_lshlrev_b64 v[56:57], 4, v[20:21]
	v_add_co_u32 v38, vcc_lo, s10, v30
	s_delay_alu instid0(VALU_DEP_4)
	v_add_co_ci_u32_e32 v39, vcc_lo, s11, v31, vcc_lo
	v_add_co_u32 v54, vcc_lo, s8, v50
	global_load_b128 v[30:33], v[46:47], off
	s_clause 0x1
	global_load_b128 v[34:37], v[38:39], off
	global_load_b128 v[38:41], v[38:39], off offset:16
	s_clause 0x1
	global_load_b128 v[42:45], v[46:47], off offset:32
	global_load_b128 v[46:49], v[46:47], off offset:48
	v_add_co_ci_u32_e32 v55, vcc_lo, s9, v51, vcc_lo
	v_add_co_u32 v62, vcc_lo, s10, v56
	v_add_co_ci_u32_e32 v63, vcc_lo, s11, v57, vcc_lo
	s_clause 0x1
	global_load_b128 v[50:53], v[54:55], off offset:16
	global_load_b128 v[54:57], v[54:55], off
	s_clause 0x1
	global_load_b128 v[58:61], v[62:63], off
	global_load_b128 v[62:65], v[62:63], off offset:16
	v_add_nc_u32_e32 v20, -4, v19
	s_delay_alu instid0(VALU_DEP_1) | instskip(SKIP_1) | instid1(VALU_DEP_2)
	v_lshlrev_b64 v[66:67], 4, v[20:21]
	v_add_nc_u32_e32 v20, -2, v19
	v_add_co_u32 v70, vcc_lo, s8, v66
	s_delay_alu instid0(VALU_DEP_3)
	v_add_co_ci_u32_e32 v71, vcc_lo, s9, v67, vcc_lo
	s_clause 0x1
	global_load_b128 v[66:69], v[70:71], off
	global_load_b128 v[70:73], v[70:71], off offset:16
	v_lshlrev_b64 v[75:76], 4, v[20:21]
	v_add_nc_u32_e32 v20, 4, v74
	s_delay_alu instid0(VALU_DEP_1) | instskip(NEXT) | instid1(VALU_DEP_3)
	v_lshlrev_b64 v[77:78], 4, v[20:21]
	v_add_co_u32 v79, vcc_lo, s8, v75
	s_delay_alu instid0(VALU_DEP_4) | instskip(SKIP_1) | instid1(VALU_DEP_4)
	v_add_co_ci_u32_e32 v80, vcc_lo, s9, v76, vcc_lo
	v_mov_b32_e32 v20, v21
	v_add_co_u32 v86, vcc_lo, s10, v77
	v_add_co_ci_u32_e32 v87, vcc_lo, s11, v78, vcc_lo
	s_clause 0x1
	global_load_b128 v[74:77], v[79:80], off offset:16
	global_load_b128 v[78:81], v[79:80], off
	s_clause 0x1
	global_load_b128 v[82:85], v[86:87], off
	global_load_b128 v[86:89], v[86:87], off offset:16
	s_waitcnt vmcnt(13)
	v_fma_f64 v[13:14], v[30:31], v[34:35], v[13:14]
	v_fma_f64 v[10:11], v[32:33], v[34:35], v[11:12]
	;; [unrolled: 1-line block ×4, first 2 shown]
	s_delay_alu instid0(VALU_DEP_4) | instskip(NEXT) | instid1(VALU_DEP_4)
	v_fma_f64 v[32:33], -v[32:33], v[36:37], v[13:14]
	v_fma_f64 v[30:31], v[30:31], v[36:37], v[10:11]
	s_delay_alu instid0(VALU_DEP_4) | instskip(NEXT) | instid1(VALU_DEP_4)
	v_fma_f64 v[14:15], -v[28:29], v[36:37], v[15:16]
	v_fma_f64 v[16:17], v[26:27], v[36:37], v[17:18]
	v_lshlrev_b64 v[10:11], 4, v[19:20]
	v_add_nc_u32_e32 v19, 0x180, v19
	s_delay_alu instid0(VALU_DEP_2) | instskip(NEXT) | instid1(VALU_DEP_3)
	v_add_co_u32 v26, vcc_lo, s8, v10
	v_add_co_ci_u32_e32 v27, vcc_lo, s9, v11, vcc_lo
	s_clause 0x1
	global_load_b128 v[10:13], v[26:27], off
	global_load_b128 v[26:29], v[26:27], off offset:16
	v_cmp_ge_i32_e32 vcc_lo, v22, v24
	s_or_b32 s4, vcc_lo, s4
	s_waitcnt vmcnt(13)
	v_fma_f64 v[32:33], v[42:43], v[38:39], v[32:33]
	v_fma_f64 v[30:31], v[44:45], v[38:39], v[30:31]
	s_waitcnt vmcnt(12)
	v_fma_f64 v[14:15], v[46:47], v[38:39], v[14:15]
	v_fma_f64 v[16:17], v[48:49], v[38:39], v[16:17]
	s_delay_alu instid0(VALU_DEP_4) | instskip(NEXT) | instid1(VALU_DEP_4)
	v_fma_f64 v[32:33], -v[44:45], v[40:41], v[32:33]
	v_fma_f64 v[30:31], v[42:43], v[40:41], v[30:31]
	s_delay_alu instid0(VALU_DEP_4) | instskip(NEXT) | instid1(VALU_DEP_4)
	v_fma_f64 v[14:15], -v[48:49], v[40:41], v[14:15]
	v_fma_f64 v[16:17], v[46:47], v[40:41], v[16:17]
	s_waitcnt vmcnt(9)
	s_delay_alu instid0(VALU_DEP_4) | instskip(NEXT) | instid1(VALU_DEP_4)
	v_fma_f64 v[32:33], v[54:55], v[58:59], v[32:33]
	v_fma_f64 v[30:31], v[56:57], v[58:59], v[30:31]
	s_delay_alu instid0(VALU_DEP_4) | instskip(NEXT) | instid1(VALU_DEP_4)
	v_fma_f64 v[14:15], v[50:51], v[58:59], v[14:15]
	v_fma_f64 v[16:17], v[52:53], v[58:59], v[16:17]
	s_delay_alu instid0(VALU_DEP_4) | instskip(NEXT) | instid1(VALU_DEP_4)
	v_fma_f64 v[32:33], -v[56:57], v[60:61], v[32:33]
	v_fma_f64 v[30:31], v[54:55], v[60:61], v[30:31]
	s_delay_alu instid0(VALU_DEP_4) | instskip(NEXT) | instid1(VALU_DEP_4)
	v_fma_f64 v[14:15], -v[52:53], v[60:61], v[14:15]
	v_fma_f64 v[16:17], v[50:51], v[60:61], v[16:17]
	s_waitcnt vmcnt(7)
	s_delay_alu instid0(VALU_DEP_4) | instskip(NEXT) | instid1(VALU_DEP_4)
	v_fma_f64 v[32:33], v[66:67], v[62:63], v[32:33]
	v_fma_f64 v[30:31], v[68:69], v[62:63], v[30:31]
	s_waitcnt vmcnt(6)
	s_delay_alu instid0(VALU_DEP_4) | instskip(NEXT) | instid1(VALU_DEP_4)
	v_fma_f64 v[14:15], v[70:71], v[62:63], v[14:15]
	v_fma_f64 v[16:17], v[72:73], v[62:63], v[16:17]
	s_delay_alu instid0(VALU_DEP_4) | instskip(NEXT) | instid1(VALU_DEP_4)
	v_fma_f64 v[32:33], -v[68:69], v[64:65], v[32:33]
	v_fma_f64 v[30:31], v[66:67], v[64:65], v[30:31]
	s_delay_alu instid0(VALU_DEP_4) | instskip(NEXT) | instid1(VALU_DEP_4)
	v_fma_f64 v[14:15], -v[72:73], v[64:65], v[14:15]
	v_fma_f64 v[16:17], v[70:71], v[64:65], v[16:17]
	s_waitcnt vmcnt(3)
	s_delay_alu instid0(VALU_DEP_4) | instskip(NEXT) | instid1(VALU_DEP_4)
	v_fma_f64 v[32:33], v[78:79], v[82:83], v[32:33]
	v_fma_f64 v[30:31], v[80:81], v[82:83], v[30:31]
	s_delay_alu instid0(VALU_DEP_4) | instskip(NEXT) | instid1(VALU_DEP_4)
	v_fma_f64 v[14:15], v[74:75], v[82:83], v[14:15]
	v_fma_f64 v[16:17], v[76:77], v[82:83], v[16:17]
	s_delay_alu instid0(VALU_DEP_4) | instskip(NEXT) | instid1(VALU_DEP_4)
	v_fma_f64 v[32:33], -v[80:81], v[84:85], v[32:33]
	v_fma_f64 v[30:31], v[78:79], v[84:85], v[30:31]
	s_delay_alu instid0(VALU_DEP_4) | instskip(NEXT) | instid1(VALU_DEP_4)
	v_fma_f64 v[14:15], -v[76:77], v[84:85], v[14:15]
	v_fma_f64 v[16:17], v[74:75], v[84:85], v[16:17]
	s_waitcnt vmcnt(1)
	s_delay_alu instid0(VALU_DEP_4) | instskip(NEXT) | instid1(VALU_DEP_4)
	v_fma_f64 v[32:33], v[10:11], v[86:87], v[32:33]
	v_fma_f64 v[30:31], v[12:13], v[86:87], v[30:31]
	s_waitcnt vmcnt(0)
	s_delay_alu instid0(VALU_DEP_4) | instskip(NEXT) | instid1(VALU_DEP_4)
	v_fma_f64 v[34:35], v[26:27], v[86:87], v[14:15]
	v_fma_f64 v[17:18], v[28:29], v[86:87], v[16:17]
	s_delay_alu instid0(VALU_DEP_4) | instskip(NEXT) | instid1(VALU_DEP_4)
	v_fma_f64 v[13:14], -v[12:13], v[88:89], v[32:33]
	v_fma_f64 v[11:12], v[10:11], v[88:89], v[30:31]
	s_delay_alu instid0(VALU_DEP_4) | instskip(NEXT) | instid1(VALU_DEP_4)
	v_fma_f64 v[15:16], -v[28:29], v[88:89], v[34:35]
	v_fma_f64 v[17:18], v[26:27], v[88:89], v[17:18]
	s_and_not1_b32 exec_lo, exec_lo, s4
	s_cbranch_execnz .LBB251_11
; %bb.12:
	s_or_b32 exec_lo, exec_lo, s4
.LBB251_13:
	s_delay_alu instid0(SALU_CYCLE_1)
	s_or_b32 exec_lo, exec_lo, s1
	s_cbranch_execz .LBB251_15
	s_branch .LBB251_20
.LBB251_14:
                                        ; implicit-def: $vgpr11_vgpr12
                                        ; implicit-def: $vgpr13_vgpr14
                                        ; implicit-def: $vgpr15_vgpr16
                                        ; implicit-def: $vgpr17_vgpr18
.LBB251_15:
	v_mov_b32_e32 v11, 0
	v_mov_b32_e32 v12, 0
	s_delay_alu instid0(VALU_DEP_1)
	v_dual_mov_b32 v14, v12 :: v_dual_mov_b32 v13, v11
	v_dual_mov_b32 v16, v12 :: v_dual_mov_b32 v15, v11
	;; [unrolled: 1-line block ×3, first 2 shown]
	s_and_saveexec_b32 s1, s0
	s_cbranch_execz .LBB251_19
; %bb.16:
	v_mov_b32_e32 v11, 0
	v_dual_mov_b32 v12, 0 :: v_dual_mov_b32 v21, 0
	v_mad_u64_u32 v[19:20], null, v9, 12, 11
	s_mov_b32 s0, 0
	s_delay_alu instid0(VALU_DEP_2)
	v_dual_mov_b32 v14, v12 :: v_dual_mov_b32 v13, v11
	v_dual_mov_b32 v16, v12 :: v_dual_mov_b32 v15, v11
	;; [unrolled: 1-line block ×3, first 2 shown]
.LBB251_17:                             ; =>This Inner Loop Header: Depth=1
	v_ashrrev_i32_e32 v10, 31, v9
	v_dual_mov_b32 v75, v21 :: v_dual_add_nc_u32 v20, -11, v19
	s_delay_alu instid0(VALU_DEP_2) | instskip(NEXT) | instid1(VALU_DEP_2)
	v_lshlrev_b64 v[22:23], 2, v[9:10]
	v_lshlrev_b64 v[26:27], 4, v[20:21]
	v_add_nc_u32_e32 v20, -4, v19
	v_add_nc_u32_e32 v9, 32, v9
	s_delay_alu instid0(VALU_DEP_4)
	v_add_co_u32 v22, vcc_lo, s6, v22
	v_add_co_ci_u32_e32 v23, vcc_lo, s7, v23, vcc_lo
	v_add_co_u32 v54, vcc_lo, s8, v26
	v_add_co_ci_u32_e32 v55, vcc_lo, s9, v27, vcc_lo
	global_load_b32 v10, v[22:23], off
	v_dual_mov_b32 v23, v21 :: v_dual_add_nc_u32 v22, -5, v19
	s_clause 0x1
	global_load_b128 v[26:29], v[54:55], off offset:16
	global_load_b128 v[30:33], v[54:55], off
	v_lshlrev_b64 v[22:23], 4, v[22:23]
	s_delay_alu instid0(VALU_DEP_1) | instskip(NEXT) | instid1(VALU_DEP_2)
	v_add_co_u32 v22, vcc_lo, s8, v22
	v_add_co_ci_u32_e32 v23, vcc_lo, s9, v23, vcc_lo
	s_waitcnt vmcnt(2)
	v_subrev_nc_u32_e32 v10, s12, v10
	s_delay_alu instid0(VALU_DEP_1) | instskip(NEXT) | instid1(VALU_DEP_1)
	v_mul_lo_u32 v74, v10, 6
	v_lshlrev_b64 v[34:35], 4, v[74:75]
	s_delay_alu instid0(VALU_DEP_1) | instskip(NEXT) | instid1(VALU_DEP_2)
	v_add_co_u32 v42, vcc_lo, s10, v34
	v_add_co_ci_u32_e32 v43, vcc_lo, s11, v35, vcc_lo
	global_load_b128 v[34:37], v[22:23], off
	s_clause 0x1
	global_load_b128 v[38:41], v[42:43], off
	global_load_b128 v[42:45], v[42:43], off offset:16
	v_lshlrev_b64 v[22:23], 4, v[20:21]
	v_add_nc_u32_e32 v20, 2, v74
	global_load_b128 v[50:53], v[54:55], off offset:48
	v_add_co_u32 v22, vcc_lo, s8, v22
	v_add_co_ci_u32_e32 v23, vcc_lo, s9, v23, vcc_lo
	global_load_b128 v[46:49], v[22:23], off
	v_lshlrev_b64 v[22:23], 4, v[20:21]
	v_add_nc_u32_e32 v20, -3, v19
	s_delay_alu instid0(VALU_DEP_1) | instskip(NEXT) | instid1(VALU_DEP_3)
	v_lshlrev_b64 v[56:57], 4, v[20:21]
	v_add_co_u32 v22, vcc_lo, s10, v22
	s_delay_alu instid0(VALU_DEP_4) | instskip(SKIP_1) | instid1(VALU_DEP_4)
	v_add_co_ci_u32_e32 v23, vcc_lo, s11, v23, vcc_lo
	v_add_nc_u32_e32 v20, -2, v19
	v_add_co_u32 v66, vcc_lo, s8, v56
	v_add_co_ci_u32_e32 v67, vcc_lo, s9, v57, vcc_lo
	global_load_b128 v[54:57], v[54:55], off offset:32
	s_clause 0x1
	global_load_b128 v[58:61], v[22:23], off
	global_load_b128 v[62:65], v[22:23], off offset:16
	global_load_b128 v[66:69], v[66:67], off
	v_lshlrev_b64 v[22:23], 4, v[20:21]
	v_add_nc_u32_e32 v20, -7, v19
	s_delay_alu instid0(VALU_DEP_2) | instskip(NEXT) | instid1(VALU_DEP_3)
	v_add_co_u32 v22, vcc_lo, s8, v22
	v_add_co_ci_u32_e32 v23, vcc_lo, s9, v23, vcc_lo
	global_load_b128 v[70:73], v[22:23], off
	v_lshlrev_b64 v[22:23], 4, v[20:21]
	v_add_nc_u32_e32 v20, 4, v74
	s_delay_alu instid0(VALU_DEP_1) | instskip(SKIP_1) | instid1(VALU_DEP_4)
	v_lshlrev_b64 v[74:75], 4, v[20:21]
	v_add_nc_u32_e32 v20, -1, v19
	v_add_co_u32 v22, vcc_lo, s8, v22
	v_add_co_ci_u32_e32 v23, vcc_lo, s9, v23, vcc_lo
	s_delay_alu instid0(VALU_DEP_3) | instskip(SKIP_3) | instid1(VALU_DEP_4)
	v_lshlrev_b64 v[76:77], 4, v[20:21]
	v_add_co_u32 v82, vcc_lo, s10, v74
	v_add_co_ci_u32_e32 v83, vcc_lo, s11, v75, vcc_lo
	v_mov_b32_e32 v20, v21
	v_add_co_u32 v86, vcc_lo, s8, v76
	v_add_co_ci_u32_e32 v87, vcc_lo, s9, v77, vcc_lo
	global_load_b128 v[74:77], v[22:23], off
	s_clause 0x1
	global_load_b128 v[78:81], v[82:83], off
	global_load_b128 v[82:85], v[82:83], off offset:16
	global_load_b128 v[86:89], v[86:87], off
	v_lshlrev_b64 v[22:23], 4, v[19:20]
	v_add_nc_u32_e32 v20, -6, v19
	v_add_nc_u32_e32 v19, 0x180, v19
	s_delay_alu instid0(VALU_DEP_3) | instskip(NEXT) | instid1(VALU_DEP_4)
	v_add_co_u32 v22, vcc_lo, s8, v22
	v_add_co_ci_u32_e32 v23, vcc_lo, s9, v23, vcc_lo
	s_waitcnt vmcnt(12)
	v_fma_f64 v[13:14], v[30:31], v[38:39], v[13:14]
	v_fma_f64 v[10:11], v[32:33], v[38:39], v[11:12]
	;; [unrolled: 1-line block ×4, first 2 shown]
	s_delay_alu instid0(VALU_DEP_4) | instskip(NEXT) | instid1(VALU_DEP_4)
	v_fma_f64 v[38:39], -v[32:33], v[40:41], v[13:14]
	v_fma_f64 v[90:91], v[30:31], v[40:41], v[10:11]
	s_delay_alu instid0(VALU_DEP_4) | instskip(NEXT) | instid1(VALU_DEP_4)
	v_fma_f64 v[14:15], -v[36:37], v[40:41], v[15:16]
	v_fma_f64 v[16:17], v[34:35], v[40:41], v[17:18]
	v_lshlrev_b64 v[10:11], 4, v[20:21]
	s_delay_alu instid0(VALU_DEP_1) | instskip(NEXT) | instid1(VALU_DEP_2)
	v_add_co_u32 v10, vcc_lo, s8, v10
	v_add_co_ci_u32_e32 v11, vcc_lo, s9, v11, vcc_lo
	s_clause 0x1
	global_load_b128 v[30:33], v[22:23], off
	global_load_b128 v[10:13], v[10:11], off
	v_cmp_ge_i32_e32 vcc_lo, v9, v24
	s_or_b32 s0, vcc_lo, s0
	s_waitcnt vmcnt(13)
	v_fma_f64 v[22:23], v[26:27], v[42:43], v[38:39]
	v_fma_f64 v[34:35], v[28:29], v[42:43], v[90:91]
	s_waitcnt vmcnt(11)
	v_fma_f64 v[14:15], v[46:47], v[42:43], v[14:15]
	v_fma_f64 v[16:17], v[48:49], v[42:43], v[16:17]
	s_delay_alu instid0(VALU_DEP_4) | instskip(NEXT) | instid1(VALU_DEP_4)
	v_fma_f64 v[22:23], -v[28:29], v[44:45], v[22:23]
	v_fma_f64 v[26:27], v[26:27], v[44:45], v[34:35]
	s_delay_alu instid0(VALU_DEP_4) | instskip(NEXT) | instid1(VALU_DEP_4)
	v_fma_f64 v[14:15], -v[48:49], v[44:45], v[14:15]
	v_fma_f64 v[16:17], v[46:47], v[44:45], v[16:17]
	s_waitcnt vmcnt(9)
	s_delay_alu instid0(VALU_DEP_4) | instskip(NEXT) | instid1(VALU_DEP_4)
	v_fma_f64 v[22:23], v[54:55], v[58:59], v[22:23]
	v_fma_f64 v[26:27], v[56:57], v[58:59], v[26:27]
	s_waitcnt vmcnt(7)
	s_delay_alu instid0(VALU_DEP_4) | instskip(NEXT) | instid1(VALU_DEP_4)
	v_fma_f64 v[14:15], v[66:67], v[58:59], v[14:15]
	v_fma_f64 v[16:17], v[68:69], v[58:59], v[16:17]
	s_delay_alu instid0(VALU_DEP_4) | instskip(NEXT) | instid1(VALU_DEP_4)
	v_fma_f64 v[22:23], -v[56:57], v[60:61], v[22:23]
	v_fma_f64 v[26:27], v[54:55], v[60:61], v[26:27]
	s_delay_alu instid0(VALU_DEP_4) | instskip(NEXT) | instid1(VALU_DEP_4)
	v_fma_f64 v[14:15], -v[68:69], v[60:61], v[14:15]
	v_fma_f64 v[16:17], v[66:67], v[60:61], v[16:17]
	s_delay_alu instid0(VALU_DEP_4) | instskip(NEXT) | instid1(VALU_DEP_4)
	v_fma_f64 v[22:23], v[50:51], v[62:63], v[22:23]
	v_fma_f64 v[26:27], v[52:53], v[62:63], v[26:27]
	s_waitcnt vmcnt(6)
	s_delay_alu instid0(VALU_DEP_4) | instskip(NEXT) | instid1(VALU_DEP_4)
	v_fma_f64 v[14:15], v[70:71], v[62:63], v[14:15]
	v_fma_f64 v[16:17], v[72:73], v[62:63], v[16:17]
	s_delay_alu instid0(VALU_DEP_4) | instskip(NEXT) | instid1(VALU_DEP_4)
	v_fma_f64 v[22:23], -v[52:53], v[64:65], v[22:23]
	v_fma_f64 v[26:27], v[50:51], v[64:65], v[26:27]
	s_delay_alu instid0(VALU_DEP_4) | instskip(NEXT) | instid1(VALU_DEP_4)
	v_fma_f64 v[14:15], -v[72:73], v[64:65], v[14:15]
	v_fma_f64 v[16:17], v[70:71], v[64:65], v[16:17]
	s_waitcnt vmcnt(4)
	s_delay_alu instid0(VALU_DEP_4) | instskip(NEXT) | instid1(VALU_DEP_4)
	v_fma_f64 v[22:23], v[74:75], v[78:79], v[22:23]
	v_fma_f64 v[26:27], v[76:77], v[78:79], v[26:27]
	s_waitcnt vmcnt(2)
	s_delay_alu instid0(VALU_DEP_4) | instskip(NEXT) | instid1(VALU_DEP_4)
	v_fma_f64 v[14:15], v[86:87], v[78:79], v[14:15]
	v_fma_f64 v[16:17], v[88:89], v[78:79], v[16:17]
	s_delay_alu instid0(VALU_DEP_4) | instskip(NEXT) | instid1(VALU_DEP_4)
	v_fma_f64 v[22:23], -v[76:77], v[80:81], v[22:23]
	v_fma_f64 v[26:27], v[74:75], v[80:81], v[26:27]
	s_delay_alu instid0(VALU_DEP_4) | instskip(NEXT) | instid1(VALU_DEP_4)
	v_fma_f64 v[14:15], -v[88:89], v[80:81], v[14:15]
	v_fma_f64 v[16:17], v[86:87], v[80:81], v[16:17]
	s_waitcnt vmcnt(0)
	s_delay_alu instid0(VALU_DEP_4) | instskip(NEXT) | instid1(VALU_DEP_4)
	v_fma_f64 v[22:23], v[10:11], v[82:83], v[22:23]
	v_fma_f64 v[26:27], v[12:13], v[82:83], v[26:27]
	s_delay_alu instid0(VALU_DEP_4) | instskip(NEXT) | instid1(VALU_DEP_4)
	v_fma_f64 v[28:29], v[30:31], v[82:83], v[14:15]
	v_fma_f64 v[17:18], v[32:33], v[82:83], v[16:17]
	s_delay_alu instid0(VALU_DEP_4) | instskip(NEXT) | instid1(VALU_DEP_4)
	v_fma_f64 v[13:14], -v[12:13], v[84:85], v[22:23]
	v_fma_f64 v[11:12], v[10:11], v[84:85], v[26:27]
	s_delay_alu instid0(VALU_DEP_4) | instskip(NEXT) | instid1(VALU_DEP_4)
	v_fma_f64 v[15:16], -v[32:33], v[84:85], v[28:29]
	v_fma_f64 v[17:18], v[30:31], v[84:85], v[17:18]
	s_and_not1_b32 exec_lo, exec_lo, s0
	s_cbranch_execnz .LBB251_17
; %bb.18:
	s_or_b32 exec_lo, exec_lo, s0
.LBB251_19:
	s_delay_alu instid0(SALU_CYCLE_1)
	s_or_b32 exec_lo, exec_lo, s1
.LBB251_20:
	v_mbcnt_lo_u32_b32 v26, -1, 0
	s_delay_alu instid0(VALU_DEP_1) | instskip(NEXT) | instid1(VALU_DEP_1)
	v_xor_b32_e32 v9, 16, v26
	v_cmp_gt_i32_e32 vcc_lo, 32, v9
	v_cndmask_b32_e32 v9, v26, v9, vcc_lo
	s_delay_alu instid0(VALU_DEP_1)
	v_lshlrev_b32_e32 v24, 2, v9
	ds_bpermute_b32 v9, v24, v13
	ds_bpermute_b32 v10, v24, v14
	;; [unrolled: 1-line block ×8, first 2 shown]
	s_waitcnt lgkmcnt(6)
	v_add_f64 v[9:10], v[13:14], v[9:10]
	s_waitcnt lgkmcnt(4)
	v_add_f64 v[11:12], v[11:12], v[19:20]
	;; [unrolled: 2-line block ×4, first 2 shown]
	v_xor_b32_e32 v17, 8, v26
	s_delay_alu instid0(VALU_DEP_1) | instskip(SKIP_1) | instid1(VALU_DEP_1)
	v_cmp_gt_i32_e32 vcc_lo, 32, v17
	v_cndmask_b32_e32 v17, v26, v17, vcc_lo
	v_lshlrev_b32_e32 v24, 2, v17
	ds_bpermute_b32 v17, v24, v9
	ds_bpermute_b32 v18, v24, v10
	;; [unrolled: 1-line block ×8, first 2 shown]
	s_waitcnt lgkmcnt(6)
	v_add_f64 v[9:10], v[9:10], v[17:18]
	v_xor_b32_e32 v17, 4, v26
	s_waitcnt lgkmcnt(4)
	v_add_f64 v[11:12], v[11:12], v[19:20]
	s_waitcnt lgkmcnt(2)
	v_add_f64 v[13:14], v[13:14], v[21:22]
	;; [unrolled: 2-line block ×3, first 2 shown]
	v_cmp_gt_i32_e32 vcc_lo, 32, v17
	v_cndmask_b32_e32 v17, v26, v17, vcc_lo
	s_delay_alu instid0(VALU_DEP_1)
	v_lshlrev_b32_e32 v24, 2, v17
	ds_bpermute_b32 v17, v24, v9
	ds_bpermute_b32 v18, v24, v10
	ds_bpermute_b32 v19, v24, v11
	ds_bpermute_b32 v20, v24, v12
	ds_bpermute_b32 v21, v24, v13
	ds_bpermute_b32 v22, v24, v14
	ds_bpermute_b32 v23, v24, v15
	ds_bpermute_b32 v24, v24, v16
	s_waitcnt lgkmcnt(6)
	v_add_f64 v[9:10], v[9:10], v[17:18]
	s_waitcnt lgkmcnt(4)
	v_add_f64 v[11:12], v[11:12], v[19:20]
	;; [unrolled: 2-line block ×4, first 2 shown]
	v_xor_b32_e32 v15, 2, v26
	s_delay_alu instid0(VALU_DEP_1) | instskip(SKIP_1) | instid1(VALU_DEP_1)
	v_cmp_gt_i32_e32 vcc_lo, 32, v15
	v_cndmask_b32_e32 v15, v26, v15, vcc_lo
	v_lshlrev_b32_e32 v24, 2, v15
	ds_bpermute_b32 v15, v24, v9
	ds_bpermute_b32 v16, v24, v10
	;; [unrolled: 1-line block ×8, first 2 shown]
	s_waitcnt lgkmcnt(6)
	v_add_f64 v[9:10], v[9:10], v[15:16]
	s_waitcnt lgkmcnt(4)
	v_add_f64 v[15:16], v[11:12], v[19:20]
	;; [unrolled: 2-line block ×4, first 2 shown]
	v_xor_b32_e32 v17, 1, v26
	s_delay_alu instid0(VALU_DEP_1) | instskip(SKIP_2) | instid1(VALU_DEP_2)
	v_cmp_gt_i32_e32 vcc_lo, 32, v17
	v_cndmask_b32_e32 v17, v26, v17, vcc_lo
	v_cmp_eq_u32_e32 vcc_lo, 31, v25
	v_lshlrev_b32_e32 v20, 2, v17
	ds_bpermute_b32 v23, v20, v9
	ds_bpermute_b32 v24, v20, v10
	;; [unrolled: 1-line block ×8, first 2 shown]
	s_and_b32 exec_lo, exec_lo, vcc_lo
	s_cbranch_execz .LBB251_25
; %bb.21:
	v_cmp_eq_f64_e32 vcc_lo, 0, v[4:5]
	v_cmp_eq_f64_e64 s0, 0, v[6:7]
	s_waitcnt lgkmcnt(6)
	v_add_f64 v[9:10], v[9:10], v[23:24]
	s_waitcnt lgkmcnt(4)
	v_add_f64 v[15:16], v[15:16], v[21:22]
	s_waitcnt lgkmcnt(2)
	v_add_f64 v[11:12], v[11:12], v[17:18]
	s_waitcnt lgkmcnt(0)
	v_add_f64 v[13:14], v[13:14], v[19:20]
	s_load_b64 s[2:3], s[2:3], 0x48
	s_and_b32 s0, vcc_lo, s0
	s_delay_alu instid0(SALU_CYCLE_1) | instskip(NEXT) | instid1(SALU_CYCLE_1)
	s_and_saveexec_b32 s1, s0
	s_xor_b32 s0, exec_lo, s1
	s_cbranch_execz .LBB251_23
; %bb.22:
	s_delay_alu instid0(VALU_DEP_3) | instskip(SKIP_1) | instid1(VALU_DEP_3)
	v_mul_f64 v[4:5], v[15:16], -v[2:3]
	v_mul_f64 v[6:7], v[0:1], v[15:16]
	v_mul_f64 v[15:16], v[13:14], -v[2:3]
	v_mul_f64 v[13:14], v[0:1], v[13:14]
	v_lshlrev_b32_e32 v8, 1, v8
	v_fma_f64 v[4:5], v[0:1], v[9:10], v[4:5]
	v_fma_f64 v[6:7], v[2:3], v[9:10], v[6:7]
	v_fma_f64 v[0:1], v[0:1], v[11:12], v[15:16]
	v_fma_f64 v[2:3], v[2:3], v[11:12], v[13:14]
	v_ashrrev_i32_e32 v9, 31, v8
                                        ; implicit-def: $vgpr15_vgpr16
                                        ; implicit-def: $vgpr11_vgpr12
                                        ; implicit-def: $vgpr13_vgpr14
	s_delay_alu instid0(VALU_DEP_1) | instskip(SKIP_1) | instid1(VALU_DEP_1)
	v_lshlrev_b64 v[8:9], 4, v[8:9]
	s_waitcnt lgkmcnt(0)
	v_add_co_u32 v8, vcc_lo, s2, v8
	s_delay_alu instid0(VALU_DEP_2)
	v_add_co_ci_u32_e32 v9, vcc_lo, s3, v9, vcc_lo
	s_clause 0x1
	global_store_b128 v[8:9], v[4:7], off
	global_store_b128 v[8:9], v[0:3], off offset:16
                                        ; implicit-def: $vgpr0_vgpr1
                                        ; implicit-def: $vgpr2_vgpr3
                                        ; implicit-def: $vgpr4_vgpr5
                                        ; implicit-def: $vgpr6_vgpr7
                                        ; implicit-def: $vgpr8
                                        ; implicit-def: $vgpr9_vgpr10
.LBB251_23:
	s_and_not1_saveexec_b32 s0, s0
	s_cbranch_execz .LBB251_25
; %bb.24:
	v_lshlrev_b32_e32 v17, 1, v8
	s_delay_alu instid0(VALU_DEP_4) | instskip(SKIP_1) | instid1(VALU_DEP_4)
	v_mul_f64 v[27:28], v[15:16], -v[2:3]
	v_mul_f64 v[15:16], v[0:1], v[15:16]
	v_mul_f64 v[29:30], v[13:14], -v[2:3]
	v_mul_f64 v[13:14], v[0:1], v[13:14]
	v_ashrrev_i32_e32 v18, 31, v17
	s_delay_alu instid0(VALU_DEP_1) | instskip(SKIP_1) | instid1(VALU_DEP_1)
	v_lshlrev_b64 v[17:18], 4, v[17:18]
	s_waitcnt lgkmcnt(0)
	v_add_co_u32 v25, vcc_lo, s2, v17
	s_delay_alu instid0(VALU_DEP_2)
	v_add_co_ci_u32_e32 v26, vcc_lo, s3, v18, vcc_lo
	s_clause 0x1
	global_load_b128 v[17:20], v[25:26], off
	global_load_b128 v[21:24], v[25:26], off offset:16
	v_fma_f64 v[27:28], v[0:1], v[9:10], v[27:28]
	v_fma_f64 v[8:9], v[2:3], v[9:10], v[15:16]
	;; [unrolled: 1-line block ×4, first 2 shown]
	s_waitcnt vmcnt(1)
	s_delay_alu instid0(VALU_DEP_4) | instskip(NEXT) | instid1(VALU_DEP_4)
	v_fma_f64 v[10:11], v[4:5], v[17:18], v[27:28]
	v_fma_f64 v[8:9], v[6:7], v[17:18], v[8:9]
	s_waitcnt vmcnt(0)
	s_delay_alu instid0(VALU_DEP_4) | instskip(NEXT) | instid1(VALU_DEP_4)
	v_fma_f64 v[12:13], v[4:5], v[21:22], v[0:1]
	v_fma_f64 v[14:15], v[6:7], v[21:22], v[2:3]
	s_delay_alu instid0(VALU_DEP_4) | instskip(NEXT) | instid1(VALU_DEP_4)
	v_fma_f64 v[0:1], -v[6:7], v[19:20], v[10:11]
	v_fma_f64 v[2:3], v[4:5], v[19:20], v[8:9]
	s_delay_alu instid0(VALU_DEP_4) | instskip(NEXT) | instid1(VALU_DEP_4)
	v_fma_f64 v[6:7], -v[6:7], v[23:24], v[12:13]
	v_fma_f64 v[8:9], v[4:5], v[23:24], v[14:15]
	s_clause 0x1
	global_store_b128 v[25:26], v[0:3], off
	global_store_b128 v[25:26], v[6:9], off offset:16
.LBB251_25:
	s_nop 0
	s_sendmsg sendmsg(MSG_DEALLOC_VGPRS)
	s_endpgm
	.section	.rodata,"a",@progbits
	.p2align	6, 0x0
	.amdhsa_kernel _ZN9rocsparseL19gebsrmvn_2xn_kernelILj128ELj6ELj32E21rocsparse_complex_numIdEEEvi20rocsparse_direction_NS_24const_host_device_scalarIT2_EEPKiS8_PKS5_SA_S6_PS5_21rocsparse_index_base_b
		.amdhsa_group_segment_fixed_size 2048
		.amdhsa_private_segment_fixed_size 0
		.amdhsa_kernarg_size 88
		.amdhsa_user_sgpr_count 15
		.amdhsa_user_sgpr_dispatch_ptr 1
		.amdhsa_user_sgpr_queue_ptr 0
		.amdhsa_user_sgpr_kernarg_segment_ptr 1
		.amdhsa_user_sgpr_dispatch_id 0
		.amdhsa_user_sgpr_private_segment_size 0
		.amdhsa_wavefront_size32 1
		.amdhsa_uses_dynamic_stack 0
		.amdhsa_enable_private_segment 0
		.amdhsa_system_sgpr_workgroup_id_x 1
		.amdhsa_system_sgpr_workgroup_id_y 0
		.amdhsa_system_sgpr_workgroup_id_z 0
		.amdhsa_system_sgpr_workgroup_info 0
		.amdhsa_system_vgpr_workitem_id 2
		.amdhsa_next_free_vgpr 92
		.amdhsa_next_free_sgpr 18
		.amdhsa_reserve_vcc 1
		.amdhsa_float_round_mode_32 0
		.amdhsa_float_round_mode_16_64 0
		.amdhsa_float_denorm_mode_32 3
		.amdhsa_float_denorm_mode_16_64 3
		.amdhsa_dx10_clamp 1
		.amdhsa_ieee_mode 1
		.amdhsa_fp16_overflow 0
		.amdhsa_workgroup_processor_mode 1
		.amdhsa_memory_ordered 1
		.amdhsa_forward_progress 0
		.amdhsa_shared_vgpr_count 0
		.amdhsa_exception_fp_ieee_invalid_op 0
		.amdhsa_exception_fp_denorm_src 0
		.amdhsa_exception_fp_ieee_div_zero 0
		.amdhsa_exception_fp_ieee_overflow 0
		.amdhsa_exception_fp_ieee_underflow 0
		.amdhsa_exception_fp_ieee_inexact 0
		.amdhsa_exception_int_div_zero 0
	.end_amdhsa_kernel
	.section	.text._ZN9rocsparseL19gebsrmvn_2xn_kernelILj128ELj6ELj32E21rocsparse_complex_numIdEEEvi20rocsparse_direction_NS_24const_host_device_scalarIT2_EEPKiS8_PKS5_SA_S6_PS5_21rocsparse_index_base_b,"axG",@progbits,_ZN9rocsparseL19gebsrmvn_2xn_kernelILj128ELj6ELj32E21rocsparse_complex_numIdEEEvi20rocsparse_direction_NS_24const_host_device_scalarIT2_EEPKiS8_PKS5_SA_S6_PS5_21rocsparse_index_base_b,comdat
.Lfunc_end251:
	.size	_ZN9rocsparseL19gebsrmvn_2xn_kernelILj128ELj6ELj32E21rocsparse_complex_numIdEEEvi20rocsparse_direction_NS_24const_host_device_scalarIT2_EEPKiS8_PKS5_SA_S6_PS5_21rocsparse_index_base_b, .Lfunc_end251-_ZN9rocsparseL19gebsrmvn_2xn_kernelILj128ELj6ELj32E21rocsparse_complex_numIdEEEvi20rocsparse_direction_NS_24const_host_device_scalarIT2_EEPKiS8_PKS5_SA_S6_PS5_21rocsparse_index_base_b
                                        ; -- End function
	.section	.AMDGPU.csdata,"",@progbits
; Kernel info:
; codeLenInByte = 3872
; NumSgprs: 20
; NumVgprs: 92
; ScratchSize: 0
; MemoryBound: 0
; FloatMode: 240
; IeeeMode: 1
; LDSByteSize: 2048 bytes/workgroup (compile time only)
; SGPRBlocks: 2
; VGPRBlocks: 11
; NumSGPRsForWavesPerEU: 20
; NumVGPRsForWavesPerEU: 92
; Occupancy: 16
; WaveLimiterHint : 1
; COMPUTE_PGM_RSRC2:SCRATCH_EN: 0
; COMPUTE_PGM_RSRC2:USER_SGPR: 15
; COMPUTE_PGM_RSRC2:TRAP_HANDLER: 0
; COMPUTE_PGM_RSRC2:TGID_X_EN: 1
; COMPUTE_PGM_RSRC2:TGID_Y_EN: 0
; COMPUTE_PGM_RSRC2:TGID_Z_EN: 0
; COMPUTE_PGM_RSRC2:TIDIG_COMP_CNT: 2
	.section	.text._ZN9rocsparseL19gebsrmvn_2xn_kernelILj128ELj6ELj64E21rocsparse_complex_numIdEEEvi20rocsparse_direction_NS_24const_host_device_scalarIT2_EEPKiS8_PKS5_SA_S6_PS5_21rocsparse_index_base_b,"axG",@progbits,_ZN9rocsparseL19gebsrmvn_2xn_kernelILj128ELj6ELj64E21rocsparse_complex_numIdEEEvi20rocsparse_direction_NS_24const_host_device_scalarIT2_EEPKiS8_PKS5_SA_S6_PS5_21rocsparse_index_base_b,comdat
	.globl	_ZN9rocsparseL19gebsrmvn_2xn_kernelILj128ELj6ELj64E21rocsparse_complex_numIdEEEvi20rocsparse_direction_NS_24const_host_device_scalarIT2_EEPKiS8_PKS5_SA_S6_PS5_21rocsparse_index_base_b ; -- Begin function _ZN9rocsparseL19gebsrmvn_2xn_kernelILj128ELj6ELj64E21rocsparse_complex_numIdEEEvi20rocsparse_direction_NS_24const_host_device_scalarIT2_EEPKiS8_PKS5_SA_S6_PS5_21rocsparse_index_base_b
	.p2align	8
	.type	_ZN9rocsparseL19gebsrmvn_2xn_kernelILj128ELj6ELj64E21rocsparse_complex_numIdEEEvi20rocsparse_direction_NS_24const_host_device_scalarIT2_EEPKiS8_PKS5_SA_S6_PS5_21rocsparse_index_base_b,@function
_ZN9rocsparseL19gebsrmvn_2xn_kernelILj128ELj6ELj64E21rocsparse_complex_numIdEEEvi20rocsparse_direction_NS_24const_host_device_scalarIT2_EEPKiS8_PKS5_SA_S6_PS5_21rocsparse_index_base_b: ; @_ZN9rocsparseL19gebsrmvn_2xn_kernelILj128ELj6ELj64E21rocsparse_complex_numIdEEEvi20rocsparse_direction_NS_24const_host_device_scalarIT2_EEPKiS8_PKS5_SA_S6_PS5_21rocsparse_index_base_b
; %bb.0:
	s_load_b64 s[12:13], s[2:3], 0x50
	s_load_b64 s[16:17], s[0:1], 0x4
	s_load_b128 s[8:11], s[2:3], 0x8
	v_bfe_u32 v1, v0, 10, 10
	s_mov_b64 s[0:1], src_shared_base
	s_load_b128 s[4:7], s[2:3], 0x38
	v_and_b32_e32 v10, 0x3ff, v0
	v_bfe_u32 v0, v0, 20, 10
	s_waitcnt lgkmcnt(0)
	s_bitcmp1_b32 s13, 0
	v_mul_u32_u24_e32 v1, s17, v1
	s_cselect_b32 s0, -1, 0
	s_delay_alu instid0(SALU_CYCLE_1)
	s_and_b32 vcc_lo, s0, exec_lo
	s_cselect_b32 s13, s1, s9
	s_lshr_b32 s14, s16, 16
	v_dual_mov_b32 v2, s4 :: v_dual_mov_b32 v3, s5
	s_mul_i32 s14, s14, s17
	v_mov_b32_e32 v6, s13
	v_mad_u32_u24 v1, s14, v10, v1
	s_delay_alu instid0(VALU_DEP_1) | instskip(SKIP_1) | instid1(VALU_DEP_2)
	v_add_lshl_u32 v4, v1, v0, 3
	v_dual_mov_b32 v0, s8 :: v_dual_mov_b32 v1, s9
	v_add_nc_u32_e32 v5, 0x400, v4
	ds_store_2addr_stride64_b64 v4, v[2:3], v[0:1] offset1:2
	v_dual_mov_b32 v2, s10 :: v_dual_mov_b32 v3, s11
	v_cndmask_b32_e64 v5, s8, v5, s0
	s_xor_b32 s10, s0, -1
	flat_load_b64 v[0:1], v[5:6]
	s_cbranch_vccnz .LBB252_2
; %bb.1:
	v_dual_mov_b32 v2, s8 :: v_dual_mov_b32 v3, s9
	flat_load_b64 v[2:3], v[2:3] offset:8
.LBB252_2:
	s_and_b32 s8, s0, exec_lo
	s_cselect_b32 s1, s1, s5
	v_cndmask_b32_e64 v4, s4, v4, s0
	v_dual_mov_b32 v5, s1 :: v_dual_mov_b32 v6, s6
	v_mov_b32_e32 v7, s7
	s_and_not1_b32 vcc_lo, exec_lo, s10
	flat_load_b64 v[4:5], v[4:5]
	s_cbranch_vccnz .LBB252_4
; %bb.3:
	v_dual_mov_b32 v7, s5 :: v_dual_mov_b32 v6, s4
	flat_load_b64 v[6:7], v[6:7] offset:8
.LBB252_4:
	s_waitcnt vmcnt(1) lgkmcnt(1)
	v_cmp_eq_f64_e32 vcc_lo, 0, v[0:1]
	v_cmp_eq_f64_e64 s0, 0, v[2:3]
	s_delay_alu instid0(VALU_DEP_1)
	s_and_b32 s4, vcc_lo, s0
	s_mov_b32 s0, -1
	s_and_saveexec_b32 s1, s4
	s_cbranch_execz .LBB252_6
; %bb.5:
	s_waitcnt vmcnt(0) lgkmcnt(0)
	v_cmp_neq_f64_e32 vcc_lo, 1.0, v[4:5]
	v_cmp_neq_f64_e64 s0, 0, v[6:7]
	s_delay_alu instid0(VALU_DEP_1) | instskip(NEXT) | instid1(SALU_CYCLE_1)
	s_or_b32 s0, vcc_lo, s0
	s_or_not1_b32 s0, s0, exec_lo
.LBB252_6:
	s_or_b32 exec_lo, exec_lo, s1
	s_and_saveexec_b32 s1, s0
	s_cbranch_execz .LBB252_25
; %bb.7:
	s_load_b64 s[0:1], s[2:3], 0x0
	v_lshrrev_b32_e32 v8, 6, v10
	s_delay_alu instid0(VALU_DEP_1) | instskip(SKIP_1) | instid1(VALU_DEP_1)
	v_lshl_or_b32 v8, s15, 1, v8
	s_waitcnt lgkmcnt(0)
	v_cmp_gt_i32_e32 vcc_lo, s0, v8
	s_and_b32 exec_lo, exec_lo, vcc_lo
	s_cbranch_execz .LBB252_25
; %bb.8:
	s_load_b256 s[4:11], s[2:3], 0x18
	v_ashrrev_i32_e32 v9, 31, v8
	v_and_b32_e32 v25, 63, v10
	s_cmp_lg_u32 s1, 0
	s_delay_alu instid0(VALU_DEP_2) | instskip(SKIP_1) | instid1(VALU_DEP_1)
	v_lshlrev_b64 v[11:12], 2, v[8:9]
	s_waitcnt lgkmcnt(0)
	v_add_co_u32 v11, vcc_lo, s4, v11
	s_delay_alu instid0(VALU_DEP_2) | instskip(SKIP_4) | instid1(VALU_DEP_2)
	v_add_co_ci_u32_e32 v12, vcc_lo, s5, v12, vcc_lo
	global_load_b64 v[11:12], v[11:12], off
	s_waitcnt vmcnt(0)
	v_subrev_nc_u32_e32 v9, s12, v11
	v_subrev_nc_u32_e32 v24, s12, v12
	v_add_nc_u32_e32 v9, v9, v25
	s_delay_alu instid0(VALU_DEP_1)
	v_cmp_lt_i32_e64 s0, v9, v24
	s_cbranch_scc0 .LBB252_14
; %bb.9:
	v_mov_b32_e32 v11, 0
	v_mov_b32_e32 v12, 0
	s_delay_alu instid0(VALU_DEP_1)
	v_dual_mov_b32 v14, v12 :: v_dual_mov_b32 v13, v11
	v_dual_mov_b32 v16, v12 :: v_dual_mov_b32 v15, v11
	;; [unrolled: 1-line block ×3, first 2 shown]
	s_and_saveexec_b32 s1, s0
	s_cbranch_execz .LBB252_13
; %bb.10:
	v_dual_mov_b32 v11, 0 :: v_dual_mov_b32 v22, v9
	v_dual_mov_b32 v12, 0 :: v_dual_mov_b32 v21, 0
	v_mad_u64_u32 v[19:20], null, v9, 12, 10
	s_mov_b32 s4, 0
	s_delay_alu instid0(VALU_DEP_2)
	v_dual_mov_b32 v14, v12 :: v_dual_mov_b32 v13, v11
	v_dual_mov_b32 v16, v12 :: v_dual_mov_b32 v15, v11
	v_dual_mov_b32 v18, v12 :: v_dual_mov_b32 v17, v11
.LBB252_11:                             ; =>This Inner Loop Header: Depth=1
	v_ashrrev_i32_e32 v23, 31, v22
	v_dual_mov_b32 v75, v21 :: v_dual_add_nc_u32 v20, -10, v19
	s_delay_alu instid0(VALU_DEP_2) | instskip(SKIP_1) | instid1(VALU_DEP_2)
	v_lshlrev_b64 v[26:27], 2, v[22:23]
	v_add_nc_u32_e32 v22, 64, v22
	v_add_co_u32 v26, vcc_lo, s6, v26
	s_delay_alu instid0(VALU_DEP_3) | instskip(SKIP_3) | instid1(VALU_DEP_1)
	v_add_co_ci_u32_e32 v27, vcc_lo, s7, v27, vcc_lo
	global_load_b32 v10, v[26:27], off
	v_lshlrev_b64 v[26:27], 4, v[20:21]
	v_add_nc_u32_e32 v20, -6, v19
	v_lshlrev_b64 v[50:51], 4, v[20:21]
	s_delay_alu instid0(VALU_DEP_3) | instskip(NEXT) | instid1(VALU_DEP_4)
	v_add_co_u32 v46, vcc_lo, s8, v26
	v_add_co_ci_u32_e32 v47, vcc_lo, s9, v27, vcc_lo
	global_load_b128 v[26:29], v[46:47], off offset:16
	s_waitcnt vmcnt(1)
	v_subrev_nc_u32_e32 v10, s12, v10
	s_delay_alu instid0(VALU_DEP_1) | instskip(NEXT) | instid1(VALU_DEP_1)
	v_mul_lo_u32 v74, v10, 6
	v_lshlrev_b64 v[30:31], 4, v[74:75]
	v_add_nc_u32_e32 v20, 2, v74
	s_delay_alu instid0(VALU_DEP_1) | instskip(NEXT) | instid1(VALU_DEP_3)
	v_lshlrev_b64 v[56:57], 4, v[20:21]
	v_add_co_u32 v38, vcc_lo, s10, v30
	s_delay_alu instid0(VALU_DEP_4)
	v_add_co_ci_u32_e32 v39, vcc_lo, s11, v31, vcc_lo
	v_add_co_u32 v54, vcc_lo, s8, v50
	global_load_b128 v[30:33], v[46:47], off
	s_clause 0x1
	global_load_b128 v[34:37], v[38:39], off
	global_load_b128 v[38:41], v[38:39], off offset:16
	s_clause 0x1
	global_load_b128 v[42:45], v[46:47], off offset:32
	global_load_b128 v[46:49], v[46:47], off offset:48
	v_add_co_ci_u32_e32 v55, vcc_lo, s9, v51, vcc_lo
	v_add_co_u32 v62, vcc_lo, s10, v56
	v_add_co_ci_u32_e32 v63, vcc_lo, s11, v57, vcc_lo
	s_clause 0x1
	global_load_b128 v[50:53], v[54:55], off offset:16
	global_load_b128 v[54:57], v[54:55], off
	s_clause 0x1
	global_load_b128 v[58:61], v[62:63], off
	global_load_b128 v[62:65], v[62:63], off offset:16
	v_add_nc_u32_e32 v20, -4, v19
	s_delay_alu instid0(VALU_DEP_1) | instskip(SKIP_1) | instid1(VALU_DEP_2)
	v_lshlrev_b64 v[66:67], 4, v[20:21]
	v_add_nc_u32_e32 v20, -2, v19
	v_add_co_u32 v70, vcc_lo, s8, v66
	s_delay_alu instid0(VALU_DEP_3)
	v_add_co_ci_u32_e32 v71, vcc_lo, s9, v67, vcc_lo
	s_clause 0x1
	global_load_b128 v[66:69], v[70:71], off
	global_load_b128 v[70:73], v[70:71], off offset:16
	v_lshlrev_b64 v[75:76], 4, v[20:21]
	v_add_nc_u32_e32 v20, 4, v74
	s_delay_alu instid0(VALU_DEP_1) | instskip(NEXT) | instid1(VALU_DEP_3)
	v_lshlrev_b64 v[77:78], 4, v[20:21]
	v_add_co_u32 v79, vcc_lo, s8, v75
	s_delay_alu instid0(VALU_DEP_4) | instskip(SKIP_1) | instid1(VALU_DEP_4)
	v_add_co_ci_u32_e32 v80, vcc_lo, s9, v76, vcc_lo
	v_mov_b32_e32 v20, v21
	v_add_co_u32 v86, vcc_lo, s10, v77
	v_add_co_ci_u32_e32 v87, vcc_lo, s11, v78, vcc_lo
	s_clause 0x1
	global_load_b128 v[74:77], v[79:80], off offset:16
	global_load_b128 v[78:81], v[79:80], off
	s_clause 0x1
	global_load_b128 v[82:85], v[86:87], off
	global_load_b128 v[86:89], v[86:87], off offset:16
	s_waitcnt vmcnt(13)
	v_fma_f64 v[13:14], v[30:31], v[34:35], v[13:14]
	v_fma_f64 v[10:11], v[32:33], v[34:35], v[11:12]
	;; [unrolled: 1-line block ×4, first 2 shown]
	s_delay_alu instid0(VALU_DEP_4) | instskip(NEXT) | instid1(VALU_DEP_4)
	v_fma_f64 v[32:33], -v[32:33], v[36:37], v[13:14]
	v_fma_f64 v[30:31], v[30:31], v[36:37], v[10:11]
	s_delay_alu instid0(VALU_DEP_4) | instskip(NEXT) | instid1(VALU_DEP_4)
	v_fma_f64 v[14:15], -v[28:29], v[36:37], v[15:16]
	v_fma_f64 v[16:17], v[26:27], v[36:37], v[17:18]
	v_lshlrev_b64 v[10:11], 4, v[19:20]
	v_add_nc_u32_e32 v19, 0x300, v19
	s_delay_alu instid0(VALU_DEP_2) | instskip(NEXT) | instid1(VALU_DEP_3)
	v_add_co_u32 v26, vcc_lo, s8, v10
	v_add_co_ci_u32_e32 v27, vcc_lo, s9, v11, vcc_lo
	s_clause 0x1
	global_load_b128 v[10:13], v[26:27], off
	global_load_b128 v[26:29], v[26:27], off offset:16
	v_cmp_ge_i32_e32 vcc_lo, v22, v24
	s_or_b32 s4, vcc_lo, s4
	s_waitcnt vmcnt(13)
	v_fma_f64 v[32:33], v[42:43], v[38:39], v[32:33]
	v_fma_f64 v[30:31], v[44:45], v[38:39], v[30:31]
	s_waitcnt vmcnt(12)
	v_fma_f64 v[14:15], v[46:47], v[38:39], v[14:15]
	v_fma_f64 v[16:17], v[48:49], v[38:39], v[16:17]
	s_delay_alu instid0(VALU_DEP_4) | instskip(NEXT) | instid1(VALU_DEP_4)
	v_fma_f64 v[32:33], -v[44:45], v[40:41], v[32:33]
	v_fma_f64 v[30:31], v[42:43], v[40:41], v[30:31]
	s_delay_alu instid0(VALU_DEP_4) | instskip(NEXT) | instid1(VALU_DEP_4)
	v_fma_f64 v[14:15], -v[48:49], v[40:41], v[14:15]
	v_fma_f64 v[16:17], v[46:47], v[40:41], v[16:17]
	s_waitcnt vmcnt(9)
	s_delay_alu instid0(VALU_DEP_4) | instskip(NEXT) | instid1(VALU_DEP_4)
	v_fma_f64 v[32:33], v[54:55], v[58:59], v[32:33]
	v_fma_f64 v[30:31], v[56:57], v[58:59], v[30:31]
	s_delay_alu instid0(VALU_DEP_4) | instskip(NEXT) | instid1(VALU_DEP_4)
	v_fma_f64 v[14:15], v[50:51], v[58:59], v[14:15]
	v_fma_f64 v[16:17], v[52:53], v[58:59], v[16:17]
	s_delay_alu instid0(VALU_DEP_4) | instskip(NEXT) | instid1(VALU_DEP_4)
	v_fma_f64 v[32:33], -v[56:57], v[60:61], v[32:33]
	v_fma_f64 v[30:31], v[54:55], v[60:61], v[30:31]
	s_delay_alu instid0(VALU_DEP_4) | instskip(NEXT) | instid1(VALU_DEP_4)
	v_fma_f64 v[14:15], -v[52:53], v[60:61], v[14:15]
	v_fma_f64 v[16:17], v[50:51], v[60:61], v[16:17]
	s_waitcnt vmcnt(7)
	s_delay_alu instid0(VALU_DEP_4) | instskip(NEXT) | instid1(VALU_DEP_4)
	v_fma_f64 v[32:33], v[66:67], v[62:63], v[32:33]
	v_fma_f64 v[30:31], v[68:69], v[62:63], v[30:31]
	s_waitcnt vmcnt(6)
	s_delay_alu instid0(VALU_DEP_4) | instskip(NEXT) | instid1(VALU_DEP_4)
	v_fma_f64 v[14:15], v[70:71], v[62:63], v[14:15]
	v_fma_f64 v[16:17], v[72:73], v[62:63], v[16:17]
	s_delay_alu instid0(VALU_DEP_4) | instskip(NEXT) | instid1(VALU_DEP_4)
	v_fma_f64 v[32:33], -v[68:69], v[64:65], v[32:33]
	v_fma_f64 v[30:31], v[66:67], v[64:65], v[30:31]
	s_delay_alu instid0(VALU_DEP_4) | instskip(NEXT) | instid1(VALU_DEP_4)
	v_fma_f64 v[14:15], -v[72:73], v[64:65], v[14:15]
	v_fma_f64 v[16:17], v[70:71], v[64:65], v[16:17]
	s_waitcnt vmcnt(3)
	s_delay_alu instid0(VALU_DEP_4) | instskip(NEXT) | instid1(VALU_DEP_4)
	v_fma_f64 v[32:33], v[78:79], v[82:83], v[32:33]
	v_fma_f64 v[30:31], v[80:81], v[82:83], v[30:31]
	s_delay_alu instid0(VALU_DEP_4) | instskip(NEXT) | instid1(VALU_DEP_4)
	v_fma_f64 v[14:15], v[74:75], v[82:83], v[14:15]
	v_fma_f64 v[16:17], v[76:77], v[82:83], v[16:17]
	s_delay_alu instid0(VALU_DEP_4) | instskip(NEXT) | instid1(VALU_DEP_4)
	v_fma_f64 v[32:33], -v[80:81], v[84:85], v[32:33]
	v_fma_f64 v[30:31], v[78:79], v[84:85], v[30:31]
	s_delay_alu instid0(VALU_DEP_4) | instskip(NEXT) | instid1(VALU_DEP_4)
	v_fma_f64 v[14:15], -v[76:77], v[84:85], v[14:15]
	v_fma_f64 v[16:17], v[74:75], v[84:85], v[16:17]
	s_waitcnt vmcnt(1)
	s_delay_alu instid0(VALU_DEP_4) | instskip(NEXT) | instid1(VALU_DEP_4)
	v_fma_f64 v[32:33], v[10:11], v[86:87], v[32:33]
	v_fma_f64 v[30:31], v[12:13], v[86:87], v[30:31]
	s_waitcnt vmcnt(0)
	s_delay_alu instid0(VALU_DEP_4) | instskip(NEXT) | instid1(VALU_DEP_4)
	v_fma_f64 v[34:35], v[26:27], v[86:87], v[14:15]
	v_fma_f64 v[17:18], v[28:29], v[86:87], v[16:17]
	s_delay_alu instid0(VALU_DEP_4) | instskip(NEXT) | instid1(VALU_DEP_4)
	v_fma_f64 v[13:14], -v[12:13], v[88:89], v[32:33]
	v_fma_f64 v[11:12], v[10:11], v[88:89], v[30:31]
	s_delay_alu instid0(VALU_DEP_4) | instskip(NEXT) | instid1(VALU_DEP_4)
	v_fma_f64 v[15:16], -v[28:29], v[88:89], v[34:35]
	v_fma_f64 v[17:18], v[26:27], v[88:89], v[17:18]
	s_and_not1_b32 exec_lo, exec_lo, s4
	s_cbranch_execnz .LBB252_11
; %bb.12:
	s_or_b32 exec_lo, exec_lo, s4
.LBB252_13:
	s_delay_alu instid0(SALU_CYCLE_1)
	s_or_b32 exec_lo, exec_lo, s1
	s_cbranch_execz .LBB252_15
	s_branch .LBB252_20
.LBB252_14:
                                        ; implicit-def: $vgpr11_vgpr12
                                        ; implicit-def: $vgpr13_vgpr14
                                        ; implicit-def: $vgpr15_vgpr16
                                        ; implicit-def: $vgpr17_vgpr18
.LBB252_15:
	v_mov_b32_e32 v11, 0
	v_mov_b32_e32 v12, 0
	s_delay_alu instid0(VALU_DEP_1)
	v_dual_mov_b32 v14, v12 :: v_dual_mov_b32 v13, v11
	v_dual_mov_b32 v16, v12 :: v_dual_mov_b32 v15, v11
	;; [unrolled: 1-line block ×3, first 2 shown]
	s_and_saveexec_b32 s1, s0
	s_cbranch_execz .LBB252_19
; %bb.16:
	v_mov_b32_e32 v11, 0
	v_dual_mov_b32 v12, 0 :: v_dual_mov_b32 v21, 0
	v_mad_u64_u32 v[19:20], null, v9, 12, 11
	s_mov_b32 s0, 0
	s_delay_alu instid0(VALU_DEP_2)
	v_dual_mov_b32 v14, v12 :: v_dual_mov_b32 v13, v11
	v_dual_mov_b32 v16, v12 :: v_dual_mov_b32 v15, v11
	;; [unrolled: 1-line block ×3, first 2 shown]
.LBB252_17:                             ; =>This Inner Loop Header: Depth=1
	v_ashrrev_i32_e32 v10, 31, v9
	v_dual_mov_b32 v75, v21 :: v_dual_add_nc_u32 v20, -11, v19
	s_delay_alu instid0(VALU_DEP_2) | instskip(NEXT) | instid1(VALU_DEP_2)
	v_lshlrev_b64 v[22:23], 2, v[9:10]
	v_lshlrev_b64 v[26:27], 4, v[20:21]
	v_add_nc_u32_e32 v20, -4, v19
	v_add_nc_u32_e32 v9, 64, v9
	s_delay_alu instid0(VALU_DEP_4)
	v_add_co_u32 v22, vcc_lo, s6, v22
	v_add_co_ci_u32_e32 v23, vcc_lo, s7, v23, vcc_lo
	v_add_co_u32 v54, vcc_lo, s8, v26
	v_add_co_ci_u32_e32 v55, vcc_lo, s9, v27, vcc_lo
	global_load_b32 v10, v[22:23], off
	v_dual_mov_b32 v23, v21 :: v_dual_add_nc_u32 v22, -5, v19
	s_clause 0x1
	global_load_b128 v[26:29], v[54:55], off offset:16
	global_load_b128 v[30:33], v[54:55], off
	v_lshlrev_b64 v[22:23], 4, v[22:23]
	s_delay_alu instid0(VALU_DEP_1) | instskip(NEXT) | instid1(VALU_DEP_2)
	v_add_co_u32 v22, vcc_lo, s8, v22
	v_add_co_ci_u32_e32 v23, vcc_lo, s9, v23, vcc_lo
	s_waitcnt vmcnt(2)
	v_subrev_nc_u32_e32 v10, s12, v10
	s_delay_alu instid0(VALU_DEP_1) | instskip(NEXT) | instid1(VALU_DEP_1)
	v_mul_lo_u32 v74, v10, 6
	v_lshlrev_b64 v[34:35], 4, v[74:75]
	s_delay_alu instid0(VALU_DEP_1) | instskip(NEXT) | instid1(VALU_DEP_2)
	v_add_co_u32 v42, vcc_lo, s10, v34
	v_add_co_ci_u32_e32 v43, vcc_lo, s11, v35, vcc_lo
	global_load_b128 v[34:37], v[22:23], off
	s_clause 0x1
	global_load_b128 v[38:41], v[42:43], off
	global_load_b128 v[42:45], v[42:43], off offset:16
	v_lshlrev_b64 v[22:23], 4, v[20:21]
	v_add_nc_u32_e32 v20, 2, v74
	global_load_b128 v[50:53], v[54:55], off offset:48
	v_add_co_u32 v22, vcc_lo, s8, v22
	v_add_co_ci_u32_e32 v23, vcc_lo, s9, v23, vcc_lo
	global_load_b128 v[46:49], v[22:23], off
	v_lshlrev_b64 v[22:23], 4, v[20:21]
	v_add_nc_u32_e32 v20, -3, v19
	s_delay_alu instid0(VALU_DEP_1) | instskip(NEXT) | instid1(VALU_DEP_3)
	v_lshlrev_b64 v[56:57], 4, v[20:21]
	v_add_co_u32 v22, vcc_lo, s10, v22
	s_delay_alu instid0(VALU_DEP_4) | instskip(SKIP_1) | instid1(VALU_DEP_4)
	v_add_co_ci_u32_e32 v23, vcc_lo, s11, v23, vcc_lo
	v_add_nc_u32_e32 v20, -2, v19
	v_add_co_u32 v66, vcc_lo, s8, v56
	v_add_co_ci_u32_e32 v67, vcc_lo, s9, v57, vcc_lo
	global_load_b128 v[54:57], v[54:55], off offset:32
	s_clause 0x1
	global_load_b128 v[58:61], v[22:23], off
	global_load_b128 v[62:65], v[22:23], off offset:16
	global_load_b128 v[66:69], v[66:67], off
	v_lshlrev_b64 v[22:23], 4, v[20:21]
	v_add_nc_u32_e32 v20, -7, v19
	s_delay_alu instid0(VALU_DEP_2) | instskip(NEXT) | instid1(VALU_DEP_3)
	v_add_co_u32 v22, vcc_lo, s8, v22
	v_add_co_ci_u32_e32 v23, vcc_lo, s9, v23, vcc_lo
	global_load_b128 v[70:73], v[22:23], off
	v_lshlrev_b64 v[22:23], 4, v[20:21]
	v_add_nc_u32_e32 v20, 4, v74
	s_delay_alu instid0(VALU_DEP_1) | instskip(SKIP_1) | instid1(VALU_DEP_4)
	v_lshlrev_b64 v[74:75], 4, v[20:21]
	v_add_nc_u32_e32 v20, -1, v19
	v_add_co_u32 v22, vcc_lo, s8, v22
	v_add_co_ci_u32_e32 v23, vcc_lo, s9, v23, vcc_lo
	s_delay_alu instid0(VALU_DEP_3) | instskip(SKIP_3) | instid1(VALU_DEP_4)
	v_lshlrev_b64 v[76:77], 4, v[20:21]
	v_add_co_u32 v82, vcc_lo, s10, v74
	v_add_co_ci_u32_e32 v83, vcc_lo, s11, v75, vcc_lo
	v_mov_b32_e32 v20, v21
	v_add_co_u32 v86, vcc_lo, s8, v76
	v_add_co_ci_u32_e32 v87, vcc_lo, s9, v77, vcc_lo
	global_load_b128 v[74:77], v[22:23], off
	s_clause 0x1
	global_load_b128 v[78:81], v[82:83], off
	global_load_b128 v[82:85], v[82:83], off offset:16
	global_load_b128 v[86:89], v[86:87], off
	v_lshlrev_b64 v[22:23], 4, v[19:20]
	v_add_nc_u32_e32 v20, -6, v19
	v_add_nc_u32_e32 v19, 0x300, v19
	s_delay_alu instid0(VALU_DEP_3) | instskip(NEXT) | instid1(VALU_DEP_4)
	v_add_co_u32 v22, vcc_lo, s8, v22
	v_add_co_ci_u32_e32 v23, vcc_lo, s9, v23, vcc_lo
	s_waitcnt vmcnt(12)
	v_fma_f64 v[13:14], v[30:31], v[38:39], v[13:14]
	v_fma_f64 v[10:11], v[32:33], v[38:39], v[11:12]
	;; [unrolled: 1-line block ×4, first 2 shown]
	s_delay_alu instid0(VALU_DEP_4) | instskip(NEXT) | instid1(VALU_DEP_4)
	v_fma_f64 v[38:39], -v[32:33], v[40:41], v[13:14]
	v_fma_f64 v[90:91], v[30:31], v[40:41], v[10:11]
	s_delay_alu instid0(VALU_DEP_4) | instskip(NEXT) | instid1(VALU_DEP_4)
	v_fma_f64 v[14:15], -v[36:37], v[40:41], v[15:16]
	v_fma_f64 v[16:17], v[34:35], v[40:41], v[17:18]
	v_lshlrev_b64 v[10:11], 4, v[20:21]
	s_delay_alu instid0(VALU_DEP_1) | instskip(NEXT) | instid1(VALU_DEP_2)
	v_add_co_u32 v10, vcc_lo, s8, v10
	v_add_co_ci_u32_e32 v11, vcc_lo, s9, v11, vcc_lo
	s_clause 0x1
	global_load_b128 v[30:33], v[22:23], off
	global_load_b128 v[10:13], v[10:11], off
	v_cmp_ge_i32_e32 vcc_lo, v9, v24
	s_or_b32 s0, vcc_lo, s0
	s_waitcnt vmcnt(13)
	v_fma_f64 v[22:23], v[26:27], v[42:43], v[38:39]
	v_fma_f64 v[34:35], v[28:29], v[42:43], v[90:91]
	s_waitcnt vmcnt(11)
	v_fma_f64 v[14:15], v[46:47], v[42:43], v[14:15]
	v_fma_f64 v[16:17], v[48:49], v[42:43], v[16:17]
	s_delay_alu instid0(VALU_DEP_4) | instskip(NEXT) | instid1(VALU_DEP_4)
	v_fma_f64 v[22:23], -v[28:29], v[44:45], v[22:23]
	v_fma_f64 v[26:27], v[26:27], v[44:45], v[34:35]
	s_delay_alu instid0(VALU_DEP_4) | instskip(NEXT) | instid1(VALU_DEP_4)
	v_fma_f64 v[14:15], -v[48:49], v[44:45], v[14:15]
	v_fma_f64 v[16:17], v[46:47], v[44:45], v[16:17]
	s_waitcnt vmcnt(9)
	s_delay_alu instid0(VALU_DEP_4) | instskip(NEXT) | instid1(VALU_DEP_4)
	v_fma_f64 v[22:23], v[54:55], v[58:59], v[22:23]
	v_fma_f64 v[26:27], v[56:57], v[58:59], v[26:27]
	s_waitcnt vmcnt(7)
	s_delay_alu instid0(VALU_DEP_4) | instskip(NEXT) | instid1(VALU_DEP_4)
	v_fma_f64 v[14:15], v[66:67], v[58:59], v[14:15]
	v_fma_f64 v[16:17], v[68:69], v[58:59], v[16:17]
	s_delay_alu instid0(VALU_DEP_4) | instskip(NEXT) | instid1(VALU_DEP_4)
	v_fma_f64 v[22:23], -v[56:57], v[60:61], v[22:23]
	v_fma_f64 v[26:27], v[54:55], v[60:61], v[26:27]
	s_delay_alu instid0(VALU_DEP_4) | instskip(NEXT) | instid1(VALU_DEP_4)
	v_fma_f64 v[14:15], -v[68:69], v[60:61], v[14:15]
	v_fma_f64 v[16:17], v[66:67], v[60:61], v[16:17]
	s_delay_alu instid0(VALU_DEP_4) | instskip(NEXT) | instid1(VALU_DEP_4)
	v_fma_f64 v[22:23], v[50:51], v[62:63], v[22:23]
	v_fma_f64 v[26:27], v[52:53], v[62:63], v[26:27]
	s_waitcnt vmcnt(6)
	s_delay_alu instid0(VALU_DEP_4) | instskip(NEXT) | instid1(VALU_DEP_4)
	v_fma_f64 v[14:15], v[70:71], v[62:63], v[14:15]
	v_fma_f64 v[16:17], v[72:73], v[62:63], v[16:17]
	s_delay_alu instid0(VALU_DEP_4) | instskip(NEXT) | instid1(VALU_DEP_4)
	v_fma_f64 v[22:23], -v[52:53], v[64:65], v[22:23]
	v_fma_f64 v[26:27], v[50:51], v[64:65], v[26:27]
	s_delay_alu instid0(VALU_DEP_4) | instskip(NEXT) | instid1(VALU_DEP_4)
	v_fma_f64 v[14:15], -v[72:73], v[64:65], v[14:15]
	v_fma_f64 v[16:17], v[70:71], v[64:65], v[16:17]
	s_waitcnt vmcnt(4)
	s_delay_alu instid0(VALU_DEP_4) | instskip(NEXT) | instid1(VALU_DEP_4)
	v_fma_f64 v[22:23], v[74:75], v[78:79], v[22:23]
	v_fma_f64 v[26:27], v[76:77], v[78:79], v[26:27]
	s_waitcnt vmcnt(2)
	s_delay_alu instid0(VALU_DEP_4) | instskip(NEXT) | instid1(VALU_DEP_4)
	v_fma_f64 v[14:15], v[86:87], v[78:79], v[14:15]
	v_fma_f64 v[16:17], v[88:89], v[78:79], v[16:17]
	s_delay_alu instid0(VALU_DEP_4) | instskip(NEXT) | instid1(VALU_DEP_4)
	v_fma_f64 v[22:23], -v[76:77], v[80:81], v[22:23]
	v_fma_f64 v[26:27], v[74:75], v[80:81], v[26:27]
	s_delay_alu instid0(VALU_DEP_4) | instskip(NEXT) | instid1(VALU_DEP_4)
	v_fma_f64 v[14:15], -v[88:89], v[80:81], v[14:15]
	v_fma_f64 v[16:17], v[86:87], v[80:81], v[16:17]
	s_waitcnt vmcnt(0)
	s_delay_alu instid0(VALU_DEP_4) | instskip(NEXT) | instid1(VALU_DEP_4)
	v_fma_f64 v[22:23], v[10:11], v[82:83], v[22:23]
	v_fma_f64 v[26:27], v[12:13], v[82:83], v[26:27]
	s_delay_alu instid0(VALU_DEP_4) | instskip(NEXT) | instid1(VALU_DEP_4)
	v_fma_f64 v[28:29], v[30:31], v[82:83], v[14:15]
	v_fma_f64 v[17:18], v[32:33], v[82:83], v[16:17]
	s_delay_alu instid0(VALU_DEP_4) | instskip(NEXT) | instid1(VALU_DEP_4)
	v_fma_f64 v[13:14], -v[12:13], v[84:85], v[22:23]
	v_fma_f64 v[11:12], v[10:11], v[84:85], v[26:27]
	s_delay_alu instid0(VALU_DEP_4) | instskip(NEXT) | instid1(VALU_DEP_4)
	v_fma_f64 v[15:16], -v[32:33], v[84:85], v[28:29]
	v_fma_f64 v[17:18], v[30:31], v[84:85], v[17:18]
	s_and_not1_b32 exec_lo, exec_lo, s0
	s_cbranch_execnz .LBB252_17
; %bb.18:
	s_or_b32 exec_lo, exec_lo, s0
.LBB252_19:
	s_delay_alu instid0(SALU_CYCLE_1)
	s_or_b32 exec_lo, exec_lo, s1
.LBB252_20:
	v_mbcnt_lo_u32_b32 v26, -1, 0
	s_delay_alu instid0(VALU_DEP_1) | instskip(NEXT) | instid1(VALU_DEP_1)
	v_or_b32_e32 v9, 32, v26
	v_cmp_gt_i32_e32 vcc_lo, 32, v9
	v_cndmask_b32_e32 v9, v26, v9, vcc_lo
	s_delay_alu instid0(VALU_DEP_1)
	v_lshlrev_b32_e32 v24, 2, v9
	ds_bpermute_b32 v9, v24, v13
	ds_bpermute_b32 v10, v24, v14
	;; [unrolled: 1-line block ×8, first 2 shown]
	s_waitcnt lgkmcnt(6)
	v_add_f64 v[9:10], v[13:14], v[9:10]
	s_waitcnt lgkmcnt(4)
	v_add_f64 v[11:12], v[11:12], v[19:20]
	;; [unrolled: 2-line block ×4, first 2 shown]
	v_xor_b32_e32 v17, 16, v26
	s_delay_alu instid0(VALU_DEP_1) | instskip(SKIP_1) | instid1(VALU_DEP_1)
	v_cmp_gt_i32_e32 vcc_lo, 32, v17
	v_cndmask_b32_e32 v17, v26, v17, vcc_lo
	v_lshlrev_b32_e32 v24, 2, v17
	ds_bpermute_b32 v17, v24, v9
	ds_bpermute_b32 v18, v24, v10
	;; [unrolled: 1-line block ×8, first 2 shown]
	s_waitcnt lgkmcnt(6)
	v_add_f64 v[9:10], v[9:10], v[17:18]
	v_xor_b32_e32 v17, 8, v26
	s_waitcnt lgkmcnt(4)
	v_add_f64 v[11:12], v[11:12], v[19:20]
	s_waitcnt lgkmcnt(2)
	v_add_f64 v[13:14], v[13:14], v[21:22]
	;; [unrolled: 2-line block ×3, first 2 shown]
	v_cmp_gt_i32_e32 vcc_lo, 32, v17
	v_cndmask_b32_e32 v17, v26, v17, vcc_lo
	s_delay_alu instid0(VALU_DEP_1)
	v_lshlrev_b32_e32 v24, 2, v17
	ds_bpermute_b32 v17, v24, v9
	ds_bpermute_b32 v18, v24, v10
	;; [unrolled: 1-line block ×8, first 2 shown]
	s_waitcnt lgkmcnt(6)
	v_add_f64 v[9:10], v[9:10], v[17:18]
	v_xor_b32_e32 v17, 4, v26
	s_waitcnt lgkmcnt(4)
	v_add_f64 v[11:12], v[11:12], v[19:20]
	s_waitcnt lgkmcnt(2)
	v_add_f64 v[13:14], v[13:14], v[21:22]
	;; [unrolled: 2-line block ×3, first 2 shown]
	v_cmp_gt_i32_e32 vcc_lo, 32, v17
	v_cndmask_b32_e32 v17, v26, v17, vcc_lo
	s_delay_alu instid0(VALU_DEP_1)
	v_lshlrev_b32_e32 v24, 2, v17
	ds_bpermute_b32 v17, v24, v9
	ds_bpermute_b32 v18, v24, v10
	;; [unrolled: 1-line block ×8, first 2 shown]
	s_waitcnt lgkmcnt(6)
	v_add_f64 v[9:10], v[9:10], v[17:18]
	s_waitcnt lgkmcnt(4)
	v_add_f64 v[11:12], v[11:12], v[19:20]
	;; [unrolled: 2-line block ×4, first 2 shown]
	v_xor_b32_e32 v15, 2, v26
	s_delay_alu instid0(VALU_DEP_1) | instskip(SKIP_1) | instid1(VALU_DEP_1)
	v_cmp_gt_i32_e32 vcc_lo, 32, v15
	v_cndmask_b32_e32 v15, v26, v15, vcc_lo
	v_lshlrev_b32_e32 v24, 2, v15
	ds_bpermute_b32 v15, v24, v9
	ds_bpermute_b32 v16, v24, v10
	;; [unrolled: 1-line block ×8, first 2 shown]
	s_waitcnt lgkmcnt(6)
	v_add_f64 v[9:10], v[9:10], v[15:16]
	s_waitcnt lgkmcnt(4)
	v_add_f64 v[15:16], v[11:12], v[19:20]
	;; [unrolled: 2-line block ×4, first 2 shown]
	v_xor_b32_e32 v17, 1, v26
	s_delay_alu instid0(VALU_DEP_1) | instskip(SKIP_2) | instid1(VALU_DEP_2)
	v_cmp_gt_i32_e32 vcc_lo, 32, v17
	v_cndmask_b32_e32 v17, v26, v17, vcc_lo
	v_cmp_eq_u32_e32 vcc_lo, 63, v25
	v_lshlrev_b32_e32 v20, 2, v17
	ds_bpermute_b32 v23, v20, v9
	ds_bpermute_b32 v24, v20, v10
	ds_bpermute_b32 v21, v20, v15
	ds_bpermute_b32 v22, v20, v16
	ds_bpermute_b32 v17, v20, v11
	ds_bpermute_b32 v18, v20, v12
	ds_bpermute_b32 v19, v20, v13
	ds_bpermute_b32 v20, v20, v14
	s_and_b32 exec_lo, exec_lo, vcc_lo
	s_cbranch_execz .LBB252_25
; %bb.21:
	v_cmp_eq_f64_e32 vcc_lo, 0, v[4:5]
	v_cmp_eq_f64_e64 s0, 0, v[6:7]
	s_waitcnt lgkmcnt(6)
	v_add_f64 v[9:10], v[9:10], v[23:24]
	s_waitcnt lgkmcnt(4)
	v_add_f64 v[15:16], v[15:16], v[21:22]
	;; [unrolled: 2-line block ×4, first 2 shown]
	s_load_b64 s[2:3], s[2:3], 0x48
	s_and_b32 s0, vcc_lo, s0
	s_delay_alu instid0(SALU_CYCLE_1) | instskip(NEXT) | instid1(SALU_CYCLE_1)
	s_and_saveexec_b32 s1, s0
	s_xor_b32 s0, exec_lo, s1
	s_cbranch_execz .LBB252_23
; %bb.22:
	s_delay_alu instid0(VALU_DEP_3) | instskip(SKIP_1) | instid1(VALU_DEP_3)
	v_mul_f64 v[4:5], v[15:16], -v[2:3]
	v_mul_f64 v[6:7], v[0:1], v[15:16]
	v_mul_f64 v[15:16], v[13:14], -v[2:3]
	v_mul_f64 v[13:14], v[0:1], v[13:14]
	v_lshlrev_b32_e32 v8, 1, v8
	v_fma_f64 v[4:5], v[0:1], v[9:10], v[4:5]
	v_fma_f64 v[6:7], v[2:3], v[9:10], v[6:7]
	;; [unrolled: 1-line block ×4, first 2 shown]
	v_ashrrev_i32_e32 v9, 31, v8
                                        ; implicit-def: $vgpr15_vgpr16
                                        ; implicit-def: $vgpr11_vgpr12
                                        ; implicit-def: $vgpr13_vgpr14
	s_delay_alu instid0(VALU_DEP_1) | instskip(SKIP_1) | instid1(VALU_DEP_1)
	v_lshlrev_b64 v[8:9], 4, v[8:9]
	s_waitcnt lgkmcnt(0)
	v_add_co_u32 v8, vcc_lo, s2, v8
	s_delay_alu instid0(VALU_DEP_2)
	v_add_co_ci_u32_e32 v9, vcc_lo, s3, v9, vcc_lo
	s_clause 0x1
	global_store_b128 v[8:9], v[4:7], off
	global_store_b128 v[8:9], v[0:3], off offset:16
                                        ; implicit-def: $vgpr0_vgpr1
                                        ; implicit-def: $vgpr2_vgpr3
                                        ; implicit-def: $vgpr4_vgpr5
                                        ; implicit-def: $vgpr6_vgpr7
                                        ; implicit-def: $vgpr8
                                        ; implicit-def: $vgpr9_vgpr10
.LBB252_23:
	s_and_not1_saveexec_b32 s0, s0
	s_cbranch_execz .LBB252_25
; %bb.24:
	v_lshlrev_b32_e32 v17, 1, v8
	s_delay_alu instid0(VALU_DEP_4) | instskip(SKIP_1) | instid1(VALU_DEP_4)
	v_mul_f64 v[27:28], v[15:16], -v[2:3]
	v_mul_f64 v[15:16], v[0:1], v[15:16]
	v_mul_f64 v[29:30], v[13:14], -v[2:3]
	v_mul_f64 v[13:14], v[0:1], v[13:14]
	v_ashrrev_i32_e32 v18, 31, v17
	s_delay_alu instid0(VALU_DEP_1) | instskip(SKIP_1) | instid1(VALU_DEP_1)
	v_lshlrev_b64 v[17:18], 4, v[17:18]
	s_waitcnt lgkmcnt(0)
	v_add_co_u32 v25, vcc_lo, s2, v17
	s_delay_alu instid0(VALU_DEP_2)
	v_add_co_ci_u32_e32 v26, vcc_lo, s3, v18, vcc_lo
	s_clause 0x1
	global_load_b128 v[17:20], v[25:26], off
	global_load_b128 v[21:24], v[25:26], off offset:16
	v_fma_f64 v[27:28], v[0:1], v[9:10], v[27:28]
	v_fma_f64 v[8:9], v[2:3], v[9:10], v[15:16]
	;; [unrolled: 1-line block ×4, first 2 shown]
	s_waitcnt vmcnt(1)
	s_delay_alu instid0(VALU_DEP_4) | instskip(NEXT) | instid1(VALU_DEP_4)
	v_fma_f64 v[10:11], v[4:5], v[17:18], v[27:28]
	v_fma_f64 v[8:9], v[6:7], v[17:18], v[8:9]
	s_waitcnt vmcnt(0)
	s_delay_alu instid0(VALU_DEP_4) | instskip(NEXT) | instid1(VALU_DEP_4)
	v_fma_f64 v[12:13], v[4:5], v[21:22], v[0:1]
	v_fma_f64 v[14:15], v[6:7], v[21:22], v[2:3]
	s_delay_alu instid0(VALU_DEP_4) | instskip(NEXT) | instid1(VALU_DEP_4)
	v_fma_f64 v[0:1], -v[6:7], v[19:20], v[10:11]
	v_fma_f64 v[2:3], v[4:5], v[19:20], v[8:9]
	s_delay_alu instid0(VALU_DEP_4) | instskip(NEXT) | instid1(VALU_DEP_4)
	v_fma_f64 v[6:7], -v[6:7], v[23:24], v[12:13]
	v_fma_f64 v[8:9], v[4:5], v[23:24], v[14:15]
	s_clause 0x1
	global_store_b128 v[25:26], v[0:3], off
	global_store_b128 v[25:26], v[6:9], off offset:16
.LBB252_25:
	s_nop 0
	s_sendmsg sendmsg(MSG_DEALLOC_VGPRS)
	s_endpgm
	.section	.rodata,"a",@progbits
	.p2align	6, 0x0
	.amdhsa_kernel _ZN9rocsparseL19gebsrmvn_2xn_kernelILj128ELj6ELj64E21rocsparse_complex_numIdEEEvi20rocsparse_direction_NS_24const_host_device_scalarIT2_EEPKiS8_PKS5_SA_S6_PS5_21rocsparse_index_base_b
		.amdhsa_group_segment_fixed_size 2048
		.amdhsa_private_segment_fixed_size 0
		.amdhsa_kernarg_size 88
		.amdhsa_user_sgpr_count 15
		.amdhsa_user_sgpr_dispatch_ptr 1
		.amdhsa_user_sgpr_queue_ptr 0
		.amdhsa_user_sgpr_kernarg_segment_ptr 1
		.amdhsa_user_sgpr_dispatch_id 0
		.amdhsa_user_sgpr_private_segment_size 0
		.amdhsa_wavefront_size32 1
		.amdhsa_uses_dynamic_stack 0
		.amdhsa_enable_private_segment 0
		.amdhsa_system_sgpr_workgroup_id_x 1
		.amdhsa_system_sgpr_workgroup_id_y 0
		.amdhsa_system_sgpr_workgroup_id_z 0
		.amdhsa_system_sgpr_workgroup_info 0
		.amdhsa_system_vgpr_workitem_id 2
		.amdhsa_next_free_vgpr 92
		.amdhsa_next_free_sgpr 18
		.amdhsa_reserve_vcc 1
		.amdhsa_float_round_mode_32 0
		.amdhsa_float_round_mode_16_64 0
		.amdhsa_float_denorm_mode_32 3
		.amdhsa_float_denorm_mode_16_64 3
		.amdhsa_dx10_clamp 1
		.amdhsa_ieee_mode 1
		.amdhsa_fp16_overflow 0
		.amdhsa_workgroup_processor_mode 1
		.amdhsa_memory_ordered 1
		.amdhsa_forward_progress 0
		.amdhsa_shared_vgpr_count 0
		.amdhsa_exception_fp_ieee_invalid_op 0
		.amdhsa_exception_fp_denorm_src 0
		.amdhsa_exception_fp_ieee_div_zero 0
		.amdhsa_exception_fp_ieee_overflow 0
		.amdhsa_exception_fp_ieee_underflow 0
		.amdhsa_exception_fp_ieee_inexact 0
		.amdhsa_exception_int_div_zero 0
	.end_amdhsa_kernel
	.section	.text._ZN9rocsparseL19gebsrmvn_2xn_kernelILj128ELj6ELj64E21rocsparse_complex_numIdEEEvi20rocsparse_direction_NS_24const_host_device_scalarIT2_EEPKiS8_PKS5_SA_S6_PS5_21rocsparse_index_base_b,"axG",@progbits,_ZN9rocsparseL19gebsrmvn_2xn_kernelILj128ELj6ELj64E21rocsparse_complex_numIdEEEvi20rocsparse_direction_NS_24const_host_device_scalarIT2_EEPKiS8_PKS5_SA_S6_PS5_21rocsparse_index_base_b,comdat
.Lfunc_end252:
	.size	_ZN9rocsparseL19gebsrmvn_2xn_kernelILj128ELj6ELj64E21rocsparse_complex_numIdEEEvi20rocsparse_direction_NS_24const_host_device_scalarIT2_EEPKiS8_PKS5_SA_S6_PS5_21rocsparse_index_base_b, .Lfunc_end252-_ZN9rocsparseL19gebsrmvn_2xn_kernelILj128ELj6ELj64E21rocsparse_complex_numIdEEEvi20rocsparse_direction_NS_24const_host_device_scalarIT2_EEPKiS8_PKS5_SA_S6_PS5_21rocsparse_index_base_b
                                        ; -- End function
	.section	.AMDGPU.csdata,"",@progbits
; Kernel info:
; codeLenInByte = 4004
; NumSgprs: 20
; NumVgprs: 92
; ScratchSize: 0
; MemoryBound: 0
; FloatMode: 240
; IeeeMode: 1
; LDSByteSize: 2048 bytes/workgroup (compile time only)
; SGPRBlocks: 2
; VGPRBlocks: 11
; NumSGPRsForWavesPerEU: 20
; NumVGPRsForWavesPerEU: 92
; Occupancy: 16
; WaveLimiterHint : 1
; COMPUTE_PGM_RSRC2:SCRATCH_EN: 0
; COMPUTE_PGM_RSRC2:USER_SGPR: 15
; COMPUTE_PGM_RSRC2:TRAP_HANDLER: 0
; COMPUTE_PGM_RSRC2:TGID_X_EN: 1
; COMPUTE_PGM_RSRC2:TGID_Y_EN: 0
; COMPUTE_PGM_RSRC2:TGID_Z_EN: 0
; COMPUTE_PGM_RSRC2:TIDIG_COMP_CNT: 2
	.section	.text._ZN9rocsparseL19gebsrmvn_2xn_kernelILj128ELj7ELj4E21rocsparse_complex_numIdEEEvi20rocsparse_direction_NS_24const_host_device_scalarIT2_EEPKiS8_PKS5_SA_S6_PS5_21rocsparse_index_base_b,"axG",@progbits,_ZN9rocsparseL19gebsrmvn_2xn_kernelILj128ELj7ELj4E21rocsparse_complex_numIdEEEvi20rocsparse_direction_NS_24const_host_device_scalarIT2_EEPKiS8_PKS5_SA_S6_PS5_21rocsparse_index_base_b,comdat
	.globl	_ZN9rocsparseL19gebsrmvn_2xn_kernelILj128ELj7ELj4E21rocsparse_complex_numIdEEEvi20rocsparse_direction_NS_24const_host_device_scalarIT2_EEPKiS8_PKS5_SA_S6_PS5_21rocsparse_index_base_b ; -- Begin function _ZN9rocsparseL19gebsrmvn_2xn_kernelILj128ELj7ELj4E21rocsparse_complex_numIdEEEvi20rocsparse_direction_NS_24const_host_device_scalarIT2_EEPKiS8_PKS5_SA_S6_PS5_21rocsparse_index_base_b
	.p2align	8
	.type	_ZN9rocsparseL19gebsrmvn_2xn_kernelILj128ELj7ELj4E21rocsparse_complex_numIdEEEvi20rocsparse_direction_NS_24const_host_device_scalarIT2_EEPKiS8_PKS5_SA_S6_PS5_21rocsparse_index_base_b,@function
_ZN9rocsparseL19gebsrmvn_2xn_kernelILj128ELj7ELj4E21rocsparse_complex_numIdEEEvi20rocsparse_direction_NS_24const_host_device_scalarIT2_EEPKiS8_PKS5_SA_S6_PS5_21rocsparse_index_base_b: ; @_ZN9rocsparseL19gebsrmvn_2xn_kernelILj128ELj7ELj4E21rocsparse_complex_numIdEEEvi20rocsparse_direction_NS_24const_host_device_scalarIT2_EEPKiS8_PKS5_SA_S6_PS5_21rocsparse_index_base_b
; %bb.0:
	s_load_b64 s[12:13], s[2:3], 0x50
	s_load_b64 s[16:17], s[0:1], 0x4
	s_load_b128 s[8:11], s[2:3], 0x8
	v_bfe_u32 v1, v0, 10, 10
	s_mov_b64 s[0:1], src_shared_base
	s_load_b128 s[4:7], s[2:3], 0x38
	v_and_b32_e32 v10, 0x3ff, v0
	v_bfe_u32 v0, v0, 20, 10
	s_waitcnt lgkmcnt(0)
	s_bitcmp1_b32 s13, 0
	v_mul_u32_u24_e32 v1, s17, v1
	s_cselect_b32 s0, -1, 0
	s_delay_alu instid0(SALU_CYCLE_1)
	s_and_b32 vcc_lo, s0, exec_lo
	s_cselect_b32 s13, s1, s9
	s_lshr_b32 s14, s16, 16
	v_dual_mov_b32 v2, s4 :: v_dual_mov_b32 v3, s5
	s_mul_i32 s14, s14, s17
	v_mov_b32_e32 v6, s13
	v_mad_u32_u24 v1, s14, v10, v1
	s_delay_alu instid0(VALU_DEP_1) | instskip(SKIP_1) | instid1(VALU_DEP_2)
	v_add_lshl_u32 v4, v1, v0, 3
	v_dual_mov_b32 v0, s8 :: v_dual_mov_b32 v1, s9
	v_add_nc_u32_e32 v5, 0x400, v4
	ds_store_2addr_stride64_b64 v4, v[2:3], v[0:1] offset1:2
	v_dual_mov_b32 v2, s10 :: v_dual_mov_b32 v3, s11
	v_cndmask_b32_e64 v5, s8, v5, s0
	s_xor_b32 s10, s0, -1
	flat_load_b64 v[0:1], v[5:6]
	s_cbranch_vccnz .LBB253_2
; %bb.1:
	v_dual_mov_b32 v2, s8 :: v_dual_mov_b32 v3, s9
	flat_load_b64 v[2:3], v[2:3] offset:8
.LBB253_2:
	s_and_b32 s8, s0, exec_lo
	s_cselect_b32 s1, s1, s5
	v_cndmask_b32_e64 v4, s4, v4, s0
	v_dual_mov_b32 v5, s1 :: v_dual_mov_b32 v6, s6
	v_mov_b32_e32 v7, s7
	s_and_not1_b32 vcc_lo, exec_lo, s10
	flat_load_b64 v[4:5], v[4:5]
	s_cbranch_vccnz .LBB253_4
; %bb.3:
	v_dual_mov_b32 v7, s5 :: v_dual_mov_b32 v6, s4
	flat_load_b64 v[6:7], v[6:7] offset:8
.LBB253_4:
	s_waitcnt vmcnt(1) lgkmcnt(1)
	v_cmp_eq_f64_e32 vcc_lo, 0, v[0:1]
	v_cmp_eq_f64_e64 s0, 0, v[2:3]
	s_delay_alu instid0(VALU_DEP_1)
	s_and_b32 s4, vcc_lo, s0
	s_mov_b32 s0, -1
	s_and_saveexec_b32 s1, s4
	s_cbranch_execz .LBB253_6
; %bb.5:
	s_waitcnt vmcnt(0) lgkmcnt(0)
	v_cmp_neq_f64_e32 vcc_lo, 1.0, v[4:5]
	v_cmp_neq_f64_e64 s0, 0, v[6:7]
	s_delay_alu instid0(VALU_DEP_1) | instskip(NEXT) | instid1(SALU_CYCLE_1)
	s_or_b32 s0, vcc_lo, s0
	s_or_not1_b32 s0, s0, exec_lo
.LBB253_6:
	s_or_b32 exec_lo, exec_lo, s1
	s_and_saveexec_b32 s1, s0
	s_cbranch_execz .LBB253_25
; %bb.7:
	s_load_b64 s[0:1], s[2:3], 0x0
	v_lshrrev_b32_e32 v8, 2, v10
	s_delay_alu instid0(VALU_DEP_1) | instskip(SKIP_1) | instid1(VALU_DEP_1)
	v_lshl_or_b32 v8, s15, 5, v8
	s_waitcnt lgkmcnt(0)
	v_cmp_gt_i32_e32 vcc_lo, s0, v8
	s_and_b32 exec_lo, exec_lo, vcc_lo
	s_cbranch_execz .LBB253_25
; %bb.8:
	s_load_b256 s[4:11], s[2:3], 0x18
	v_ashrrev_i32_e32 v9, 31, v8
	v_and_b32_e32 v25, 3, v10
	s_cmp_lg_u32 s1, 0
	s_delay_alu instid0(VALU_DEP_2) | instskip(SKIP_1) | instid1(VALU_DEP_1)
	v_lshlrev_b64 v[11:12], 2, v[8:9]
	s_waitcnt lgkmcnt(0)
	v_add_co_u32 v11, vcc_lo, s4, v11
	s_delay_alu instid0(VALU_DEP_2) | instskip(SKIP_4) | instid1(VALU_DEP_2)
	v_add_co_ci_u32_e32 v12, vcc_lo, s5, v12, vcc_lo
	global_load_b64 v[11:12], v[11:12], off
	s_waitcnt vmcnt(0)
	v_subrev_nc_u32_e32 v9, s12, v11
	v_subrev_nc_u32_e32 v24, s12, v12
	v_add_nc_u32_e32 v9, v9, v25
	s_delay_alu instid0(VALU_DEP_1)
	v_cmp_lt_i32_e64 s0, v9, v24
	s_cbranch_scc0 .LBB253_14
; %bb.9:
	v_mov_b32_e32 v11, 0
	v_mov_b32_e32 v12, 0
	s_delay_alu instid0(VALU_DEP_1)
	v_dual_mov_b32 v14, v12 :: v_dual_mov_b32 v13, v11
	v_dual_mov_b32 v16, v12 :: v_dual_mov_b32 v15, v11
	;; [unrolled: 1-line block ×3, first 2 shown]
	s_and_saveexec_b32 s1, s0
	s_cbranch_execz .LBB253_13
; %bb.10:
	v_dual_mov_b32 v11, 0 :: v_dual_mov_b32 v22, v9
	v_dual_mov_b32 v12, 0 :: v_dual_mov_b32 v21, 0
	v_mad_u64_u32 v[19:20], null, v9, 14, 12
	s_mov_b32 s4, 0
	s_delay_alu instid0(VALU_DEP_2)
	v_dual_mov_b32 v14, v12 :: v_dual_mov_b32 v13, v11
	v_dual_mov_b32 v16, v12 :: v_dual_mov_b32 v15, v11
	;; [unrolled: 1-line block ×3, first 2 shown]
.LBB253_11:                             ; =>This Inner Loop Header: Depth=1
	v_ashrrev_i32_e32 v23, 31, v22
	v_dual_mov_b32 v87, v21 :: v_dual_add_nc_u32 v20, -12, v19
	s_delay_alu instid0(VALU_DEP_2) | instskip(SKIP_1) | instid1(VALU_DEP_2)
	v_lshlrev_b64 v[26:27], 2, v[22:23]
	v_add_nc_u32_e32 v22, 4, v22
	v_add_co_u32 v26, vcc_lo, s6, v26
	s_delay_alu instid0(VALU_DEP_3) | instskip(SKIP_3) | instid1(VALU_DEP_1)
	v_add_co_ci_u32_e32 v27, vcc_lo, s7, v27, vcc_lo
	global_load_b32 v10, v[26:27], off
	v_lshlrev_b64 v[26:27], 4, v[20:21]
	v_add_nc_u32_e32 v20, -10, v19
	v_lshlrev_b64 v[38:39], 4, v[20:21]
	s_delay_alu instid0(VALU_DEP_3) | instskip(NEXT) | instid1(VALU_DEP_4)
	v_add_co_u32 v30, vcc_lo, s8, v26
	v_add_co_ci_u32_e32 v31, vcc_lo, s9, v27, vcc_lo
	global_load_b128 v[26:29], v[30:31], off offset:16
	s_waitcnt vmcnt(1)
	v_subrev_nc_u32_e32 v10, s12, v10
	s_delay_alu instid0(VALU_DEP_1) | instskip(NEXT) | instid1(VALU_DEP_1)
	v_mul_lo_u32 v86, v10, 7
	v_lshlrev_b64 v[32:33], 4, v[86:87]
	v_add_nc_u32_e32 v20, 1, v86
	s_delay_alu instid0(VALU_DEP_1) | instskip(NEXT) | instid1(VALU_DEP_3)
	v_lshlrev_b64 v[44:45], 4, v[20:21]
	v_add_co_u32 v34, vcc_lo, s10, v32
	s_delay_alu instid0(VALU_DEP_4)
	v_add_co_ci_u32_e32 v35, vcc_lo, s11, v33, vcc_lo
	v_add_co_u32 v42, vcc_lo, s8, v38
	global_load_b128 v[30:33], v[30:31], off
	global_load_b128 v[34:37], v[34:35], off
	v_add_co_ci_u32_e32 v43, vcc_lo, s9, v39, vcc_lo
	v_add_co_u32 v46, vcc_lo, s10, v44
	v_add_co_ci_u32_e32 v47, vcc_lo, s11, v45, vcc_lo
	s_clause 0x1
	global_load_b128 v[38:41], v[42:43], off offset:16
	global_load_b128 v[42:45], v[42:43], off
	global_load_b128 v[46:49], v[46:47], off
	v_add_nc_u32_e32 v20, -8, v19
	s_delay_alu instid0(VALU_DEP_1) | instskip(SKIP_1) | instid1(VALU_DEP_1)
	v_lshlrev_b64 v[50:51], 4, v[20:21]
	v_add_nc_u32_e32 v20, 2, v86
	v_lshlrev_b64 v[52:53], 4, v[20:21]
	s_delay_alu instid0(VALU_DEP_3) | instskip(NEXT) | instid1(VALU_DEP_4)
	v_add_co_u32 v54, vcc_lo, s8, v50
	v_add_co_ci_u32_e32 v55, vcc_lo, s9, v51, vcc_lo
	v_add_nc_u32_e32 v20, -6, v19
	s_delay_alu instid0(VALU_DEP_4)
	v_add_co_u32 v58, vcc_lo, s10, v52
	v_add_co_ci_u32_e32 v59, vcc_lo, s11, v53, vcc_lo
	s_clause 0x1
	global_load_b128 v[50:53], v[54:55], off offset:16
	global_load_b128 v[54:57], v[54:55], off
	global_load_b128 v[58:61], v[58:59], off
	v_lshlrev_b64 v[62:63], 4, v[20:21]
	v_add_nc_u32_e32 v20, 3, v86
	s_delay_alu instid0(VALU_DEP_1) | instskip(NEXT) | instid1(VALU_DEP_3)
	v_lshlrev_b64 v[64:65], 4, v[20:21]
	v_add_co_u32 v66, vcc_lo, s8, v62
	s_delay_alu instid0(VALU_DEP_4) | instskip(SKIP_1) | instid1(VALU_DEP_4)
	v_add_co_ci_u32_e32 v67, vcc_lo, s9, v63, vcc_lo
	v_add_nc_u32_e32 v20, -4, v19
	v_add_co_u32 v70, vcc_lo, s10, v64
	v_add_co_ci_u32_e32 v71, vcc_lo, s11, v65, vcc_lo
	s_clause 0x1
	global_load_b128 v[62:65], v[66:67], off offset:16
	global_load_b128 v[66:69], v[66:67], off
	global_load_b128 v[70:73], v[70:71], off
	v_lshlrev_b64 v[74:75], 4, v[20:21]
	v_add_nc_u32_e32 v20, 4, v86
	s_delay_alu instid0(VALU_DEP_1) | instskip(NEXT) | instid1(VALU_DEP_3)
	v_lshlrev_b64 v[76:77], 4, v[20:21]
	v_add_co_u32 v78, vcc_lo, s8, v74
	s_delay_alu instid0(VALU_DEP_4) | instskip(SKIP_1) | instid1(VALU_DEP_4)
	v_add_co_ci_u32_e32 v79, vcc_lo, s9, v75, vcc_lo
	v_add_nc_u32_e32 v20, -2, v19
	v_add_co_u32 v82, vcc_lo, s10, v76
	v_add_co_ci_u32_e32 v83, vcc_lo, s11, v77, vcc_lo
	s_clause 0x1
	global_load_b128 v[74:77], v[78:79], off offset:16
	global_load_b128 v[78:81], v[78:79], off
	global_load_b128 v[82:85], v[82:83], off
	s_waitcnt vmcnt(12)
	v_fma_f64 v[13:14], v[30:31], v[34:35], v[13:14]
	v_fma_f64 v[10:11], v[32:33], v[34:35], v[11:12]
	;; [unrolled: 1-line block ×4, first 2 shown]
	v_lshlrev_b64 v[34:35], 4, v[20:21]
	v_add_nc_u32_e32 v20, 5, v86
	v_fma_f64 v[32:33], -v[32:33], v[36:37], v[13:14]
	v_fma_f64 v[30:31], v[30:31], v[36:37], v[10:11]
	v_fma_f64 v[87:88], -v[28:29], v[36:37], v[15:16]
	v_fma_f64 v[36:37], v[26:27], v[36:37], v[17:18]
	v_lshlrev_b64 v[10:11], 4, v[20:21]
	v_add_co_u32 v14, vcc_lo, s8, v34
	v_add_co_ci_u32_e32 v15, vcc_lo, s9, v35, vcc_lo
	v_mov_b32_e32 v20, v21
	s_delay_alu instid0(VALU_DEP_4)
	v_add_co_u32 v26, vcc_lo, s10, v10
	v_add_co_ci_u32_e32 v27, vcc_lo, s11, v11, vcc_lo
	s_clause 0x1
	global_load_b128 v[10:13], v[14:15], off offset:16
	global_load_b128 v[14:17], v[14:15], off
	global_load_b128 v[26:29], v[26:27], off
	s_waitcnt vmcnt(12)
	v_fma_f64 v[34:35], v[42:43], v[46:47], v[32:33]
	v_fma_f64 v[89:90], v[44:45], v[46:47], v[30:31]
	;; [unrolled: 1-line block ×4, first 2 shown]
	v_lshlrev_b64 v[30:31], 4, v[19:20]
	v_add_nc_u32_e32 v19, 56, v19
	v_add_nc_u32_e32 v20, 6, v86
	s_delay_alu instid0(VALU_DEP_3) | instskip(NEXT) | instid1(VALU_DEP_4)
	v_add_co_u32 v46, vcc_lo, s8, v30
	v_add_co_ci_u32_e32 v47, vcc_lo, s9, v31, vcc_lo
	global_load_b128 v[30:33], v[46:47], off offset:16
	v_fma_f64 v[44:45], -v[44:45], v[48:49], v[34:35]
	v_fma_f64 v[42:43], v[42:43], v[48:49], v[89:90]
	v_fma_f64 v[87:88], -v[40:41], v[48:49], v[87:88]
	v_fma_f64 v[48:49], v[38:39], v[48:49], v[36:37]
	v_lshlrev_b64 v[34:35], 4, v[20:21]
	s_delay_alu instid0(VALU_DEP_1) | instskip(NEXT) | instid1(VALU_DEP_2)
	v_add_co_u32 v38, vcc_lo, s10, v34
	v_add_co_ci_u32_e32 v39, vcc_lo, s11, v35, vcc_lo
	global_load_b128 v[34:37], v[46:47], off
	global_load_b128 v[38:41], v[38:39], off
	v_cmp_ge_i32_e32 vcc_lo, v22, v24
	s_or_b32 s4, vcc_lo, s4
	s_waitcnt vmcnt(12)
	v_fma_f64 v[44:45], v[54:55], v[58:59], v[44:45]
	v_fma_f64 v[42:43], v[56:57], v[58:59], v[42:43]
	;; [unrolled: 1-line block ×4, first 2 shown]
	s_delay_alu instid0(VALU_DEP_4) | instskip(NEXT) | instid1(VALU_DEP_4)
	v_fma_f64 v[44:45], -v[56:57], v[60:61], v[44:45]
	v_fma_f64 v[42:43], v[54:55], v[60:61], v[42:43]
	s_delay_alu instid0(VALU_DEP_4) | instskip(NEXT) | instid1(VALU_DEP_4)
	v_fma_f64 v[46:47], -v[52:53], v[60:61], v[46:47]
	v_fma_f64 v[48:49], v[50:51], v[60:61], v[48:49]
	s_waitcnt vmcnt(9)
	s_delay_alu instid0(VALU_DEP_4) | instskip(NEXT) | instid1(VALU_DEP_4)
	v_fma_f64 v[44:45], v[66:67], v[70:71], v[44:45]
	v_fma_f64 v[42:43], v[68:69], v[70:71], v[42:43]
	s_delay_alu instid0(VALU_DEP_4) | instskip(NEXT) | instid1(VALU_DEP_4)
	v_fma_f64 v[46:47], v[62:63], v[70:71], v[46:47]
	v_fma_f64 v[48:49], v[64:65], v[70:71], v[48:49]
	s_delay_alu instid0(VALU_DEP_4) | instskip(NEXT) | instid1(VALU_DEP_4)
	v_fma_f64 v[44:45], -v[68:69], v[72:73], v[44:45]
	v_fma_f64 v[42:43], v[66:67], v[72:73], v[42:43]
	s_delay_alu instid0(VALU_DEP_4) | instskip(NEXT) | instid1(VALU_DEP_4)
	v_fma_f64 v[46:47], -v[64:65], v[72:73], v[46:47]
	v_fma_f64 v[48:49], v[62:63], v[72:73], v[48:49]
	s_waitcnt vmcnt(6)
	s_delay_alu instid0(VALU_DEP_4) | instskip(NEXT) | instid1(VALU_DEP_4)
	v_fma_f64 v[44:45], v[78:79], v[82:83], v[44:45]
	v_fma_f64 v[42:43], v[80:81], v[82:83], v[42:43]
	s_delay_alu instid0(VALU_DEP_4) | instskip(NEXT) | instid1(VALU_DEP_4)
	v_fma_f64 v[46:47], v[74:75], v[82:83], v[46:47]
	v_fma_f64 v[48:49], v[76:77], v[82:83], v[48:49]
	;; [unrolled: 13-line block ×4, first 2 shown]
	s_delay_alu instid0(VALU_DEP_4) | instskip(NEXT) | instid1(VALU_DEP_4)
	v_fma_f64 v[13:14], -v[36:37], v[40:41], v[16:17]
	v_fma_f64 v[11:12], v[34:35], v[40:41], v[26:27]
	s_delay_alu instid0(VALU_DEP_4) | instskip(NEXT) | instid1(VALU_DEP_4)
	v_fma_f64 v[15:16], -v[32:33], v[40:41], v[28:29]
	v_fma_f64 v[17:18], v[30:31], v[40:41], v[38:39]
	s_and_not1_b32 exec_lo, exec_lo, s4
	s_cbranch_execnz .LBB253_11
; %bb.12:
	s_or_b32 exec_lo, exec_lo, s4
.LBB253_13:
	s_delay_alu instid0(SALU_CYCLE_1)
	s_or_b32 exec_lo, exec_lo, s1
	s_cbranch_execz .LBB253_15
	s_branch .LBB253_20
.LBB253_14:
                                        ; implicit-def: $vgpr11_vgpr12
                                        ; implicit-def: $vgpr13_vgpr14
                                        ; implicit-def: $vgpr15_vgpr16
                                        ; implicit-def: $vgpr17_vgpr18
.LBB253_15:
	v_mov_b32_e32 v11, 0
	v_mov_b32_e32 v12, 0
	s_delay_alu instid0(VALU_DEP_1)
	v_dual_mov_b32 v14, v12 :: v_dual_mov_b32 v13, v11
	v_dual_mov_b32 v16, v12 :: v_dual_mov_b32 v15, v11
	;; [unrolled: 1-line block ×3, first 2 shown]
	s_and_saveexec_b32 s1, s0
	s_cbranch_execz .LBB253_19
; %bb.16:
	v_mov_b32_e32 v11, 0
	v_dual_mov_b32 v12, 0 :: v_dual_mov_b32 v21, 0
	v_mad_u64_u32 v[19:20], null, v9, 14, 13
	s_mov_b32 s0, 0
	s_delay_alu instid0(VALU_DEP_2)
	v_dual_mov_b32 v14, v12 :: v_dual_mov_b32 v13, v11
	v_dual_mov_b32 v16, v12 :: v_dual_mov_b32 v15, v11
	;; [unrolled: 1-line block ×3, first 2 shown]
.LBB253_17:                             ; =>This Inner Loop Header: Depth=1
	v_ashrrev_i32_e32 v10, 31, v9
	v_dual_mov_b32 v87, v21 :: v_dual_add_nc_u32 v20, -13, v19
	s_delay_alu instid0(VALU_DEP_2) | instskip(NEXT) | instid1(VALU_DEP_2)
	v_lshlrev_b64 v[22:23], 2, v[9:10]
	v_lshlrev_b64 v[26:27], 4, v[20:21]
	v_add_nc_u32_e32 v9, 4, v9
	s_delay_alu instid0(VALU_DEP_3) | instskip(NEXT) | instid1(VALU_DEP_4)
	v_add_co_u32 v22, vcc_lo, s6, v22
	v_add_co_ci_u32_e32 v23, vcc_lo, s7, v23, vcc_lo
	s_delay_alu instid0(VALU_DEP_4) | instskip(SKIP_3) | instid1(VALU_DEP_1)
	v_add_co_u32 v30, vcc_lo, s8, v26
	v_add_co_ci_u32_e32 v31, vcc_lo, s9, v27, vcc_lo
	global_load_b32 v10, v[22:23], off
	v_dual_mov_b32 v23, v21 :: v_dual_add_nc_u32 v22, -6, v19
	v_lshlrev_b64 v[22:23], 4, v[22:23]
	s_delay_alu instid0(VALU_DEP_1) | instskip(NEXT) | instid1(VALU_DEP_2)
	v_add_co_u32 v22, vcc_lo, s8, v22
	v_add_co_ci_u32_e32 v23, vcc_lo, s9, v23, vcc_lo
	s_clause 0x2
	global_load_b128 v[26:29], v[30:31], off offset:16
	global_load_b128 v[30:33], v[30:31], off
	global_load_b128 v[34:37], v[22:23], off
	s_waitcnt vmcnt(3)
	v_subrev_nc_u32_e32 v10, s12, v10
	s_delay_alu instid0(VALU_DEP_1) | instskip(NEXT) | instid1(VALU_DEP_1)
	v_mul_lo_u32 v86, v10, 7
	v_lshlrev_b64 v[22:23], 4, v[86:87]
	v_add_nc_u32_e32 v20, 1, v86
	s_delay_alu instid0(VALU_DEP_2) | instskip(NEXT) | instid1(VALU_DEP_3)
	v_add_co_u32 v22, vcc_lo, s10, v22
	v_add_co_ci_u32_e32 v23, vcc_lo, s11, v23, vcc_lo
	global_load_b128 v[38:41], v[22:23], off
	v_lshlrev_b64 v[22:23], 4, v[20:21]
	v_add_nc_u32_e32 v20, -5, v19
	s_delay_alu instid0(VALU_DEP_1) | instskip(NEXT) | instid1(VALU_DEP_3)
	v_lshlrev_b64 v[42:43], 4, v[20:21]
	v_add_co_u32 v22, vcc_lo, s10, v22
	s_delay_alu instid0(VALU_DEP_4) | instskip(SKIP_1) | instid1(VALU_DEP_4)
	v_add_co_ci_u32_e32 v23, vcc_lo, s11, v23, vcc_lo
	v_add_nc_u32_e32 v20, -11, v19
	v_add_co_u32 v46, vcc_lo, s8, v42
	v_add_co_ci_u32_e32 v47, vcc_lo, s9, v43, vcc_lo
	global_load_b128 v[42:45], v[22:23], off
	global_load_b128 v[46:49], v[46:47], off
	v_lshlrev_b64 v[22:23], 4, v[20:21]
	v_add_nc_u32_e32 v20, 2, v86
	s_delay_alu instid0(VALU_DEP_1) | instskip(SKIP_1) | instid1(VALU_DEP_4)
	v_lshlrev_b64 v[50:51], 4, v[20:21]
	v_add_nc_u32_e32 v20, -4, v19
	v_add_co_u32 v22, vcc_lo, s8, v22
	v_add_co_ci_u32_e32 v23, vcc_lo, s9, v23, vcc_lo
	s_delay_alu instid0(VALU_DEP_3) | instskip(SKIP_3) | instid1(VALU_DEP_4)
	v_lshlrev_b64 v[52:53], 4, v[20:21]
	v_add_co_u32 v54, vcc_lo, s10, v50
	v_add_co_ci_u32_e32 v55, vcc_lo, s11, v51, vcc_lo
	v_add_nc_u32_e32 v20, -10, v19
	v_add_co_u32 v58, vcc_lo, s8, v52
	v_add_co_ci_u32_e32 v59, vcc_lo, s9, v53, vcc_lo
	global_load_b128 v[50:53], v[22:23], off
	global_load_b128 v[54:57], v[54:55], off
	global_load_b128 v[58:61], v[58:59], off
	v_lshlrev_b64 v[22:23], 4, v[20:21]
	v_add_nc_u32_e32 v20, 3, v86
	s_delay_alu instid0(VALU_DEP_1) | instskip(SKIP_1) | instid1(VALU_DEP_4)
	v_lshlrev_b64 v[62:63], 4, v[20:21]
	v_add_nc_u32_e32 v20, -3, v19
	v_add_co_u32 v22, vcc_lo, s8, v22
	v_add_co_ci_u32_e32 v23, vcc_lo, s9, v23, vcc_lo
	s_delay_alu instid0(VALU_DEP_3) | instskip(SKIP_3) | instid1(VALU_DEP_4)
	v_lshlrev_b64 v[64:65], 4, v[20:21]
	v_add_co_u32 v66, vcc_lo, s10, v62
	v_add_co_ci_u32_e32 v67, vcc_lo, s11, v63, vcc_lo
	v_add_nc_u32_e32 v20, -9, v19
	v_add_co_u32 v70, vcc_lo, s8, v64
	v_add_co_ci_u32_e32 v71, vcc_lo, s9, v65, vcc_lo
	global_load_b128 v[62:65], v[22:23], off
	;; [unrolled: 17-line block ×3, first 2 shown]
	global_load_b128 v[78:81], v[78:79], off
	global_load_b128 v[82:85], v[82:83], off
	v_lshlrev_b64 v[22:23], 4, v[20:21]
	v_add_nc_u32_e32 v20, 5, v86
	s_waitcnt vmcnt(11)
	v_fma_f64 v[13:14], v[30:31], v[38:39], v[13:14]
	v_fma_f64 v[10:11], v[32:33], v[38:39], v[11:12]
	;; [unrolled: 1-line block ×4, first 2 shown]
	v_add_co_u32 v12, vcc_lo, s8, v22
	v_fma_f64 v[38:39], -v[32:33], v[40:41], v[13:14]
	v_fma_f64 v[87:88], v[30:31], v[40:41], v[10:11]
	v_fma_f64 v[36:37], -v[36:37], v[40:41], v[15:16]
	v_fma_f64 v[34:35], v[34:35], v[40:41], v[17:18]
	v_lshlrev_b64 v[10:11], 4, v[20:21]
	v_add_nc_u32_e32 v20, -1, v19
	v_add_co_ci_u32_e32 v13, vcc_lo, s9, v23, vcc_lo
	s_delay_alu instid0(VALU_DEP_2) | instskip(NEXT) | instid1(VALU_DEP_4)
	v_lshlrev_b64 v[14:15], 4, v[20:21]
	v_add_co_u32 v16, vcc_lo, s10, v10
	v_add_co_ci_u32_e32 v17, vcc_lo, s11, v11, vcc_lo
	v_mov_b32_e32 v20, v21
	s_delay_alu instid0(VALU_DEP_4)
	v_add_co_u32 v22, vcc_lo, s8, v14
	v_add_co_ci_u32_e32 v23, vcc_lo, s9, v15, vcc_lo
	global_load_b128 v[10:13], v[12:13], off
	global_load_b128 v[14:17], v[16:17], off
	;; [unrolled: 1-line block ×3, first 2 shown]
	s_waitcnt vmcnt(13)
	v_fma_f64 v[22:23], v[26:27], v[42:43], v[38:39]
	v_fma_f64 v[38:39], v[28:29], v[42:43], v[87:88]
	s_waitcnt vmcnt(12)
	v_fma_f64 v[40:41], v[46:47], v[42:43], v[36:37]
	v_fma_f64 v[42:43], v[48:49], v[42:43], v[34:35]
	v_lshlrev_b64 v[34:35], 4, v[19:20]
	v_add_nc_u32_e32 v20, -7, v19
	v_add_nc_u32_e32 v19, 56, v19
	s_delay_alu instid0(VALU_DEP_2)
	v_lshlrev_b64 v[87:88], 4, v[20:21]
	v_add_nc_u32_e32 v20, 6, v86
	v_add_co_u32 v34, vcc_lo, s8, v34
	v_add_co_ci_u32_e32 v35, vcc_lo, s9, v35, vcc_lo
	global_load_b128 v[34:37], v[34:35], off
	v_fma_f64 v[22:23], -v[28:29], v[44:45], v[22:23]
	v_fma_f64 v[89:90], v[26:27], v[44:45], v[38:39]
	v_fma_f64 v[48:49], -v[48:49], v[44:45], v[40:41]
	v_fma_f64 v[42:43], v[46:47], v[44:45], v[42:43]
	v_lshlrev_b64 v[26:27], 4, v[20:21]
	v_add_co_u32 v28, vcc_lo, s8, v87
	v_add_co_ci_u32_e32 v29, vcc_lo, s9, v88, vcc_lo
	s_delay_alu instid0(VALU_DEP_3) | instskip(NEXT) | instid1(VALU_DEP_4)
	v_add_co_u32 v38, vcc_lo, s10, v26
	v_add_co_ci_u32_e32 v39, vcc_lo, s11, v27, vcc_lo
	global_load_b128 v[26:29], v[28:29], off
	global_load_b128 v[38:41], v[38:39], off
	v_cmp_ge_i32_e32 vcc_lo, v9, v24
	s_or_b32 s0, vcc_lo, s0
	s_waitcnt vmcnt(13)
	v_fma_f64 v[22:23], v[50:51], v[54:55], v[22:23]
	v_fma_f64 v[44:45], v[52:53], v[54:55], v[89:90]
	s_waitcnt vmcnt(12)
	v_fma_f64 v[46:47], v[58:59], v[54:55], v[48:49]
	v_fma_f64 v[42:43], v[60:61], v[54:55], v[42:43]
	s_delay_alu instid0(VALU_DEP_4) | instskip(NEXT) | instid1(VALU_DEP_4)
	v_fma_f64 v[22:23], -v[52:53], v[56:57], v[22:23]
	v_fma_f64 v[44:45], v[50:51], v[56:57], v[44:45]
	s_delay_alu instid0(VALU_DEP_4) | instskip(NEXT) | instid1(VALU_DEP_4)
	v_fma_f64 v[46:47], -v[60:61], v[56:57], v[46:47]
	v_fma_f64 v[42:43], v[58:59], v[56:57], v[42:43]
	s_waitcnt vmcnt(10)
	s_delay_alu instid0(VALU_DEP_4) | instskip(NEXT) | instid1(VALU_DEP_4)
	v_fma_f64 v[22:23], v[62:63], v[66:67], v[22:23]
	v_fma_f64 v[44:45], v[64:65], v[66:67], v[44:45]
	s_waitcnt vmcnt(9)
	s_delay_alu instid0(VALU_DEP_4) | instskip(NEXT) | instid1(VALU_DEP_4)
	v_fma_f64 v[46:47], v[70:71], v[66:67], v[46:47]
	v_fma_f64 v[42:43], v[72:73], v[66:67], v[42:43]
	s_delay_alu instid0(VALU_DEP_4) | instskip(NEXT) | instid1(VALU_DEP_4)
	v_fma_f64 v[22:23], -v[64:65], v[68:69], v[22:23]
	v_fma_f64 v[44:45], v[62:63], v[68:69], v[44:45]
	s_delay_alu instid0(VALU_DEP_4) | instskip(NEXT) | instid1(VALU_DEP_4)
	v_fma_f64 v[46:47], -v[72:73], v[68:69], v[46:47]
	v_fma_f64 v[42:43], v[70:71], v[68:69], v[42:43]
	s_waitcnt vmcnt(7)
	s_delay_alu instid0(VALU_DEP_4) | instskip(NEXT) | instid1(VALU_DEP_4)
	v_fma_f64 v[22:23], v[74:75], v[78:79], v[22:23]
	v_fma_f64 v[44:45], v[76:77], v[78:79], v[44:45]
	s_waitcnt vmcnt(6)
	s_delay_alu instid0(VALU_DEP_4) | instskip(NEXT) | instid1(VALU_DEP_4)
	;; [unrolled: 14-line block ×3, first 2 shown]
	v_fma_f64 v[46:47], v[30:31], v[14:15], v[46:47]
	v_fma_f64 v[14:15], v[32:33], v[14:15], v[42:43]
	s_delay_alu instid0(VALU_DEP_4) | instskip(NEXT) | instid1(VALU_DEP_4)
	v_fma_f64 v[12:13], -v[12:13], v[16:17], v[22:23]
	v_fma_f64 v[10:11], v[10:11], v[16:17], v[44:45]
	s_delay_alu instid0(VALU_DEP_4) | instskip(NEXT) | instid1(VALU_DEP_4)
	v_fma_f64 v[22:23], -v[32:33], v[16:17], v[46:47]
	v_fma_f64 v[14:15], v[30:31], v[16:17], v[14:15]
	s_waitcnt vmcnt(0)
	s_delay_alu instid0(VALU_DEP_4) | instskip(NEXT) | instid1(VALU_DEP_4)
	v_fma_f64 v[12:13], v[26:27], v[38:39], v[12:13]
	v_fma_f64 v[10:11], v[28:29], v[38:39], v[10:11]
	s_delay_alu instid0(VALU_DEP_4) | instskip(NEXT) | instid1(VALU_DEP_4)
	v_fma_f64 v[16:17], v[34:35], v[38:39], v[22:23]
	v_fma_f64 v[22:23], v[36:37], v[38:39], v[14:15]
	s_delay_alu instid0(VALU_DEP_4) | instskip(NEXT) | instid1(VALU_DEP_4)
	v_fma_f64 v[13:14], -v[28:29], v[40:41], v[12:13]
	v_fma_f64 v[11:12], v[26:27], v[40:41], v[10:11]
	s_delay_alu instid0(VALU_DEP_4) | instskip(NEXT) | instid1(VALU_DEP_4)
	v_fma_f64 v[15:16], -v[36:37], v[40:41], v[16:17]
	v_fma_f64 v[17:18], v[34:35], v[40:41], v[22:23]
	s_and_not1_b32 exec_lo, exec_lo, s0
	s_cbranch_execnz .LBB253_17
; %bb.18:
	s_or_b32 exec_lo, exec_lo, s0
.LBB253_19:
	s_delay_alu instid0(SALU_CYCLE_1)
	s_or_b32 exec_lo, exec_lo, s1
.LBB253_20:
	v_mbcnt_lo_u32_b32 v26, -1, 0
	s_delay_alu instid0(VALU_DEP_1) | instskip(NEXT) | instid1(VALU_DEP_1)
	v_xor_b32_e32 v9, 2, v26
	v_cmp_gt_i32_e32 vcc_lo, 32, v9
	v_cndmask_b32_e32 v9, v26, v9, vcc_lo
	s_delay_alu instid0(VALU_DEP_1)
	v_lshlrev_b32_e32 v24, 2, v9
	ds_bpermute_b32 v19, v24, v11
	ds_bpermute_b32 v20, v24, v12
	;; [unrolled: 1-line block ×4, first 2 shown]
	s_waitcnt lgkmcnt(2)
	v_add_f64 v[19:20], v[11:12], v[19:20]
	s_waitcnt lgkmcnt(0)
	v_add_f64 v[11:12], v[15:16], v[21:22]
	v_xor_b32_e32 v15, 1, v26
	s_delay_alu instid0(VALU_DEP_1)
	v_cmp_gt_i32_e32 vcc_lo, 32, v15
	v_cndmask_b32_e32 v15, v26, v15, vcc_lo
	ds_bpermute_b32 v9, v24, v13
	ds_bpermute_b32 v10, v24, v14
	;; [unrolled: 1-line block ×4, first 2 shown]
	v_lshlrev_b32_e32 v22, 2, v15
	v_cmp_eq_u32_e32 vcc_lo, 3, v25
	s_waitcnt lgkmcnt(2)
	v_add_f64 v[9:10], v[13:14], v[9:10]
	s_waitcnt lgkmcnt(0)
	v_add_f64 v[13:14], v[17:18], v[23:24]
	ds_bpermute_b32 v15, v22, v19
	ds_bpermute_b32 v16, v22, v20
	;; [unrolled: 1-line block ×8, first 2 shown]
	s_and_b32 exec_lo, exec_lo, vcc_lo
	s_cbranch_execz .LBB253_25
; %bb.21:
	v_cmp_eq_f64_e32 vcc_lo, 0, v[4:5]
	v_cmp_eq_f64_e64 s0, 0, v[6:7]
	s_waitcnt lgkmcnt(2)
	v_add_f64 v[9:10], v[9:10], v[23:24]
	v_add_f64 v[15:16], v[19:20], v[15:16]
	;; [unrolled: 1-line block ×3, first 2 shown]
	s_waitcnt lgkmcnt(0)
	v_add_f64 v[13:14], v[13:14], v[21:22]
	s_load_b64 s[2:3], s[2:3], 0x48
	s_and_b32 s0, vcc_lo, s0
	s_delay_alu instid0(SALU_CYCLE_1) | instskip(NEXT) | instid1(SALU_CYCLE_1)
	s_and_saveexec_b32 s1, s0
	s_xor_b32 s0, exec_lo, s1
	s_cbranch_execz .LBB253_23
; %bb.22:
	s_delay_alu instid0(VALU_DEP_3) | instskip(SKIP_1) | instid1(VALU_DEP_3)
	v_mul_f64 v[4:5], v[15:16], -v[2:3]
	v_mul_f64 v[6:7], v[0:1], v[15:16]
	v_mul_f64 v[15:16], v[13:14], -v[2:3]
	v_mul_f64 v[13:14], v[0:1], v[13:14]
	v_lshlrev_b32_e32 v8, 1, v8
	v_fma_f64 v[4:5], v[0:1], v[9:10], v[4:5]
	v_fma_f64 v[6:7], v[2:3], v[9:10], v[6:7]
	;; [unrolled: 1-line block ×4, first 2 shown]
	v_ashrrev_i32_e32 v9, 31, v8
                                        ; implicit-def: $vgpr15_vgpr16
                                        ; implicit-def: $vgpr11_vgpr12
                                        ; implicit-def: $vgpr13_vgpr14
	s_delay_alu instid0(VALU_DEP_1) | instskip(SKIP_1) | instid1(VALU_DEP_1)
	v_lshlrev_b64 v[8:9], 4, v[8:9]
	s_waitcnt lgkmcnt(0)
	v_add_co_u32 v8, vcc_lo, s2, v8
	s_delay_alu instid0(VALU_DEP_2)
	v_add_co_ci_u32_e32 v9, vcc_lo, s3, v9, vcc_lo
	s_clause 0x1
	global_store_b128 v[8:9], v[4:7], off
	global_store_b128 v[8:9], v[0:3], off offset:16
                                        ; implicit-def: $vgpr0_vgpr1
                                        ; implicit-def: $vgpr2_vgpr3
                                        ; implicit-def: $vgpr4_vgpr5
                                        ; implicit-def: $vgpr6_vgpr7
                                        ; implicit-def: $vgpr8
                                        ; implicit-def: $vgpr9_vgpr10
.LBB253_23:
	s_and_not1_saveexec_b32 s0, s0
	s_cbranch_execz .LBB253_25
; %bb.24:
	v_lshlrev_b32_e32 v17, 1, v8
	s_delay_alu instid0(VALU_DEP_4) | instskip(SKIP_1) | instid1(VALU_DEP_4)
	v_mul_f64 v[27:28], v[15:16], -v[2:3]
	v_mul_f64 v[15:16], v[0:1], v[15:16]
	v_mul_f64 v[29:30], v[13:14], -v[2:3]
	v_mul_f64 v[13:14], v[0:1], v[13:14]
	v_ashrrev_i32_e32 v18, 31, v17
	s_delay_alu instid0(VALU_DEP_1) | instskip(SKIP_1) | instid1(VALU_DEP_1)
	v_lshlrev_b64 v[17:18], 4, v[17:18]
	s_waitcnt lgkmcnt(0)
	v_add_co_u32 v25, vcc_lo, s2, v17
	s_delay_alu instid0(VALU_DEP_2)
	v_add_co_ci_u32_e32 v26, vcc_lo, s3, v18, vcc_lo
	s_clause 0x1
	global_load_b128 v[17:20], v[25:26], off
	global_load_b128 v[21:24], v[25:26], off offset:16
	v_fma_f64 v[27:28], v[0:1], v[9:10], v[27:28]
	v_fma_f64 v[8:9], v[2:3], v[9:10], v[15:16]
	;; [unrolled: 1-line block ×4, first 2 shown]
	s_waitcnt vmcnt(1)
	s_delay_alu instid0(VALU_DEP_4) | instskip(NEXT) | instid1(VALU_DEP_4)
	v_fma_f64 v[10:11], v[4:5], v[17:18], v[27:28]
	v_fma_f64 v[8:9], v[6:7], v[17:18], v[8:9]
	s_waitcnt vmcnt(0)
	s_delay_alu instid0(VALU_DEP_4) | instskip(NEXT) | instid1(VALU_DEP_4)
	v_fma_f64 v[12:13], v[4:5], v[21:22], v[0:1]
	v_fma_f64 v[14:15], v[6:7], v[21:22], v[2:3]
	s_delay_alu instid0(VALU_DEP_4) | instskip(NEXT) | instid1(VALU_DEP_4)
	v_fma_f64 v[0:1], -v[6:7], v[19:20], v[10:11]
	v_fma_f64 v[2:3], v[4:5], v[19:20], v[8:9]
	s_delay_alu instid0(VALU_DEP_4) | instskip(NEXT) | instid1(VALU_DEP_4)
	v_fma_f64 v[6:7], -v[6:7], v[23:24], v[12:13]
	v_fma_f64 v[8:9], v[4:5], v[23:24], v[14:15]
	s_clause 0x1
	global_store_b128 v[25:26], v[0:3], off
	global_store_b128 v[25:26], v[6:9], off offset:16
.LBB253_25:
	s_nop 0
	s_sendmsg sendmsg(MSG_DEALLOC_VGPRS)
	s_endpgm
	.section	.rodata,"a",@progbits
	.p2align	6, 0x0
	.amdhsa_kernel _ZN9rocsparseL19gebsrmvn_2xn_kernelILj128ELj7ELj4E21rocsparse_complex_numIdEEEvi20rocsparse_direction_NS_24const_host_device_scalarIT2_EEPKiS8_PKS5_SA_S6_PS5_21rocsparse_index_base_b
		.amdhsa_group_segment_fixed_size 2048
		.amdhsa_private_segment_fixed_size 0
		.amdhsa_kernarg_size 88
		.amdhsa_user_sgpr_count 15
		.amdhsa_user_sgpr_dispatch_ptr 1
		.amdhsa_user_sgpr_queue_ptr 0
		.amdhsa_user_sgpr_kernarg_segment_ptr 1
		.amdhsa_user_sgpr_dispatch_id 0
		.amdhsa_user_sgpr_private_segment_size 0
		.amdhsa_wavefront_size32 1
		.amdhsa_uses_dynamic_stack 0
		.amdhsa_enable_private_segment 0
		.amdhsa_system_sgpr_workgroup_id_x 1
		.amdhsa_system_sgpr_workgroup_id_y 0
		.amdhsa_system_sgpr_workgroup_id_z 0
		.amdhsa_system_sgpr_workgroup_info 0
		.amdhsa_system_vgpr_workitem_id 2
		.amdhsa_next_free_vgpr 91
		.amdhsa_next_free_sgpr 18
		.amdhsa_reserve_vcc 1
		.amdhsa_float_round_mode_32 0
		.amdhsa_float_round_mode_16_64 0
		.amdhsa_float_denorm_mode_32 3
		.amdhsa_float_denorm_mode_16_64 3
		.amdhsa_dx10_clamp 1
		.amdhsa_ieee_mode 1
		.amdhsa_fp16_overflow 0
		.amdhsa_workgroup_processor_mode 1
		.amdhsa_memory_ordered 1
		.amdhsa_forward_progress 0
		.amdhsa_shared_vgpr_count 0
		.amdhsa_exception_fp_ieee_invalid_op 0
		.amdhsa_exception_fp_denorm_src 0
		.amdhsa_exception_fp_ieee_div_zero 0
		.amdhsa_exception_fp_ieee_overflow 0
		.amdhsa_exception_fp_ieee_underflow 0
		.amdhsa_exception_fp_ieee_inexact 0
		.amdhsa_exception_int_div_zero 0
	.end_amdhsa_kernel
	.section	.text._ZN9rocsparseL19gebsrmvn_2xn_kernelILj128ELj7ELj4E21rocsparse_complex_numIdEEEvi20rocsparse_direction_NS_24const_host_device_scalarIT2_EEPKiS8_PKS5_SA_S6_PS5_21rocsparse_index_base_b,"axG",@progbits,_ZN9rocsparseL19gebsrmvn_2xn_kernelILj128ELj7ELj4E21rocsparse_complex_numIdEEEvi20rocsparse_direction_NS_24const_host_device_scalarIT2_EEPKiS8_PKS5_SA_S6_PS5_21rocsparse_index_base_b,comdat
.Lfunc_end253:
	.size	_ZN9rocsparseL19gebsrmvn_2xn_kernelILj128ELj7ELj4E21rocsparse_complex_numIdEEEvi20rocsparse_direction_NS_24const_host_device_scalarIT2_EEPKiS8_PKS5_SA_S6_PS5_21rocsparse_index_base_b, .Lfunc_end253-_ZN9rocsparseL19gebsrmvn_2xn_kernelILj128ELj7ELj4E21rocsparse_complex_numIdEEEvi20rocsparse_direction_NS_24const_host_device_scalarIT2_EEPKiS8_PKS5_SA_S6_PS5_21rocsparse_index_base_b
                                        ; -- End function
	.section	.AMDGPU.csdata,"",@progbits
; Kernel info:
; codeLenInByte = 3976
; NumSgprs: 20
; NumVgprs: 91
; ScratchSize: 0
; MemoryBound: 0
; FloatMode: 240
; IeeeMode: 1
; LDSByteSize: 2048 bytes/workgroup (compile time only)
; SGPRBlocks: 2
; VGPRBlocks: 11
; NumSGPRsForWavesPerEU: 20
; NumVGPRsForWavesPerEU: 91
; Occupancy: 16
; WaveLimiterHint : 1
; COMPUTE_PGM_RSRC2:SCRATCH_EN: 0
; COMPUTE_PGM_RSRC2:USER_SGPR: 15
; COMPUTE_PGM_RSRC2:TRAP_HANDLER: 0
; COMPUTE_PGM_RSRC2:TGID_X_EN: 1
; COMPUTE_PGM_RSRC2:TGID_Y_EN: 0
; COMPUTE_PGM_RSRC2:TGID_Z_EN: 0
; COMPUTE_PGM_RSRC2:TIDIG_COMP_CNT: 2
	.section	.text._ZN9rocsparseL19gebsrmvn_2xn_kernelILj128ELj7ELj8E21rocsparse_complex_numIdEEEvi20rocsparse_direction_NS_24const_host_device_scalarIT2_EEPKiS8_PKS5_SA_S6_PS5_21rocsparse_index_base_b,"axG",@progbits,_ZN9rocsparseL19gebsrmvn_2xn_kernelILj128ELj7ELj8E21rocsparse_complex_numIdEEEvi20rocsparse_direction_NS_24const_host_device_scalarIT2_EEPKiS8_PKS5_SA_S6_PS5_21rocsparse_index_base_b,comdat
	.globl	_ZN9rocsparseL19gebsrmvn_2xn_kernelILj128ELj7ELj8E21rocsparse_complex_numIdEEEvi20rocsparse_direction_NS_24const_host_device_scalarIT2_EEPKiS8_PKS5_SA_S6_PS5_21rocsparse_index_base_b ; -- Begin function _ZN9rocsparseL19gebsrmvn_2xn_kernelILj128ELj7ELj8E21rocsparse_complex_numIdEEEvi20rocsparse_direction_NS_24const_host_device_scalarIT2_EEPKiS8_PKS5_SA_S6_PS5_21rocsparse_index_base_b
	.p2align	8
	.type	_ZN9rocsparseL19gebsrmvn_2xn_kernelILj128ELj7ELj8E21rocsparse_complex_numIdEEEvi20rocsparse_direction_NS_24const_host_device_scalarIT2_EEPKiS8_PKS5_SA_S6_PS5_21rocsparse_index_base_b,@function
_ZN9rocsparseL19gebsrmvn_2xn_kernelILj128ELj7ELj8E21rocsparse_complex_numIdEEEvi20rocsparse_direction_NS_24const_host_device_scalarIT2_EEPKiS8_PKS5_SA_S6_PS5_21rocsparse_index_base_b: ; @_ZN9rocsparseL19gebsrmvn_2xn_kernelILj128ELj7ELj8E21rocsparse_complex_numIdEEEvi20rocsparse_direction_NS_24const_host_device_scalarIT2_EEPKiS8_PKS5_SA_S6_PS5_21rocsparse_index_base_b
; %bb.0:
	s_load_b64 s[12:13], s[2:3], 0x50
	s_load_b64 s[16:17], s[0:1], 0x4
	s_load_b128 s[8:11], s[2:3], 0x8
	v_bfe_u32 v1, v0, 10, 10
	s_mov_b64 s[0:1], src_shared_base
	s_load_b128 s[4:7], s[2:3], 0x38
	v_and_b32_e32 v10, 0x3ff, v0
	v_bfe_u32 v0, v0, 20, 10
	s_waitcnt lgkmcnt(0)
	s_bitcmp1_b32 s13, 0
	v_mul_u32_u24_e32 v1, s17, v1
	s_cselect_b32 s0, -1, 0
	s_delay_alu instid0(SALU_CYCLE_1)
	s_and_b32 vcc_lo, s0, exec_lo
	s_cselect_b32 s13, s1, s9
	s_lshr_b32 s14, s16, 16
	v_dual_mov_b32 v2, s4 :: v_dual_mov_b32 v3, s5
	s_mul_i32 s14, s14, s17
	v_mov_b32_e32 v6, s13
	v_mad_u32_u24 v1, s14, v10, v1
	s_delay_alu instid0(VALU_DEP_1) | instskip(SKIP_1) | instid1(VALU_DEP_2)
	v_add_lshl_u32 v4, v1, v0, 3
	v_dual_mov_b32 v0, s8 :: v_dual_mov_b32 v1, s9
	v_add_nc_u32_e32 v5, 0x400, v4
	ds_store_2addr_stride64_b64 v4, v[2:3], v[0:1] offset1:2
	v_dual_mov_b32 v2, s10 :: v_dual_mov_b32 v3, s11
	v_cndmask_b32_e64 v5, s8, v5, s0
	s_xor_b32 s10, s0, -1
	flat_load_b64 v[0:1], v[5:6]
	s_cbranch_vccnz .LBB254_2
; %bb.1:
	v_dual_mov_b32 v2, s8 :: v_dual_mov_b32 v3, s9
	flat_load_b64 v[2:3], v[2:3] offset:8
.LBB254_2:
	s_and_b32 s8, s0, exec_lo
	s_cselect_b32 s1, s1, s5
	v_cndmask_b32_e64 v4, s4, v4, s0
	v_dual_mov_b32 v5, s1 :: v_dual_mov_b32 v6, s6
	v_mov_b32_e32 v7, s7
	s_and_not1_b32 vcc_lo, exec_lo, s10
	flat_load_b64 v[4:5], v[4:5]
	s_cbranch_vccnz .LBB254_4
; %bb.3:
	v_dual_mov_b32 v7, s5 :: v_dual_mov_b32 v6, s4
	flat_load_b64 v[6:7], v[6:7] offset:8
.LBB254_4:
	s_waitcnt vmcnt(1) lgkmcnt(1)
	v_cmp_eq_f64_e32 vcc_lo, 0, v[0:1]
	v_cmp_eq_f64_e64 s0, 0, v[2:3]
	s_delay_alu instid0(VALU_DEP_1)
	s_and_b32 s4, vcc_lo, s0
	s_mov_b32 s0, -1
	s_and_saveexec_b32 s1, s4
	s_cbranch_execz .LBB254_6
; %bb.5:
	s_waitcnt vmcnt(0) lgkmcnt(0)
	v_cmp_neq_f64_e32 vcc_lo, 1.0, v[4:5]
	v_cmp_neq_f64_e64 s0, 0, v[6:7]
	s_delay_alu instid0(VALU_DEP_1) | instskip(NEXT) | instid1(SALU_CYCLE_1)
	s_or_b32 s0, vcc_lo, s0
	s_or_not1_b32 s0, s0, exec_lo
.LBB254_6:
	s_or_b32 exec_lo, exec_lo, s1
	s_and_saveexec_b32 s1, s0
	s_cbranch_execz .LBB254_25
; %bb.7:
	s_load_b64 s[0:1], s[2:3], 0x0
	v_lshrrev_b32_e32 v8, 3, v10
	s_delay_alu instid0(VALU_DEP_1) | instskip(SKIP_1) | instid1(VALU_DEP_1)
	v_lshl_or_b32 v8, s15, 4, v8
	s_waitcnt lgkmcnt(0)
	v_cmp_gt_i32_e32 vcc_lo, s0, v8
	s_and_b32 exec_lo, exec_lo, vcc_lo
	s_cbranch_execz .LBB254_25
; %bb.8:
	s_load_b256 s[4:11], s[2:3], 0x18
	v_ashrrev_i32_e32 v9, 31, v8
	v_and_b32_e32 v25, 7, v10
	s_cmp_lg_u32 s1, 0
	s_delay_alu instid0(VALU_DEP_2) | instskip(SKIP_1) | instid1(VALU_DEP_1)
	v_lshlrev_b64 v[11:12], 2, v[8:9]
	s_waitcnt lgkmcnt(0)
	v_add_co_u32 v11, vcc_lo, s4, v11
	s_delay_alu instid0(VALU_DEP_2) | instskip(SKIP_4) | instid1(VALU_DEP_2)
	v_add_co_ci_u32_e32 v12, vcc_lo, s5, v12, vcc_lo
	global_load_b64 v[11:12], v[11:12], off
	s_waitcnt vmcnt(0)
	v_subrev_nc_u32_e32 v9, s12, v11
	v_subrev_nc_u32_e32 v24, s12, v12
	v_add_nc_u32_e32 v9, v9, v25
	s_delay_alu instid0(VALU_DEP_1)
	v_cmp_lt_i32_e64 s0, v9, v24
	s_cbranch_scc0 .LBB254_14
; %bb.9:
	v_mov_b32_e32 v11, 0
	v_mov_b32_e32 v12, 0
	s_delay_alu instid0(VALU_DEP_1)
	v_dual_mov_b32 v14, v12 :: v_dual_mov_b32 v13, v11
	v_dual_mov_b32 v16, v12 :: v_dual_mov_b32 v15, v11
	v_dual_mov_b32 v18, v12 :: v_dual_mov_b32 v17, v11
	s_and_saveexec_b32 s1, s0
	s_cbranch_execz .LBB254_13
; %bb.10:
	v_dual_mov_b32 v11, 0 :: v_dual_mov_b32 v22, v9
	v_dual_mov_b32 v12, 0 :: v_dual_mov_b32 v21, 0
	v_mad_u64_u32 v[19:20], null, v9, 14, 12
	s_mov_b32 s4, 0
	s_delay_alu instid0(VALU_DEP_2)
	v_dual_mov_b32 v14, v12 :: v_dual_mov_b32 v13, v11
	v_dual_mov_b32 v16, v12 :: v_dual_mov_b32 v15, v11
	;; [unrolled: 1-line block ×3, first 2 shown]
.LBB254_11:                             ; =>This Inner Loop Header: Depth=1
	v_ashrrev_i32_e32 v23, 31, v22
	v_dual_mov_b32 v87, v21 :: v_dual_add_nc_u32 v20, -12, v19
	s_delay_alu instid0(VALU_DEP_2) | instskip(SKIP_1) | instid1(VALU_DEP_2)
	v_lshlrev_b64 v[26:27], 2, v[22:23]
	v_add_nc_u32_e32 v22, 8, v22
	v_add_co_u32 v26, vcc_lo, s6, v26
	s_delay_alu instid0(VALU_DEP_3) | instskip(SKIP_3) | instid1(VALU_DEP_1)
	v_add_co_ci_u32_e32 v27, vcc_lo, s7, v27, vcc_lo
	global_load_b32 v10, v[26:27], off
	v_lshlrev_b64 v[26:27], 4, v[20:21]
	v_add_nc_u32_e32 v20, -10, v19
	v_lshlrev_b64 v[38:39], 4, v[20:21]
	s_delay_alu instid0(VALU_DEP_3) | instskip(NEXT) | instid1(VALU_DEP_4)
	v_add_co_u32 v30, vcc_lo, s8, v26
	v_add_co_ci_u32_e32 v31, vcc_lo, s9, v27, vcc_lo
	global_load_b128 v[26:29], v[30:31], off offset:16
	s_waitcnt vmcnt(1)
	v_subrev_nc_u32_e32 v10, s12, v10
	s_delay_alu instid0(VALU_DEP_1) | instskip(NEXT) | instid1(VALU_DEP_1)
	v_mul_lo_u32 v86, v10, 7
	v_lshlrev_b64 v[32:33], 4, v[86:87]
	v_add_nc_u32_e32 v20, 1, v86
	s_delay_alu instid0(VALU_DEP_1) | instskip(NEXT) | instid1(VALU_DEP_3)
	v_lshlrev_b64 v[44:45], 4, v[20:21]
	v_add_co_u32 v34, vcc_lo, s10, v32
	s_delay_alu instid0(VALU_DEP_4)
	v_add_co_ci_u32_e32 v35, vcc_lo, s11, v33, vcc_lo
	v_add_co_u32 v42, vcc_lo, s8, v38
	global_load_b128 v[30:33], v[30:31], off
	global_load_b128 v[34:37], v[34:35], off
	v_add_co_ci_u32_e32 v43, vcc_lo, s9, v39, vcc_lo
	v_add_co_u32 v46, vcc_lo, s10, v44
	v_add_co_ci_u32_e32 v47, vcc_lo, s11, v45, vcc_lo
	s_clause 0x1
	global_load_b128 v[38:41], v[42:43], off offset:16
	global_load_b128 v[42:45], v[42:43], off
	global_load_b128 v[46:49], v[46:47], off
	v_add_nc_u32_e32 v20, -8, v19
	s_delay_alu instid0(VALU_DEP_1) | instskip(SKIP_1) | instid1(VALU_DEP_1)
	v_lshlrev_b64 v[50:51], 4, v[20:21]
	v_add_nc_u32_e32 v20, 2, v86
	v_lshlrev_b64 v[52:53], 4, v[20:21]
	s_delay_alu instid0(VALU_DEP_3) | instskip(NEXT) | instid1(VALU_DEP_4)
	v_add_co_u32 v54, vcc_lo, s8, v50
	v_add_co_ci_u32_e32 v55, vcc_lo, s9, v51, vcc_lo
	v_add_nc_u32_e32 v20, -6, v19
	s_delay_alu instid0(VALU_DEP_4)
	v_add_co_u32 v58, vcc_lo, s10, v52
	v_add_co_ci_u32_e32 v59, vcc_lo, s11, v53, vcc_lo
	s_clause 0x1
	global_load_b128 v[50:53], v[54:55], off offset:16
	global_load_b128 v[54:57], v[54:55], off
	global_load_b128 v[58:61], v[58:59], off
	v_lshlrev_b64 v[62:63], 4, v[20:21]
	v_add_nc_u32_e32 v20, 3, v86
	s_delay_alu instid0(VALU_DEP_1) | instskip(NEXT) | instid1(VALU_DEP_3)
	v_lshlrev_b64 v[64:65], 4, v[20:21]
	v_add_co_u32 v66, vcc_lo, s8, v62
	s_delay_alu instid0(VALU_DEP_4) | instskip(SKIP_1) | instid1(VALU_DEP_4)
	v_add_co_ci_u32_e32 v67, vcc_lo, s9, v63, vcc_lo
	v_add_nc_u32_e32 v20, -4, v19
	v_add_co_u32 v70, vcc_lo, s10, v64
	v_add_co_ci_u32_e32 v71, vcc_lo, s11, v65, vcc_lo
	s_clause 0x1
	global_load_b128 v[62:65], v[66:67], off offset:16
	global_load_b128 v[66:69], v[66:67], off
	global_load_b128 v[70:73], v[70:71], off
	v_lshlrev_b64 v[74:75], 4, v[20:21]
	v_add_nc_u32_e32 v20, 4, v86
	s_delay_alu instid0(VALU_DEP_1) | instskip(NEXT) | instid1(VALU_DEP_3)
	v_lshlrev_b64 v[76:77], 4, v[20:21]
	v_add_co_u32 v78, vcc_lo, s8, v74
	s_delay_alu instid0(VALU_DEP_4) | instskip(SKIP_1) | instid1(VALU_DEP_4)
	v_add_co_ci_u32_e32 v79, vcc_lo, s9, v75, vcc_lo
	v_add_nc_u32_e32 v20, -2, v19
	v_add_co_u32 v82, vcc_lo, s10, v76
	v_add_co_ci_u32_e32 v83, vcc_lo, s11, v77, vcc_lo
	s_clause 0x1
	global_load_b128 v[74:77], v[78:79], off offset:16
	global_load_b128 v[78:81], v[78:79], off
	global_load_b128 v[82:85], v[82:83], off
	s_waitcnt vmcnt(12)
	v_fma_f64 v[13:14], v[30:31], v[34:35], v[13:14]
	v_fma_f64 v[10:11], v[32:33], v[34:35], v[11:12]
	;; [unrolled: 1-line block ×4, first 2 shown]
	v_lshlrev_b64 v[34:35], 4, v[20:21]
	v_add_nc_u32_e32 v20, 5, v86
	v_fma_f64 v[32:33], -v[32:33], v[36:37], v[13:14]
	v_fma_f64 v[30:31], v[30:31], v[36:37], v[10:11]
	v_fma_f64 v[87:88], -v[28:29], v[36:37], v[15:16]
	v_fma_f64 v[36:37], v[26:27], v[36:37], v[17:18]
	v_lshlrev_b64 v[10:11], 4, v[20:21]
	v_add_co_u32 v14, vcc_lo, s8, v34
	v_add_co_ci_u32_e32 v15, vcc_lo, s9, v35, vcc_lo
	v_mov_b32_e32 v20, v21
	s_delay_alu instid0(VALU_DEP_4)
	v_add_co_u32 v26, vcc_lo, s10, v10
	v_add_co_ci_u32_e32 v27, vcc_lo, s11, v11, vcc_lo
	s_clause 0x1
	global_load_b128 v[10:13], v[14:15], off offset:16
	global_load_b128 v[14:17], v[14:15], off
	global_load_b128 v[26:29], v[26:27], off
	s_waitcnt vmcnt(12)
	v_fma_f64 v[34:35], v[42:43], v[46:47], v[32:33]
	v_fma_f64 v[89:90], v[44:45], v[46:47], v[30:31]
	;; [unrolled: 1-line block ×4, first 2 shown]
	v_lshlrev_b64 v[30:31], 4, v[19:20]
	v_add_nc_u32_e32 v19, 0x70, v19
	v_add_nc_u32_e32 v20, 6, v86
	s_delay_alu instid0(VALU_DEP_3) | instskip(NEXT) | instid1(VALU_DEP_4)
	v_add_co_u32 v46, vcc_lo, s8, v30
	v_add_co_ci_u32_e32 v47, vcc_lo, s9, v31, vcc_lo
	global_load_b128 v[30:33], v[46:47], off offset:16
	v_fma_f64 v[44:45], -v[44:45], v[48:49], v[34:35]
	v_fma_f64 v[42:43], v[42:43], v[48:49], v[89:90]
	v_fma_f64 v[87:88], -v[40:41], v[48:49], v[87:88]
	v_fma_f64 v[48:49], v[38:39], v[48:49], v[36:37]
	v_lshlrev_b64 v[34:35], 4, v[20:21]
	s_delay_alu instid0(VALU_DEP_1) | instskip(NEXT) | instid1(VALU_DEP_2)
	v_add_co_u32 v38, vcc_lo, s10, v34
	v_add_co_ci_u32_e32 v39, vcc_lo, s11, v35, vcc_lo
	global_load_b128 v[34:37], v[46:47], off
	global_load_b128 v[38:41], v[38:39], off
	v_cmp_ge_i32_e32 vcc_lo, v22, v24
	s_or_b32 s4, vcc_lo, s4
	s_waitcnt vmcnt(12)
	v_fma_f64 v[44:45], v[54:55], v[58:59], v[44:45]
	v_fma_f64 v[42:43], v[56:57], v[58:59], v[42:43]
	;; [unrolled: 1-line block ×4, first 2 shown]
	s_delay_alu instid0(VALU_DEP_4) | instskip(NEXT) | instid1(VALU_DEP_4)
	v_fma_f64 v[44:45], -v[56:57], v[60:61], v[44:45]
	v_fma_f64 v[42:43], v[54:55], v[60:61], v[42:43]
	s_delay_alu instid0(VALU_DEP_4) | instskip(NEXT) | instid1(VALU_DEP_4)
	v_fma_f64 v[46:47], -v[52:53], v[60:61], v[46:47]
	v_fma_f64 v[48:49], v[50:51], v[60:61], v[48:49]
	s_waitcnt vmcnt(9)
	s_delay_alu instid0(VALU_DEP_4) | instskip(NEXT) | instid1(VALU_DEP_4)
	v_fma_f64 v[44:45], v[66:67], v[70:71], v[44:45]
	v_fma_f64 v[42:43], v[68:69], v[70:71], v[42:43]
	s_delay_alu instid0(VALU_DEP_4) | instskip(NEXT) | instid1(VALU_DEP_4)
	v_fma_f64 v[46:47], v[62:63], v[70:71], v[46:47]
	v_fma_f64 v[48:49], v[64:65], v[70:71], v[48:49]
	s_delay_alu instid0(VALU_DEP_4) | instskip(NEXT) | instid1(VALU_DEP_4)
	v_fma_f64 v[44:45], -v[68:69], v[72:73], v[44:45]
	v_fma_f64 v[42:43], v[66:67], v[72:73], v[42:43]
	s_delay_alu instid0(VALU_DEP_4) | instskip(NEXT) | instid1(VALU_DEP_4)
	v_fma_f64 v[46:47], -v[64:65], v[72:73], v[46:47]
	v_fma_f64 v[48:49], v[62:63], v[72:73], v[48:49]
	s_waitcnt vmcnt(6)
	s_delay_alu instid0(VALU_DEP_4) | instskip(NEXT) | instid1(VALU_DEP_4)
	v_fma_f64 v[44:45], v[78:79], v[82:83], v[44:45]
	v_fma_f64 v[42:43], v[80:81], v[82:83], v[42:43]
	s_delay_alu instid0(VALU_DEP_4) | instskip(NEXT) | instid1(VALU_DEP_4)
	v_fma_f64 v[46:47], v[74:75], v[82:83], v[46:47]
	v_fma_f64 v[48:49], v[76:77], v[82:83], v[48:49]
	;; [unrolled: 13-line block ×4, first 2 shown]
	s_delay_alu instid0(VALU_DEP_4) | instskip(NEXT) | instid1(VALU_DEP_4)
	v_fma_f64 v[13:14], -v[36:37], v[40:41], v[16:17]
	v_fma_f64 v[11:12], v[34:35], v[40:41], v[26:27]
	s_delay_alu instid0(VALU_DEP_4) | instskip(NEXT) | instid1(VALU_DEP_4)
	v_fma_f64 v[15:16], -v[32:33], v[40:41], v[28:29]
	v_fma_f64 v[17:18], v[30:31], v[40:41], v[38:39]
	s_and_not1_b32 exec_lo, exec_lo, s4
	s_cbranch_execnz .LBB254_11
; %bb.12:
	s_or_b32 exec_lo, exec_lo, s4
.LBB254_13:
	s_delay_alu instid0(SALU_CYCLE_1)
	s_or_b32 exec_lo, exec_lo, s1
	s_cbranch_execz .LBB254_15
	s_branch .LBB254_20
.LBB254_14:
                                        ; implicit-def: $vgpr11_vgpr12
                                        ; implicit-def: $vgpr13_vgpr14
                                        ; implicit-def: $vgpr15_vgpr16
                                        ; implicit-def: $vgpr17_vgpr18
.LBB254_15:
	v_mov_b32_e32 v11, 0
	v_mov_b32_e32 v12, 0
	s_delay_alu instid0(VALU_DEP_1)
	v_dual_mov_b32 v14, v12 :: v_dual_mov_b32 v13, v11
	v_dual_mov_b32 v16, v12 :: v_dual_mov_b32 v15, v11
	;; [unrolled: 1-line block ×3, first 2 shown]
	s_and_saveexec_b32 s1, s0
	s_cbranch_execz .LBB254_19
; %bb.16:
	v_mov_b32_e32 v11, 0
	v_dual_mov_b32 v12, 0 :: v_dual_mov_b32 v21, 0
	v_mad_u64_u32 v[19:20], null, v9, 14, 13
	s_mov_b32 s0, 0
	s_delay_alu instid0(VALU_DEP_2)
	v_dual_mov_b32 v14, v12 :: v_dual_mov_b32 v13, v11
	v_dual_mov_b32 v16, v12 :: v_dual_mov_b32 v15, v11
	;; [unrolled: 1-line block ×3, first 2 shown]
.LBB254_17:                             ; =>This Inner Loop Header: Depth=1
	v_ashrrev_i32_e32 v10, 31, v9
	v_dual_mov_b32 v87, v21 :: v_dual_add_nc_u32 v20, -13, v19
	s_delay_alu instid0(VALU_DEP_2) | instskip(NEXT) | instid1(VALU_DEP_2)
	v_lshlrev_b64 v[22:23], 2, v[9:10]
	v_lshlrev_b64 v[26:27], 4, v[20:21]
	v_add_nc_u32_e32 v9, 8, v9
	s_delay_alu instid0(VALU_DEP_3) | instskip(NEXT) | instid1(VALU_DEP_4)
	v_add_co_u32 v22, vcc_lo, s6, v22
	v_add_co_ci_u32_e32 v23, vcc_lo, s7, v23, vcc_lo
	s_delay_alu instid0(VALU_DEP_4) | instskip(SKIP_3) | instid1(VALU_DEP_1)
	v_add_co_u32 v30, vcc_lo, s8, v26
	v_add_co_ci_u32_e32 v31, vcc_lo, s9, v27, vcc_lo
	global_load_b32 v10, v[22:23], off
	v_dual_mov_b32 v23, v21 :: v_dual_add_nc_u32 v22, -6, v19
	v_lshlrev_b64 v[22:23], 4, v[22:23]
	s_delay_alu instid0(VALU_DEP_1) | instskip(NEXT) | instid1(VALU_DEP_2)
	v_add_co_u32 v22, vcc_lo, s8, v22
	v_add_co_ci_u32_e32 v23, vcc_lo, s9, v23, vcc_lo
	s_clause 0x2
	global_load_b128 v[26:29], v[30:31], off offset:16
	global_load_b128 v[30:33], v[30:31], off
	global_load_b128 v[34:37], v[22:23], off
	s_waitcnt vmcnt(3)
	v_subrev_nc_u32_e32 v10, s12, v10
	s_delay_alu instid0(VALU_DEP_1) | instskip(NEXT) | instid1(VALU_DEP_1)
	v_mul_lo_u32 v86, v10, 7
	v_lshlrev_b64 v[22:23], 4, v[86:87]
	v_add_nc_u32_e32 v20, 1, v86
	s_delay_alu instid0(VALU_DEP_2) | instskip(NEXT) | instid1(VALU_DEP_3)
	v_add_co_u32 v22, vcc_lo, s10, v22
	v_add_co_ci_u32_e32 v23, vcc_lo, s11, v23, vcc_lo
	global_load_b128 v[38:41], v[22:23], off
	v_lshlrev_b64 v[22:23], 4, v[20:21]
	v_add_nc_u32_e32 v20, -5, v19
	s_delay_alu instid0(VALU_DEP_1) | instskip(NEXT) | instid1(VALU_DEP_3)
	v_lshlrev_b64 v[42:43], 4, v[20:21]
	v_add_co_u32 v22, vcc_lo, s10, v22
	s_delay_alu instid0(VALU_DEP_4) | instskip(SKIP_1) | instid1(VALU_DEP_4)
	v_add_co_ci_u32_e32 v23, vcc_lo, s11, v23, vcc_lo
	v_add_nc_u32_e32 v20, -11, v19
	v_add_co_u32 v46, vcc_lo, s8, v42
	v_add_co_ci_u32_e32 v47, vcc_lo, s9, v43, vcc_lo
	global_load_b128 v[42:45], v[22:23], off
	global_load_b128 v[46:49], v[46:47], off
	v_lshlrev_b64 v[22:23], 4, v[20:21]
	v_add_nc_u32_e32 v20, 2, v86
	s_delay_alu instid0(VALU_DEP_1) | instskip(SKIP_1) | instid1(VALU_DEP_4)
	v_lshlrev_b64 v[50:51], 4, v[20:21]
	v_add_nc_u32_e32 v20, -4, v19
	v_add_co_u32 v22, vcc_lo, s8, v22
	v_add_co_ci_u32_e32 v23, vcc_lo, s9, v23, vcc_lo
	s_delay_alu instid0(VALU_DEP_3) | instskip(SKIP_3) | instid1(VALU_DEP_4)
	v_lshlrev_b64 v[52:53], 4, v[20:21]
	v_add_co_u32 v54, vcc_lo, s10, v50
	v_add_co_ci_u32_e32 v55, vcc_lo, s11, v51, vcc_lo
	v_add_nc_u32_e32 v20, -10, v19
	v_add_co_u32 v58, vcc_lo, s8, v52
	v_add_co_ci_u32_e32 v59, vcc_lo, s9, v53, vcc_lo
	global_load_b128 v[50:53], v[22:23], off
	global_load_b128 v[54:57], v[54:55], off
	global_load_b128 v[58:61], v[58:59], off
	v_lshlrev_b64 v[22:23], 4, v[20:21]
	v_add_nc_u32_e32 v20, 3, v86
	s_delay_alu instid0(VALU_DEP_1) | instskip(SKIP_1) | instid1(VALU_DEP_4)
	v_lshlrev_b64 v[62:63], 4, v[20:21]
	v_add_nc_u32_e32 v20, -3, v19
	v_add_co_u32 v22, vcc_lo, s8, v22
	v_add_co_ci_u32_e32 v23, vcc_lo, s9, v23, vcc_lo
	s_delay_alu instid0(VALU_DEP_3) | instskip(SKIP_3) | instid1(VALU_DEP_4)
	v_lshlrev_b64 v[64:65], 4, v[20:21]
	v_add_co_u32 v66, vcc_lo, s10, v62
	v_add_co_ci_u32_e32 v67, vcc_lo, s11, v63, vcc_lo
	v_add_nc_u32_e32 v20, -9, v19
	v_add_co_u32 v70, vcc_lo, s8, v64
	v_add_co_ci_u32_e32 v71, vcc_lo, s9, v65, vcc_lo
	global_load_b128 v[62:65], v[22:23], off
	;; [unrolled: 17-line block ×3, first 2 shown]
	global_load_b128 v[78:81], v[78:79], off
	global_load_b128 v[82:85], v[82:83], off
	v_lshlrev_b64 v[22:23], 4, v[20:21]
	v_add_nc_u32_e32 v20, 5, v86
	s_waitcnt vmcnt(11)
	v_fma_f64 v[13:14], v[30:31], v[38:39], v[13:14]
	v_fma_f64 v[10:11], v[32:33], v[38:39], v[11:12]
	v_fma_f64 v[15:16], v[34:35], v[38:39], v[15:16]
	v_fma_f64 v[17:18], v[36:37], v[38:39], v[17:18]
	v_add_co_u32 v12, vcc_lo, s8, v22
	v_fma_f64 v[38:39], -v[32:33], v[40:41], v[13:14]
	v_fma_f64 v[87:88], v[30:31], v[40:41], v[10:11]
	v_fma_f64 v[36:37], -v[36:37], v[40:41], v[15:16]
	v_fma_f64 v[34:35], v[34:35], v[40:41], v[17:18]
	v_lshlrev_b64 v[10:11], 4, v[20:21]
	v_add_nc_u32_e32 v20, -1, v19
	v_add_co_ci_u32_e32 v13, vcc_lo, s9, v23, vcc_lo
	s_delay_alu instid0(VALU_DEP_2) | instskip(NEXT) | instid1(VALU_DEP_4)
	v_lshlrev_b64 v[14:15], 4, v[20:21]
	v_add_co_u32 v16, vcc_lo, s10, v10
	v_add_co_ci_u32_e32 v17, vcc_lo, s11, v11, vcc_lo
	v_mov_b32_e32 v20, v21
	s_delay_alu instid0(VALU_DEP_4)
	v_add_co_u32 v22, vcc_lo, s8, v14
	v_add_co_ci_u32_e32 v23, vcc_lo, s9, v15, vcc_lo
	global_load_b128 v[10:13], v[12:13], off
	global_load_b128 v[14:17], v[16:17], off
	;; [unrolled: 1-line block ×3, first 2 shown]
	s_waitcnt vmcnt(13)
	v_fma_f64 v[22:23], v[26:27], v[42:43], v[38:39]
	v_fma_f64 v[38:39], v[28:29], v[42:43], v[87:88]
	s_waitcnt vmcnt(12)
	v_fma_f64 v[40:41], v[46:47], v[42:43], v[36:37]
	v_fma_f64 v[42:43], v[48:49], v[42:43], v[34:35]
	v_lshlrev_b64 v[34:35], 4, v[19:20]
	v_add_nc_u32_e32 v20, -7, v19
	v_add_nc_u32_e32 v19, 0x70, v19
	s_delay_alu instid0(VALU_DEP_2)
	v_lshlrev_b64 v[87:88], 4, v[20:21]
	v_add_nc_u32_e32 v20, 6, v86
	v_add_co_u32 v34, vcc_lo, s8, v34
	v_add_co_ci_u32_e32 v35, vcc_lo, s9, v35, vcc_lo
	global_load_b128 v[34:37], v[34:35], off
	v_fma_f64 v[22:23], -v[28:29], v[44:45], v[22:23]
	v_fma_f64 v[89:90], v[26:27], v[44:45], v[38:39]
	v_fma_f64 v[48:49], -v[48:49], v[44:45], v[40:41]
	v_fma_f64 v[42:43], v[46:47], v[44:45], v[42:43]
	v_lshlrev_b64 v[26:27], 4, v[20:21]
	v_add_co_u32 v28, vcc_lo, s8, v87
	v_add_co_ci_u32_e32 v29, vcc_lo, s9, v88, vcc_lo
	s_delay_alu instid0(VALU_DEP_3) | instskip(NEXT) | instid1(VALU_DEP_4)
	v_add_co_u32 v38, vcc_lo, s10, v26
	v_add_co_ci_u32_e32 v39, vcc_lo, s11, v27, vcc_lo
	global_load_b128 v[26:29], v[28:29], off
	global_load_b128 v[38:41], v[38:39], off
	v_cmp_ge_i32_e32 vcc_lo, v9, v24
	s_or_b32 s0, vcc_lo, s0
	s_waitcnt vmcnt(13)
	v_fma_f64 v[22:23], v[50:51], v[54:55], v[22:23]
	v_fma_f64 v[44:45], v[52:53], v[54:55], v[89:90]
	s_waitcnt vmcnt(12)
	v_fma_f64 v[46:47], v[58:59], v[54:55], v[48:49]
	v_fma_f64 v[42:43], v[60:61], v[54:55], v[42:43]
	s_delay_alu instid0(VALU_DEP_4) | instskip(NEXT) | instid1(VALU_DEP_4)
	v_fma_f64 v[22:23], -v[52:53], v[56:57], v[22:23]
	v_fma_f64 v[44:45], v[50:51], v[56:57], v[44:45]
	s_delay_alu instid0(VALU_DEP_4) | instskip(NEXT) | instid1(VALU_DEP_4)
	v_fma_f64 v[46:47], -v[60:61], v[56:57], v[46:47]
	v_fma_f64 v[42:43], v[58:59], v[56:57], v[42:43]
	s_waitcnt vmcnt(10)
	s_delay_alu instid0(VALU_DEP_4) | instskip(NEXT) | instid1(VALU_DEP_4)
	v_fma_f64 v[22:23], v[62:63], v[66:67], v[22:23]
	v_fma_f64 v[44:45], v[64:65], v[66:67], v[44:45]
	s_waitcnt vmcnt(9)
	s_delay_alu instid0(VALU_DEP_4) | instskip(NEXT) | instid1(VALU_DEP_4)
	v_fma_f64 v[46:47], v[70:71], v[66:67], v[46:47]
	v_fma_f64 v[42:43], v[72:73], v[66:67], v[42:43]
	s_delay_alu instid0(VALU_DEP_4) | instskip(NEXT) | instid1(VALU_DEP_4)
	v_fma_f64 v[22:23], -v[64:65], v[68:69], v[22:23]
	v_fma_f64 v[44:45], v[62:63], v[68:69], v[44:45]
	s_delay_alu instid0(VALU_DEP_4) | instskip(NEXT) | instid1(VALU_DEP_4)
	v_fma_f64 v[46:47], -v[72:73], v[68:69], v[46:47]
	v_fma_f64 v[42:43], v[70:71], v[68:69], v[42:43]
	s_waitcnt vmcnt(7)
	s_delay_alu instid0(VALU_DEP_4) | instskip(NEXT) | instid1(VALU_DEP_4)
	v_fma_f64 v[22:23], v[74:75], v[78:79], v[22:23]
	v_fma_f64 v[44:45], v[76:77], v[78:79], v[44:45]
	s_waitcnt vmcnt(6)
	s_delay_alu instid0(VALU_DEP_4) | instskip(NEXT) | instid1(VALU_DEP_4)
	;; [unrolled: 14-line block ×3, first 2 shown]
	v_fma_f64 v[46:47], v[30:31], v[14:15], v[46:47]
	v_fma_f64 v[14:15], v[32:33], v[14:15], v[42:43]
	s_delay_alu instid0(VALU_DEP_4) | instskip(NEXT) | instid1(VALU_DEP_4)
	v_fma_f64 v[12:13], -v[12:13], v[16:17], v[22:23]
	v_fma_f64 v[10:11], v[10:11], v[16:17], v[44:45]
	s_delay_alu instid0(VALU_DEP_4) | instskip(NEXT) | instid1(VALU_DEP_4)
	v_fma_f64 v[22:23], -v[32:33], v[16:17], v[46:47]
	v_fma_f64 v[14:15], v[30:31], v[16:17], v[14:15]
	s_waitcnt vmcnt(0)
	s_delay_alu instid0(VALU_DEP_4) | instskip(NEXT) | instid1(VALU_DEP_4)
	v_fma_f64 v[12:13], v[26:27], v[38:39], v[12:13]
	v_fma_f64 v[10:11], v[28:29], v[38:39], v[10:11]
	s_delay_alu instid0(VALU_DEP_4) | instskip(NEXT) | instid1(VALU_DEP_4)
	v_fma_f64 v[16:17], v[34:35], v[38:39], v[22:23]
	v_fma_f64 v[22:23], v[36:37], v[38:39], v[14:15]
	s_delay_alu instid0(VALU_DEP_4) | instskip(NEXT) | instid1(VALU_DEP_4)
	v_fma_f64 v[13:14], -v[28:29], v[40:41], v[12:13]
	v_fma_f64 v[11:12], v[26:27], v[40:41], v[10:11]
	s_delay_alu instid0(VALU_DEP_4) | instskip(NEXT) | instid1(VALU_DEP_4)
	v_fma_f64 v[15:16], -v[36:37], v[40:41], v[16:17]
	v_fma_f64 v[17:18], v[34:35], v[40:41], v[22:23]
	s_and_not1_b32 exec_lo, exec_lo, s0
	s_cbranch_execnz .LBB254_17
; %bb.18:
	s_or_b32 exec_lo, exec_lo, s0
.LBB254_19:
	s_delay_alu instid0(SALU_CYCLE_1)
	s_or_b32 exec_lo, exec_lo, s1
.LBB254_20:
	v_mbcnt_lo_u32_b32 v26, -1, 0
	s_delay_alu instid0(VALU_DEP_1) | instskip(NEXT) | instid1(VALU_DEP_1)
	v_xor_b32_e32 v9, 4, v26
	v_cmp_gt_i32_e32 vcc_lo, 32, v9
	v_cndmask_b32_e32 v9, v26, v9, vcc_lo
	s_delay_alu instid0(VALU_DEP_1)
	v_lshlrev_b32_e32 v24, 2, v9
	ds_bpermute_b32 v9, v24, v13
	ds_bpermute_b32 v10, v24, v14
	;; [unrolled: 1-line block ×4, first 2 shown]
	s_waitcnt lgkmcnt(2)
	v_add_f64 v[9:10], v[13:14], v[9:10]
	s_waitcnt lgkmcnt(0)
	v_add_f64 v[13:14], v[15:16], v[21:22]
	v_xor_b32_e32 v15, 2, v26
	s_delay_alu instid0(VALU_DEP_1)
	v_cmp_gt_i32_e32 vcc_lo, 32, v15
	v_cndmask_b32_e32 v15, v26, v15, vcc_lo
	ds_bpermute_b32 v19, v24, v11
	ds_bpermute_b32 v20, v24, v12
	;; [unrolled: 1-line block ×4, first 2 shown]
	s_waitcnt lgkmcnt(2)
	v_add_f64 v[11:12], v[11:12], v[19:20]
	s_waitcnt lgkmcnt(0)
	v_add_f64 v[17:18], v[17:18], v[23:24]
	v_lshlrev_b32_e32 v24, 2, v15
	ds_bpermute_b32 v15, v24, v9
	ds_bpermute_b32 v16, v24, v10
	;; [unrolled: 1-line block ×4, first 2 shown]
	s_waitcnt lgkmcnt(2)
	v_add_f64 v[9:10], v[9:10], v[15:16]
	ds_bpermute_b32 v19, v24, v11
	ds_bpermute_b32 v20, v24, v12
	;; [unrolled: 1-line block ×4, first 2 shown]
	s_waitcnt lgkmcnt(2)
	v_add_f64 v[15:16], v[11:12], v[19:20]
	v_add_f64 v[11:12], v[13:14], v[21:22]
	s_waitcnt lgkmcnt(0)
	v_add_f64 v[13:14], v[17:18], v[23:24]
	v_xor_b32_e32 v17, 1, v26
	s_delay_alu instid0(VALU_DEP_1) | instskip(SKIP_2) | instid1(VALU_DEP_2)
	v_cmp_gt_i32_e32 vcc_lo, 32, v17
	v_cndmask_b32_e32 v17, v26, v17, vcc_lo
	v_cmp_eq_u32_e32 vcc_lo, 7, v25
	v_lshlrev_b32_e32 v20, 2, v17
	ds_bpermute_b32 v23, v20, v9
	ds_bpermute_b32 v24, v20, v10
	;; [unrolled: 1-line block ×8, first 2 shown]
	s_and_b32 exec_lo, exec_lo, vcc_lo
	s_cbranch_execz .LBB254_25
; %bb.21:
	v_cmp_eq_f64_e32 vcc_lo, 0, v[4:5]
	v_cmp_eq_f64_e64 s0, 0, v[6:7]
	s_waitcnt lgkmcnt(6)
	v_add_f64 v[9:10], v[9:10], v[23:24]
	s_waitcnt lgkmcnt(4)
	v_add_f64 v[15:16], v[15:16], v[21:22]
	;; [unrolled: 2-line block ×4, first 2 shown]
	s_load_b64 s[2:3], s[2:3], 0x48
	s_and_b32 s0, vcc_lo, s0
	s_delay_alu instid0(SALU_CYCLE_1) | instskip(NEXT) | instid1(SALU_CYCLE_1)
	s_and_saveexec_b32 s1, s0
	s_xor_b32 s0, exec_lo, s1
	s_cbranch_execz .LBB254_23
; %bb.22:
	s_delay_alu instid0(VALU_DEP_3) | instskip(SKIP_1) | instid1(VALU_DEP_3)
	v_mul_f64 v[4:5], v[15:16], -v[2:3]
	v_mul_f64 v[6:7], v[0:1], v[15:16]
	v_mul_f64 v[15:16], v[13:14], -v[2:3]
	v_mul_f64 v[13:14], v[0:1], v[13:14]
	v_lshlrev_b32_e32 v8, 1, v8
	v_fma_f64 v[4:5], v[0:1], v[9:10], v[4:5]
	v_fma_f64 v[6:7], v[2:3], v[9:10], v[6:7]
	;; [unrolled: 1-line block ×4, first 2 shown]
	v_ashrrev_i32_e32 v9, 31, v8
                                        ; implicit-def: $vgpr15_vgpr16
                                        ; implicit-def: $vgpr11_vgpr12
                                        ; implicit-def: $vgpr13_vgpr14
	s_delay_alu instid0(VALU_DEP_1) | instskip(SKIP_1) | instid1(VALU_DEP_1)
	v_lshlrev_b64 v[8:9], 4, v[8:9]
	s_waitcnt lgkmcnt(0)
	v_add_co_u32 v8, vcc_lo, s2, v8
	s_delay_alu instid0(VALU_DEP_2)
	v_add_co_ci_u32_e32 v9, vcc_lo, s3, v9, vcc_lo
	s_clause 0x1
	global_store_b128 v[8:9], v[4:7], off
	global_store_b128 v[8:9], v[0:3], off offset:16
                                        ; implicit-def: $vgpr0_vgpr1
                                        ; implicit-def: $vgpr2_vgpr3
                                        ; implicit-def: $vgpr4_vgpr5
                                        ; implicit-def: $vgpr6_vgpr7
                                        ; implicit-def: $vgpr8
                                        ; implicit-def: $vgpr9_vgpr10
.LBB254_23:
	s_and_not1_saveexec_b32 s0, s0
	s_cbranch_execz .LBB254_25
; %bb.24:
	v_lshlrev_b32_e32 v17, 1, v8
	s_delay_alu instid0(VALU_DEP_4) | instskip(SKIP_1) | instid1(VALU_DEP_4)
	v_mul_f64 v[27:28], v[15:16], -v[2:3]
	v_mul_f64 v[15:16], v[0:1], v[15:16]
	v_mul_f64 v[29:30], v[13:14], -v[2:3]
	v_mul_f64 v[13:14], v[0:1], v[13:14]
	v_ashrrev_i32_e32 v18, 31, v17
	s_delay_alu instid0(VALU_DEP_1) | instskip(SKIP_1) | instid1(VALU_DEP_1)
	v_lshlrev_b64 v[17:18], 4, v[17:18]
	s_waitcnt lgkmcnt(0)
	v_add_co_u32 v25, vcc_lo, s2, v17
	s_delay_alu instid0(VALU_DEP_2)
	v_add_co_ci_u32_e32 v26, vcc_lo, s3, v18, vcc_lo
	s_clause 0x1
	global_load_b128 v[17:20], v[25:26], off
	global_load_b128 v[21:24], v[25:26], off offset:16
	v_fma_f64 v[27:28], v[0:1], v[9:10], v[27:28]
	v_fma_f64 v[8:9], v[2:3], v[9:10], v[15:16]
	v_fma_f64 v[0:1], v[0:1], v[11:12], v[29:30]
	v_fma_f64 v[2:3], v[2:3], v[11:12], v[13:14]
	s_waitcnt vmcnt(1)
	s_delay_alu instid0(VALU_DEP_4) | instskip(NEXT) | instid1(VALU_DEP_4)
	v_fma_f64 v[10:11], v[4:5], v[17:18], v[27:28]
	v_fma_f64 v[8:9], v[6:7], v[17:18], v[8:9]
	s_waitcnt vmcnt(0)
	s_delay_alu instid0(VALU_DEP_4) | instskip(NEXT) | instid1(VALU_DEP_4)
	v_fma_f64 v[12:13], v[4:5], v[21:22], v[0:1]
	v_fma_f64 v[14:15], v[6:7], v[21:22], v[2:3]
	s_delay_alu instid0(VALU_DEP_4) | instskip(NEXT) | instid1(VALU_DEP_4)
	v_fma_f64 v[0:1], -v[6:7], v[19:20], v[10:11]
	v_fma_f64 v[2:3], v[4:5], v[19:20], v[8:9]
	s_delay_alu instid0(VALU_DEP_4) | instskip(NEXT) | instid1(VALU_DEP_4)
	v_fma_f64 v[6:7], -v[6:7], v[23:24], v[12:13]
	v_fma_f64 v[8:9], v[4:5], v[23:24], v[14:15]
	s_clause 0x1
	global_store_b128 v[25:26], v[0:3], off
	global_store_b128 v[25:26], v[6:9], off offset:16
.LBB254_25:
	s_nop 0
	s_sendmsg sendmsg(MSG_DEALLOC_VGPRS)
	s_endpgm
	.section	.rodata,"a",@progbits
	.p2align	6, 0x0
	.amdhsa_kernel _ZN9rocsparseL19gebsrmvn_2xn_kernelILj128ELj7ELj8E21rocsparse_complex_numIdEEEvi20rocsparse_direction_NS_24const_host_device_scalarIT2_EEPKiS8_PKS5_SA_S6_PS5_21rocsparse_index_base_b
		.amdhsa_group_segment_fixed_size 2048
		.amdhsa_private_segment_fixed_size 0
		.amdhsa_kernarg_size 88
		.amdhsa_user_sgpr_count 15
		.amdhsa_user_sgpr_dispatch_ptr 1
		.amdhsa_user_sgpr_queue_ptr 0
		.amdhsa_user_sgpr_kernarg_segment_ptr 1
		.amdhsa_user_sgpr_dispatch_id 0
		.amdhsa_user_sgpr_private_segment_size 0
		.amdhsa_wavefront_size32 1
		.amdhsa_uses_dynamic_stack 0
		.amdhsa_enable_private_segment 0
		.amdhsa_system_sgpr_workgroup_id_x 1
		.amdhsa_system_sgpr_workgroup_id_y 0
		.amdhsa_system_sgpr_workgroup_id_z 0
		.amdhsa_system_sgpr_workgroup_info 0
		.amdhsa_system_vgpr_workitem_id 2
		.amdhsa_next_free_vgpr 91
		.amdhsa_next_free_sgpr 18
		.amdhsa_reserve_vcc 1
		.amdhsa_float_round_mode_32 0
		.amdhsa_float_round_mode_16_64 0
		.amdhsa_float_denorm_mode_32 3
		.amdhsa_float_denorm_mode_16_64 3
		.amdhsa_dx10_clamp 1
		.amdhsa_ieee_mode 1
		.amdhsa_fp16_overflow 0
		.amdhsa_workgroup_processor_mode 1
		.amdhsa_memory_ordered 1
		.amdhsa_forward_progress 0
		.amdhsa_shared_vgpr_count 0
		.amdhsa_exception_fp_ieee_invalid_op 0
		.amdhsa_exception_fp_denorm_src 0
		.amdhsa_exception_fp_ieee_div_zero 0
		.amdhsa_exception_fp_ieee_overflow 0
		.amdhsa_exception_fp_ieee_underflow 0
		.amdhsa_exception_fp_ieee_inexact 0
		.amdhsa_exception_int_div_zero 0
	.end_amdhsa_kernel
	.section	.text._ZN9rocsparseL19gebsrmvn_2xn_kernelILj128ELj7ELj8E21rocsparse_complex_numIdEEEvi20rocsparse_direction_NS_24const_host_device_scalarIT2_EEPKiS8_PKS5_SA_S6_PS5_21rocsparse_index_base_b,"axG",@progbits,_ZN9rocsparseL19gebsrmvn_2xn_kernelILj128ELj7ELj8E21rocsparse_complex_numIdEEEvi20rocsparse_direction_NS_24const_host_device_scalarIT2_EEPKiS8_PKS5_SA_S6_PS5_21rocsparse_index_base_b,comdat
.Lfunc_end254:
	.size	_ZN9rocsparseL19gebsrmvn_2xn_kernelILj128ELj7ELj8E21rocsparse_complex_numIdEEEvi20rocsparse_direction_NS_24const_host_device_scalarIT2_EEPKiS8_PKS5_SA_S6_PS5_21rocsparse_index_base_b, .Lfunc_end254-_ZN9rocsparseL19gebsrmvn_2xn_kernelILj128ELj7ELj8E21rocsparse_complex_numIdEEEvi20rocsparse_direction_NS_24const_host_device_scalarIT2_EEPKiS8_PKS5_SA_S6_PS5_21rocsparse_index_base_b
                                        ; -- End function
	.section	.AMDGPU.csdata,"",@progbits
; Kernel info:
; codeLenInByte = 4120
; NumSgprs: 20
; NumVgprs: 91
; ScratchSize: 0
; MemoryBound: 0
; FloatMode: 240
; IeeeMode: 1
; LDSByteSize: 2048 bytes/workgroup (compile time only)
; SGPRBlocks: 2
; VGPRBlocks: 11
; NumSGPRsForWavesPerEU: 20
; NumVGPRsForWavesPerEU: 91
; Occupancy: 16
; WaveLimiterHint : 1
; COMPUTE_PGM_RSRC2:SCRATCH_EN: 0
; COMPUTE_PGM_RSRC2:USER_SGPR: 15
; COMPUTE_PGM_RSRC2:TRAP_HANDLER: 0
; COMPUTE_PGM_RSRC2:TGID_X_EN: 1
; COMPUTE_PGM_RSRC2:TGID_Y_EN: 0
; COMPUTE_PGM_RSRC2:TGID_Z_EN: 0
; COMPUTE_PGM_RSRC2:TIDIG_COMP_CNT: 2
	.section	.text._ZN9rocsparseL19gebsrmvn_2xn_kernelILj128ELj7ELj16E21rocsparse_complex_numIdEEEvi20rocsparse_direction_NS_24const_host_device_scalarIT2_EEPKiS8_PKS5_SA_S6_PS5_21rocsparse_index_base_b,"axG",@progbits,_ZN9rocsparseL19gebsrmvn_2xn_kernelILj128ELj7ELj16E21rocsparse_complex_numIdEEEvi20rocsparse_direction_NS_24const_host_device_scalarIT2_EEPKiS8_PKS5_SA_S6_PS5_21rocsparse_index_base_b,comdat
	.globl	_ZN9rocsparseL19gebsrmvn_2xn_kernelILj128ELj7ELj16E21rocsparse_complex_numIdEEEvi20rocsparse_direction_NS_24const_host_device_scalarIT2_EEPKiS8_PKS5_SA_S6_PS5_21rocsparse_index_base_b ; -- Begin function _ZN9rocsparseL19gebsrmvn_2xn_kernelILj128ELj7ELj16E21rocsparse_complex_numIdEEEvi20rocsparse_direction_NS_24const_host_device_scalarIT2_EEPKiS8_PKS5_SA_S6_PS5_21rocsparse_index_base_b
	.p2align	8
	.type	_ZN9rocsparseL19gebsrmvn_2xn_kernelILj128ELj7ELj16E21rocsparse_complex_numIdEEEvi20rocsparse_direction_NS_24const_host_device_scalarIT2_EEPKiS8_PKS5_SA_S6_PS5_21rocsparse_index_base_b,@function
_ZN9rocsparseL19gebsrmvn_2xn_kernelILj128ELj7ELj16E21rocsparse_complex_numIdEEEvi20rocsparse_direction_NS_24const_host_device_scalarIT2_EEPKiS8_PKS5_SA_S6_PS5_21rocsparse_index_base_b: ; @_ZN9rocsparseL19gebsrmvn_2xn_kernelILj128ELj7ELj16E21rocsparse_complex_numIdEEEvi20rocsparse_direction_NS_24const_host_device_scalarIT2_EEPKiS8_PKS5_SA_S6_PS5_21rocsparse_index_base_b
; %bb.0:
	s_load_b64 s[12:13], s[2:3], 0x50
	s_load_b64 s[16:17], s[0:1], 0x4
	s_load_b128 s[8:11], s[2:3], 0x8
	v_bfe_u32 v1, v0, 10, 10
	s_mov_b64 s[0:1], src_shared_base
	s_load_b128 s[4:7], s[2:3], 0x38
	v_and_b32_e32 v10, 0x3ff, v0
	v_bfe_u32 v0, v0, 20, 10
	s_waitcnt lgkmcnt(0)
	s_bitcmp1_b32 s13, 0
	v_mul_u32_u24_e32 v1, s17, v1
	s_cselect_b32 s0, -1, 0
	s_delay_alu instid0(SALU_CYCLE_1)
	s_and_b32 vcc_lo, s0, exec_lo
	s_cselect_b32 s13, s1, s9
	s_lshr_b32 s14, s16, 16
	v_dual_mov_b32 v2, s4 :: v_dual_mov_b32 v3, s5
	s_mul_i32 s14, s14, s17
	v_mov_b32_e32 v6, s13
	v_mad_u32_u24 v1, s14, v10, v1
	s_delay_alu instid0(VALU_DEP_1) | instskip(SKIP_1) | instid1(VALU_DEP_2)
	v_add_lshl_u32 v4, v1, v0, 3
	v_dual_mov_b32 v0, s8 :: v_dual_mov_b32 v1, s9
	v_add_nc_u32_e32 v5, 0x400, v4
	ds_store_2addr_stride64_b64 v4, v[2:3], v[0:1] offset1:2
	v_dual_mov_b32 v2, s10 :: v_dual_mov_b32 v3, s11
	v_cndmask_b32_e64 v5, s8, v5, s0
	s_xor_b32 s10, s0, -1
	flat_load_b64 v[0:1], v[5:6]
	s_cbranch_vccnz .LBB255_2
; %bb.1:
	v_dual_mov_b32 v2, s8 :: v_dual_mov_b32 v3, s9
	flat_load_b64 v[2:3], v[2:3] offset:8
.LBB255_2:
	s_and_b32 s8, s0, exec_lo
	s_cselect_b32 s1, s1, s5
	v_cndmask_b32_e64 v4, s4, v4, s0
	v_dual_mov_b32 v5, s1 :: v_dual_mov_b32 v6, s6
	v_mov_b32_e32 v7, s7
	s_and_not1_b32 vcc_lo, exec_lo, s10
	flat_load_b64 v[4:5], v[4:5]
	s_cbranch_vccnz .LBB255_4
; %bb.3:
	v_dual_mov_b32 v7, s5 :: v_dual_mov_b32 v6, s4
	flat_load_b64 v[6:7], v[6:7] offset:8
.LBB255_4:
	s_waitcnt vmcnt(1) lgkmcnt(1)
	v_cmp_eq_f64_e32 vcc_lo, 0, v[0:1]
	v_cmp_eq_f64_e64 s0, 0, v[2:3]
	s_delay_alu instid0(VALU_DEP_1)
	s_and_b32 s4, vcc_lo, s0
	s_mov_b32 s0, -1
	s_and_saveexec_b32 s1, s4
	s_cbranch_execz .LBB255_6
; %bb.5:
	s_waitcnt vmcnt(0) lgkmcnt(0)
	v_cmp_neq_f64_e32 vcc_lo, 1.0, v[4:5]
	v_cmp_neq_f64_e64 s0, 0, v[6:7]
	s_delay_alu instid0(VALU_DEP_1) | instskip(NEXT) | instid1(SALU_CYCLE_1)
	s_or_b32 s0, vcc_lo, s0
	s_or_not1_b32 s0, s0, exec_lo
.LBB255_6:
	s_or_b32 exec_lo, exec_lo, s1
	s_and_saveexec_b32 s1, s0
	s_cbranch_execz .LBB255_25
; %bb.7:
	s_load_b64 s[0:1], s[2:3], 0x0
	v_lshrrev_b32_e32 v8, 4, v10
	s_delay_alu instid0(VALU_DEP_1) | instskip(SKIP_1) | instid1(VALU_DEP_1)
	v_lshl_or_b32 v8, s15, 3, v8
	s_waitcnt lgkmcnt(0)
	v_cmp_gt_i32_e32 vcc_lo, s0, v8
	s_and_b32 exec_lo, exec_lo, vcc_lo
	s_cbranch_execz .LBB255_25
; %bb.8:
	s_load_b256 s[4:11], s[2:3], 0x18
	v_ashrrev_i32_e32 v9, 31, v8
	v_and_b32_e32 v25, 15, v10
	s_cmp_lg_u32 s1, 0
	s_delay_alu instid0(VALU_DEP_2) | instskip(SKIP_1) | instid1(VALU_DEP_1)
	v_lshlrev_b64 v[11:12], 2, v[8:9]
	s_waitcnt lgkmcnt(0)
	v_add_co_u32 v11, vcc_lo, s4, v11
	s_delay_alu instid0(VALU_DEP_2) | instskip(SKIP_4) | instid1(VALU_DEP_2)
	v_add_co_ci_u32_e32 v12, vcc_lo, s5, v12, vcc_lo
	global_load_b64 v[11:12], v[11:12], off
	s_waitcnt vmcnt(0)
	v_subrev_nc_u32_e32 v9, s12, v11
	v_subrev_nc_u32_e32 v24, s12, v12
	v_add_nc_u32_e32 v9, v9, v25
	s_delay_alu instid0(VALU_DEP_1)
	v_cmp_lt_i32_e64 s0, v9, v24
	s_cbranch_scc0 .LBB255_14
; %bb.9:
	v_mov_b32_e32 v11, 0
	v_mov_b32_e32 v12, 0
	s_delay_alu instid0(VALU_DEP_1)
	v_dual_mov_b32 v14, v12 :: v_dual_mov_b32 v13, v11
	v_dual_mov_b32 v16, v12 :: v_dual_mov_b32 v15, v11
	;; [unrolled: 1-line block ×3, first 2 shown]
	s_and_saveexec_b32 s1, s0
	s_cbranch_execz .LBB255_13
; %bb.10:
	v_dual_mov_b32 v11, 0 :: v_dual_mov_b32 v22, v9
	v_dual_mov_b32 v12, 0 :: v_dual_mov_b32 v21, 0
	v_mad_u64_u32 v[19:20], null, v9, 14, 12
	s_mov_b32 s4, 0
	s_delay_alu instid0(VALU_DEP_2)
	v_dual_mov_b32 v14, v12 :: v_dual_mov_b32 v13, v11
	v_dual_mov_b32 v16, v12 :: v_dual_mov_b32 v15, v11
	;; [unrolled: 1-line block ×3, first 2 shown]
.LBB255_11:                             ; =>This Inner Loop Header: Depth=1
	v_ashrrev_i32_e32 v23, 31, v22
	v_dual_mov_b32 v87, v21 :: v_dual_add_nc_u32 v20, -12, v19
	s_delay_alu instid0(VALU_DEP_2) | instskip(SKIP_1) | instid1(VALU_DEP_2)
	v_lshlrev_b64 v[26:27], 2, v[22:23]
	v_add_nc_u32_e32 v22, 16, v22
	v_add_co_u32 v26, vcc_lo, s6, v26
	s_delay_alu instid0(VALU_DEP_3) | instskip(SKIP_3) | instid1(VALU_DEP_1)
	v_add_co_ci_u32_e32 v27, vcc_lo, s7, v27, vcc_lo
	global_load_b32 v10, v[26:27], off
	v_lshlrev_b64 v[26:27], 4, v[20:21]
	v_add_nc_u32_e32 v20, -10, v19
	v_lshlrev_b64 v[38:39], 4, v[20:21]
	s_delay_alu instid0(VALU_DEP_3) | instskip(NEXT) | instid1(VALU_DEP_4)
	v_add_co_u32 v30, vcc_lo, s8, v26
	v_add_co_ci_u32_e32 v31, vcc_lo, s9, v27, vcc_lo
	global_load_b128 v[26:29], v[30:31], off offset:16
	s_waitcnt vmcnt(1)
	v_subrev_nc_u32_e32 v10, s12, v10
	s_delay_alu instid0(VALU_DEP_1) | instskip(NEXT) | instid1(VALU_DEP_1)
	v_mul_lo_u32 v86, v10, 7
	v_lshlrev_b64 v[32:33], 4, v[86:87]
	v_add_nc_u32_e32 v20, 1, v86
	s_delay_alu instid0(VALU_DEP_1) | instskip(NEXT) | instid1(VALU_DEP_3)
	v_lshlrev_b64 v[44:45], 4, v[20:21]
	v_add_co_u32 v34, vcc_lo, s10, v32
	s_delay_alu instid0(VALU_DEP_4)
	v_add_co_ci_u32_e32 v35, vcc_lo, s11, v33, vcc_lo
	v_add_co_u32 v42, vcc_lo, s8, v38
	global_load_b128 v[30:33], v[30:31], off
	global_load_b128 v[34:37], v[34:35], off
	v_add_co_ci_u32_e32 v43, vcc_lo, s9, v39, vcc_lo
	v_add_co_u32 v46, vcc_lo, s10, v44
	v_add_co_ci_u32_e32 v47, vcc_lo, s11, v45, vcc_lo
	s_clause 0x1
	global_load_b128 v[38:41], v[42:43], off offset:16
	global_load_b128 v[42:45], v[42:43], off
	global_load_b128 v[46:49], v[46:47], off
	v_add_nc_u32_e32 v20, -8, v19
	s_delay_alu instid0(VALU_DEP_1) | instskip(SKIP_1) | instid1(VALU_DEP_1)
	v_lshlrev_b64 v[50:51], 4, v[20:21]
	v_add_nc_u32_e32 v20, 2, v86
	v_lshlrev_b64 v[52:53], 4, v[20:21]
	s_delay_alu instid0(VALU_DEP_3) | instskip(NEXT) | instid1(VALU_DEP_4)
	v_add_co_u32 v54, vcc_lo, s8, v50
	v_add_co_ci_u32_e32 v55, vcc_lo, s9, v51, vcc_lo
	v_add_nc_u32_e32 v20, -6, v19
	s_delay_alu instid0(VALU_DEP_4)
	v_add_co_u32 v58, vcc_lo, s10, v52
	v_add_co_ci_u32_e32 v59, vcc_lo, s11, v53, vcc_lo
	s_clause 0x1
	global_load_b128 v[50:53], v[54:55], off offset:16
	global_load_b128 v[54:57], v[54:55], off
	global_load_b128 v[58:61], v[58:59], off
	v_lshlrev_b64 v[62:63], 4, v[20:21]
	v_add_nc_u32_e32 v20, 3, v86
	s_delay_alu instid0(VALU_DEP_1) | instskip(NEXT) | instid1(VALU_DEP_3)
	v_lshlrev_b64 v[64:65], 4, v[20:21]
	v_add_co_u32 v66, vcc_lo, s8, v62
	s_delay_alu instid0(VALU_DEP_4) | instskip(SKIP_1) | instid1(VALU_DEP_4)
	v_add_co_ci_u32_e32 v67, vcc_lo, s9, v63, vcc_lo
	v_add_nc_u32_e32 v20, -4, v19
	v_add_co_u32 v70, vcc_lo, s10, v64
	v_add_co_ci_u32_e32 v71, vcc_lo, s11, v65, vcc_lo
	s_clause 0x1
	global_load_b128 v[62:65], v[66:67], off offset:16
	global_load_b128 v[66:69], v[66:67], off
	global_load_b128 v[70:73], v[70:71], off
	v_lshlrev_b64 v[74:75], 4, v[20:21]
	v_add_nc_u32_e32 v20, 4, v86
	s_delay_alu instid0(VALU_DEP_1) | instskip(NEXT) | instid1(VALU_DEP_3)
	v_lshlrev_b64 v[76:77], 4, v[20:21]
	v_add_co_u32 v78, vcc_lo, s8, v74
	s_delay_alu instid0(VALU_DEP_4) | instskip(SKIP_1) | instid1(VALU_DEP_4)
	v_add_co_ci_u32_e32 v79, vcc_lo, s9, v75, vcc_lo
	v_add_nc_u32_e32 v20, -2, v19
	v_add_co_u32 v82, vcc_lo, s10, v76
	v_add_co_ci_u32_e32 v83, vcc_lo, s11, v77, vcc_lo
	s_clause 0x1
	global_load_b128 v[74:77], v[78:79], off offset:16
	global_load_b128 v[78:81], v[78:79], off
	global_load_b128 v[82:85], v[82:83], off
	s_waitcnt vmcnt(12)
	v_fma_f64 v[13:14], v[30:31], v[34:35], v[13:14]
	v_fma_f64 v[10:11], v[32:33], v[34:35], v[11:12]
	;; [unrolled: 1-line block ×4, first 2 shown]
	v_lshlrev_b64 v[34:35], 4, v[20:21]
	v_add_nc_u32_e32 v20, 5, v86
	v_fma_f64 v[32:33], -v[32:33], v[36:37], v[13:14]
	v_fma_f64 v[30:31], v[30:31], v[36:37], v[10:11]
	v_fma_f64 v[87:88], -v[28:29], v[36:37], v[15:16]
	v_fma_f64 v[36:37], v[26:27], v[36:37], v[17:18]
	v_lshlrev_b64 v[10:11], 4, v[20:21]
	v_add_co_u32 v14, vcc_lo, s8, v34
	v_add_co_ci_u32_e32 v15, vcc_lo, s9, v35, vcc_lo
	v_mov_b32_e32 v20, v21
	s_delay_alu instid0(VALU_DEP_4)
	v_add_co_u32 v26, vcc_lo, s10, v10
	v_add_co_ci_u32_e32 v27, vcc_lo, s11, v11, vcc_lo
	s_clause 0x1
	global_load_b128 v[10:13], v[14:15], off offset:16
	global_load_b128 v[14:17], v[14:15], off
	global_load_b128 v[26:29], v[26:27], off
	s_waitcnt vmcnt(12)
	v_fma_f64 v[34:35], v[42:43], v[46:47], v[32:33]
	v_fma_f64 v[89:90], v[44:45], v[46:47], v[30:31]
	;; [unrolled: 1-line block ×4, first 2 shown]
	v_lshlrev_b64 v[30:31], 4, v[19:20]
	v_add_nc_u32_e32 v19, 0xe0, v19
	v_add_nc_u32_e32 v20, 6, v86
	s_delay_alu instid0(VALU_DEP_3) | instskip(NEXT) | instid1(VALU_DEP_4)
	v_add_co_u32 v46, vcc_lo, s8, v30
	v_add_co_ci_u32_e32 v47, vcc_lo, s9, v31, vcc_lo
	global_load_b128 v[30:33], v[46:47], off offset:16
	v_fma_f64 v[44:45], -v[44:45], v[48:49], v[34:35]
	v_fma_f64 v[42:43], v[42:43], v[48:49], v[89:90]
	v_fma_f64 v[87:88], -v[40:41], v[48:49], v[87:88]
	v_fma_f64 v[48:49], v[38:39], v[48:49], v[36:37]
	v_lshlrev_b64 v[34:35], 4, v[20:21]
	s_delay_alu instid0(VALU_DEP_1) | instskip(NEXT) | instid1(VALU_DEP_2)
	v_add_co_u32 v38, vcc_lo, s10, v34
	v_add_co_ci_u32_e32 v39, vcc_lo, s11, v35, vcc_lo
	global_load_b128 v[34:37], v[46:47], off
	global_load_b128 v[38:41], v[38:39], off
	v_cmp_ge_i32_e32 vcc_lo, v22, v24
	s_or_b32 s4, vcc_lo, s4
	s_waitcnt vmcnt(12)
	v_fma_f64 v[44:45], v[54:55], v[58:59], v[44:45]
	v_fma_f64 v[42:43], v[56:57], v[58:59], v[42:43]
	;; [unrolled: 1-line block ×4, first 2 shown]
	s_delay_alu instid0(VALU_DEP_4) | instskip(NEXT) | instid1(VALU_DEP_4)
	v_fma_f64 v[44:45], -v[56:57], v[60:61], v[44:45]
	v_fma_f64 v[42:43], v[54:55], v[60:61], v[42:43]
	s_delay_alu instid0(VALU_DEP_4) | instskip(NEXT) | instid1(VALU_DEP_4)
	v_fma_f64 v[46:47], -v[52:53], v[60:61], v[46:47]
	v_fma_f64 v[48:49], v[50:51], v[60:61], v[48:49]
	s_waitcnt vmcnt(9)
	s_delay_alu instid0(VALU_DEP_4) | instskip(NEXT) | instid1(VALU_DEP_4)
	v_fma_f64 v[44:45], v[66:67], v[70:71], v[44:45]
	v_fma_f64 v[42:43], v[68:69], v[70:71], v[42:43]
	s_delay_alu instid0(VALU_DEP_4) | instskip(NEXT) | instid1(VALU_DEP_4)
	v_fma_f64 v[46:47], v[62:63], v[70:71], v[46:47]
	v_fma_f64 v[48:49], v[64:65], v[70:71], v[48:49]
	s_delay_alu instid0(VALU_DEP_4) | instskip(NEXT) | instid1(VALU_DEP_4)
	v_fma_f64 v[44:45], -v[68:69], v[72:73], v[44:45]
	v_fma_f64 v[42:43], v[66:67], v[72:73], v[42:43]
	s_delay_alu instid0(VALU_DEP_4) | instskip(NEXT) | instid1(VALU_DEP_4)
	v_fma_f64 v[46:47], -v[64:65], v[72:73], v[46:47]
	v_fma_f64 v[48:49], v[62:63], v[72:73], v[48:49]
	s_waitcnt vmcnt(6)
	s_delay_alu instid0(VALU_DEP_4) | instskip(NEXT) | instid1(VALU_DEP_4)
	v_fma_f64 v[44:45], v[78:79], v[82:83], v[44:45]
	v_fma_f64 v[42:43], v[80:81], v[82:83], v[42:43]
	s_delay_alu instid0(VALU_DEP_4) | instskip(NEXT) | instid1(VALU_DEP_4)
	v_fma_f64 v[46:47], v[74:75], v[82:83], v[46:47]
	v_fma_f64 v[48:49], v[76:77], v[82:83], v[48:49]
	;; [unrolled: 13-line block ×4, first 2 shown]
	s_delay_alu instid0(VALU_DEP_4) | instskip(NEXT) | instid1(VALU_DEP_4)
	v_fma_f64 v[13:14], -v[36:37], v[40:41], v[16:17]
	v_fma_f64 v[11:12], v[34:35], v[40:41], v[26:27]
	s_delay_alu instid0(VALU_DEP_4) | instskip(NEXT) | instid1(VALU_DEP_4)
	v_fma_f64 v[15:16], -v[32:33], v[40:41], v[28:29]
	v_fma_f64 v[17:18], v[30:31], v[40:41], v[38:39]
	s_and_not1_b32 exec_lo, exec_lo, s4
	s_cbranch_execnz .LBB255_11
; %bb.12:
	s_or_b32 exec_lo, exec_lo, s4
.LBB255_13:
	s_delay_alu instid0(SALU_CYCLE_1)
	s_or_b32 exec_lo, exec_lo, s1
	s_cbranch_execz .LBB255_15
	s_branch .LBB255_20
.LBB255_14:
                                        ; implicit-def: $vgpr11_vgpr12
                                        ; implicit-def: $vgpr13_vgpr14
                                        ; implicit-def: $vgpr15_vgpr16
                                        ; implicit-def: $vgpr17_vgpr18
.LBB255_15:
	v_mov_b32_e32 v11, 0
	v_mov_b32_e32 v12, 0
	s_delay_alu instid0(VALU_DEP_1)
	v_dual_mov_b32 v14, v12 :: v_dual_mov_b32 v13, v11
	v_dual_mov_b32 v16, v12 :: v_dual_mov_b32 v15, v11
	;; [unrolled: 1-line block ×3, first 2 shown]
	s_and_saveexec_b32 s1, s0
	s_cbranch_execz .LBB255_19
; %bb.16:
	v_mov_b32_e32 v11, 0
	v_dual_mov_b32 v12, 0 :: v_dual_mov_b32 v21, 0
	v_mad_u64_u32 v[19:20], null, v9, 14, 13
	s_mov_b32 s0, 0
	s_delay_alu instid0(VALU_DEP_2)
	v_dual_mov_b32 v14, v12 :: v_dual_mov_b32 v13, v11
	v_dual_mov_b32 v16, v12 :: v_dual_mov_b32 v15, v11
	;; [unrolled: 1-line block ×3, first 2 shown]
.LBB255_17:                             ; =>This Inner Loop Header: Depth=1
	v_ashrrev_i32_e32 v10, 31, v9
	v_dual_mov_b32 v87, v21 :: v_dual_add_nc_u32 v20, -13, v19
	s_delay_alu instid0(VALU_DEP_2) | instskip(NEXT) | instid1(VALU_DEP_2)
	v_lshlrev_b64 v[22:23], 2, v[9:10]
	v_lshlrev_b64 v[26:27], 4, v[20:21]
	v_add_nc_u32_e32 v9, 16, v9
	s_delay_alu instid0(VALU_DEP_3) | instskip(NEXT) | instid1(VALU_DEP_4)
	v_add_co_u32 v22, vcc_lo, s6, v22
	v_add_co_ci_u32_e32 v23, vcc_lo, s7, v23, vcc_lo
	s_delay_alu instid0(VALU_DEP_4) | instskip(SKIP_3) | instid1(VALU_DEP_1)
	v_add_co_u32 v30, vcc_lo, s8, v26
	v_add_co_ci_u32_e32 v31, vcc_lo, s9, v27, vcc_lo
	global_load_b32 v10, v[22:23], off
	v_dual_mov_b32 v23, v21 :: v_dual_add_nc_u32 v22, -6, v19
	v_lshlrev_b64 v[22:23], 4, v[22:23]
	s_delay_alu instid0(VALU_DEP_1) | instskip(NEXT) | instid1(VALU_DEP_2)
	v_add_co_u32 v22, vcc_lo, s8, v22
	v_add_co_ci_u32_e32 v23, vcc_lo, s9, v23, vcc_lo
	s_clause 0x2
	global_load_b128 v[26:29], v[30:31], off offset:16
	global_load_b128 v[30:33], v[30:31], off
	global_load_b128 v[34:37], v[22:23], off
	s_waitcnt vmcnt(3)
	v_subrev_nc_u32_e32 v10, s12, v10
	s_delay_alu instid0(VALU_DEP_1) | instskip(NEXT) | instid1(VALU_DEP_1)
	v_mul_lo_u32 v86, v10, 7
	v_lshlrev_b64 v[22:23], 4, v[86:87]
	v_add_nc_u32_e32 v20, 1, v86
	s_delay_alu instid0(VALU_DEP_2) | instskip(NEXT) | instid1(VALU_DEP_3)
	v_add_co_u32 v22, vcc_lo, s10, v22
	v_add_co_ci_u32_e32 v23, vcc_lo, s11, v23, vcc_lo
	global_load_b128 v[38:41], v[22:23], off
	v_lshlrev_b64 v[22:23], 4, v[20:21]
	v_add_nc_u32_e32 v20, -5, v19
	s_delay_alu instid0(VALU_DEP_1) | instskip(NEXT) | instid1(VALU_DEP_3)
	v_lshlrev_b64 v[42:43], 4, v[20:21]
	v_add_co_u32 v22, vcc_lo, s10, v22
	s_delay_alu instid0(VALU_DEP_4) | instskip(SKIP_1) | instid1(VALU_DEP_4)
	v_add_co_ci_u32_e32 v23, vcc_lo, s11, v23, vcc_lo
	v_add_nc_u32_e32 v20, -11, v19
	v_add_co_u32 v46, vcc_lo, s8, v42
	v_add_co_ci_u32_e32 v47, vcc_lo, s9, v43, vcc_lo
	global_load_b128 v[42:45], v[22:23], off
	global_load_b128 v[46:49], v[46:47], off
	v_lshlrev_b64 v[22:23], 4, v[20:21]
	v_add_nc_u32_e32 v20, 2, v86
	s_delay_alu instid0(VALU_DEP_1) | instskip(SKIP_1) | instid1(VALU_DEP_4)
	v_lshlrev_b64 v[50:51], 4, v[20:21]
	v_add_nc_u32_e32 v20, -4, v19
	v_add_co_u32 v22, vcc_lo, s8, v22
	v_add_co_ci_u32_e32 v23, vcc_lo, s9, v23, vcc_lo
	s_delay_alu instid0(VALU_DEP_3) | instskip(SKIP_3) | instid1(VALU_DEP_4)
	v_lshlrev_b64 v[52:53], 4, v[20:21]
	v_add_co_u32 v54, vcc_lo, s10, v50
	v_add_co_ci_u32_e32 v55, vcc_lo, s11, v51, vcc_lo
	v_add_nc_u32_e32 v20, -10, v19
	v_add_co_u32 v58, vcc_lo, s8, v52
	v_add_co_ci_u32_e32 v59, vcc_lo, s9, v53, vcc_lo
	global_load_b128 v[50:53], v[22:23], off
	global_load_b128 v[54:57], v[54:55], off
	global_load_b128 v[58:61], v[58:59], off
	v_lshlrev_b64 v[22:23], 4, v[20:21]
	v_add_nc_u32_e32 v20, 3, v86
	s_delay_alu instid0(VALU_DEP_1) | instskip(SKIP_1) | instid1(VALU_DEP_4)
	v_lshlrev_b64 v[62:63], 4, v[20:21]
	v_add_nc_u32_e32 v20, -3, v19
	v_add_co_u32 v22, vcc_lo, s8, v22
	v_add_co_ci_u32_e32 v23, vcc_lo, s9, v23, vcc_lo
	s_delay_alu instid0(VALU_DEP_3) | instskip(SKIP_3) | instid1(VALU_DEP_4)
	v_lshlrev_b64 v[64:65], 4, v[20:21]
	v_add_co_u32 v66, vcc_lo, s10, v62
	v_add_co_ci_u32_e32 v67, vcc_lo, s11, v63, vcc_lo
	v_add_nc_u32_e32 v20, -9, v19
	v_add_co_u32 v70, vcc_lo, s8, v64
	v_add_co_ci_u32_e32 v71, vcc_lo, s9, v65, vcc_lo
	global_load_b128 v[62:65], v[22:23], off
	;; [unrolled: 17-line block ×3, first 2 shown]
	global_load_b128 v[78:81], v[78:79], off
	global_load_b128 v[82:85], v[82:83], off
	v_lshlrev_b64 v[22:23], 4, v[20:21]
	v_add_nc_u32_e32 v20, 5, v86
	s_waitcnt vmcnt(11)
	v_fma_f64 v[13:14], v[30:31], v[38:39], v[13:14]
	v_fma_f64 v[10:11], v[32:33], v[38:39], v[11:12]
	;; [unrolled: 1-line block ×4, first 2 shown]
	v_add_co_u32 v12, vcc_lo, s8, v22
	v_fma_f64 v[38:39], -v[32:33], v[40:41], v[13:14]
	v_fma_f64 v[87:88], v[30:31], v[40:41], v[10:11]
	v_fma_f64 v[36:37], -v[36:37], v[40:41], v[15:16]
	v_fma_f64 v[34:35], v[34:35], v[40:41], v[17:18]
	v_lshlrev_b64 v[10:11], 4, v[20:21]
	v_add_nc_u32_e32 v20, -1, v19
	v_add_co_ci_u32_e32 v13, vcc_lo, s9, v23, vcc_lo
	s_delay_alu instid0(VALU_DEP_2) | instskip(NEXT) | instid1(VALU_DEP_4)
	v_lshlrev_b64 v[14:15], 4, v[20:21]
	v_add_co_u32 v16, vcc_lo, s10, v10
	v_add_co_ci_u32_e32 v17, vcc_lo, s11, v11, vcc_lo
	v_mov_b32_e32 v20, v21
	s_delay_alu instid0(VALU_DEP_4)
	v_add_co_u32 v22, vcc_lo, s8, v14
	v_add_co_ci_u32_e32 v23, vcc_lo, s9, v15, vcc_lo
	global_load_b128 v[10:13], v[12:13], off
	global_load_b128 v[14:17], v[16:17], off
	;; [unrolled: 1-line block ×3, first 2 shown]
	s_waitcnt vmcnt(13)
	v_fma_f64 v[22:23], v[26:27], v[42:43], v[38:39]
	v_fma_f64 v[38:39], v[28:29], v[42:43], v[87:88]
	s_waitcnt vmcnt(12)
	v_fma_f64 v[40:41], v[46:47], v[42:43], v[36:37]
	v_fma_f64 v[42:43], v[48:49], v[42:43], v[34:35]
	v_lshlrev_b64 v[34:35], 4, v[19:20]
	v_add_nc_u32_e32 v20, -7, v19
	v_add_nc_u32_e32 v19, 0xe0, v19
	s_delay_alu instid0(VALU_DEP_2)
	v_lshlrev_b64 v[87:88], 4, v[20:21]
	v_add_nc_u32_e32 v20, 6, v86
	v_add_co_u32 v34, vcc_lo, s8, v34
	v_add_co_ci_u32_e32 v35, vcc_lo, s9, v35, vcc_lo
	global_load_b128 v[34:37], v[34:35], off
	v_fma_f64 v[22:23], -v[28:29], v[44:45], v[22:23]
	v_fma_f64 v[89:90], v[26:27], v[44:45], v[38:39]
	v_fma_f64 v[48:49], -v[48:49], v[44:45], v[40:41]
	v_fma_f64 v[42:43], v[46:47], v[44:45], v[42:43]
	v_lshlrev_b64 v[26:27], 4, v[20:21]
	v_add_co_u32 v28, vcc_lo, s8, v87
	v_add_co_ci_u32_e32 v29, vcc_lo, s9, v88, vcc_lo
	s_delay_alu instid0(VALU_DEP_3) | instskip(NEXT) | instid1(VALU_DEP_4)
	v_add_co_u32 v38, vcc_lo, s10, v26
	v_add_co_ci_u32_e32 v39, vcc_lo, s11, v27, vcc_lo
	global_load_b128 v[26:29], v[28:29], off
	global_load_b128 v[38:41], v[38:39], off
	v_cmp_ge_i32_e32 vcc_lo, v9, v24
	s_or_b32 s0, vcc_lo, s0
	s_waitcnt vmcnt(13)
	v_fma_f64 v[22:23], v[50:51], v[54:55], v[22:23]
	v_fma_f64 v[44:45], v[52:53], v[54:55], v[89:90]
	s_waitcnt vmcnt(12)
	v_fma_f64 v[46:47], v[58:59], v[54:55], v[48:49]
	v_fma_f64 v[42:43], v[60:61], v[54:55], v[42:43]
	s_delay_alu instid0(VALU_DEP_4) | instskip(NEXT) | instid1(VALU_DEP_4)
	v_fma_f64 v[22:23], -v[52:53], v[56:57], v[22:23]
	v_fma_f64 v[44:45], v[50:51], v[56:57], v[44:45]
	s_delay_alu instid0(VALU_DEP_4) | instskip(NEXT) | instid1(VALU_DEP_4)
	v_fma_f64 v[46:47], -v[60:61], v[56:57], v[46:47]
	v_fma_f64 v[42:43], v[58:59], v[56:57], v[42:43]
	s_waitcnt vmcnt(10)
	s_delay_alu instid0(VALU_DEP_4) | instskip(NEXT) | instid1(VALU_DEP_4)
	v_fma_f64 v[22:23], v[62:63], v[66:67], v[22:23]
	v_fma_f64 v[44:45], v[64:65], v[66:67], v[44:45]
	s_waitcnt vmcnt(9)
	s_delay_alu instid0(VALU_DEP_4) | instskip(NEXT) | instid1(VALU_DEP_4)
	v_fma_f64 v[46:47], v[70:71], v[66:67], v[46:47]
	v_fma_f64 v[42:43], v[72:73], v[66:67], v[42:43]
	s_delay_alu instid0(VALU_DEP_4) | instskip(NEXT) | instid1(VALU_DEP_4)
	v_fma_f64 v[22:23], -v[64:65], v[68:69], v[22:23]
	v_fma_f64 v[44:45], v[62:63], v[68:69], v[44:45]
	s_delay_alu instid0(VALU_DEP_4) | instskip(NEXT) | instid1(VALU_DEP_4)
	v_fma_f64 v[46:47], -v[72:73], v[68:69], v[46:47]
	v_fma_f64 v[42:43], v[70:71], v[68:69], v[42:43]
	s_waitcnt vmcnt(7)
	s_delay_alu instid0(VALU_DEP_4) | instskip(NEXT) | instid1(VALU_DEP_4)
	v_fma_f64 v[22:23], v[74:75], v[78:79], v[22:23]
	v_fma_f64 v[44:45], v[76:77], v[78:79], v[44:45]
	s_waitcnt vmcnt(6)
	s_delay_alu instid0(VALU_DEP_4) | instskip(NEXT) | instid1(VALU_DEP_4)
	;; [unrolled: 14-line block ×3, first 2 shown]
	v_fma_f64 v[46:47], v[30:31], v[14:15], v[46:47]
	v_fma_f64 v[14:15], v[32:33], v[14:15], v[42:43]
	s_delay_alu instid0(VALU_DEP_4) | instskip(NEXT) | instid1(VALU_DEP_4)
	v_fma_f64 v[12:13], -v[12:13], v[16:17], v[22:23]
	v_fma_f64 v[10:11], v[10:11], v[16:17], v[44:45]
	s_delay_alu instid0(VALU_DEP_4) | instskip(NEXT) | instid1(VALU_DEP_4)
	v_fma_f64 v[22:23], -v[32:33], v[16:17], v[46:47]
	v_fma_f64 v[14:15], v[30:31], v[16:17], v[14:15]
	s_waitcnt vmcnt(0)
	s_delay_alu instid0(VALU_DEP_4) | instskip(NEXT) | instid1(VALU_DEP_4)
	v_fma_f64 v[12:13], v[26:27], v[38:39], v[12:13]
	v_fma_f64 v[10:11], v[28:29], v[38:39], v[10:11]
	s_delay_alu instid0(VALU_DEP_4) | instskip(NEXT) | instid1(VALU_DEP_4)
	v_fma_f64 v[16:17], v[34:35], v[38:39], v[22:23]
	v_fma_f64 v[22:23], v[36:37], v[38:39], v[14:15]
	s_delay_alu instid0(VALU_DEP_4) | instskip(NEXT) | instid1(VALU_DEP_4)
	v_fma_f64 v[13:14], -v[28:29], v[40:41], v[12:13]
	v_fma_f64 v[11:12], v[26:27], v[40:41], v[10:11]
	s_delay_alu instid0(VALU_DEP_4) | instskip(NEXT) | instid1(VALU_DEP_4)
	v_fma_f64 v[15:16], -v[36:37], v[40:41], v[16:17]
	v_fma_f64 v[17:18], v[34:35], v[40:41], v[22:23]
	s_and_not1_b32 exec_lo, exec_lo, s0
	s_cbranch_execnz .LBB255_17
; %bb.18:
	s_or_b32 exec_lo, exec_lo, s0
.LBB255_19:
	s_delay_alu instid0(SALU_CYCLE_1)
	s_or_b32 exec_lo, exec_lo, s1
.LBB255_20:
	v_mbcnt_lo_u32_b32 v26, -1, 0
	s_delay_alu instid0(VALU_DEP_1) | instskip(NEXT) | instid1(VALU_DEP_1)
	v_xor_b32_e32 v9, 8, v26
	v_cmp_gt_i32_e32 vcc_lo, 32, v9
	v_cndmask_b32_e32 v9, v26, v9, vcc_lo
	s_delay_alu instid0(VALU_DEP_1)
	v_lshlrev_b32_e32 v24, 2, v9
	ds_bpermute_b32 v9, v24, v13
	ds_bpermute_b32 v10, v24, v14
	;; [unrolled: 1-line block ×8, first 2 shown]
	s_waitcnt lgkmcnt(6)
	v_add_f64 v[9:10], v[13:14], v[9:10]
	s_waitcnt lgkmcnt(4)
	v_add_f64 v[11:12], v[11:12], v[19:20]
	;; [unrolled: 2-line block ×4, first 2 shown]
	v_xor_b32_e32 v17, 4, v26
	s_delay_alu instid0(VALU_DEP_1) | instskip(SKIP_1) | instid1(VALU_DEP_1)
	v_cmp_gt_i32_e32 vcc_lo, 32, v17
	v_cndmask_b32_e32 v17, v26, v17, vcc_lo
	v_lshlrev_b32_e32 v24, 2, v17
	ds_bpermute_b32 v17, v24, v9
	ds_bpermute_b32 v18, v24, v10
	;; [unrolled: 1-line block ×8, first 2 shown]
	s_waitcnt lgkmcnt(6)
	v_add_f64 v[9:10], v[9:10], v[17:18]
	s_waitcnt lgkmcnt(4)
	v_add_f64 v[11:12], v[11:12], v[19:20]
	;; [unrolled: 2-line block ×4, first 2 shown]
	v_xor_b32_e32 v15, 2, v26
	s_delay_alu instid0(VALU_DEP_1) | instskip(SKIP_1) | instid1(VALU_DEP_1)
	v_cmp_gt_i32_e32 vcc_lo, 32, v15
	v_cndmask_b32_e32 v15, v26, v15, vcc_lo
	v_lshlrev_b32_e32 v24, 2, v15
	ds_bpermute_b32 v15, v24, v9
	ds_bpermute_b32 v16, v24, v10
	;; [unrolled: 1-line block ×8, first 2 shown]
	s_waitcnt lgkmcnt(6)
	v_add_f64 v[9:10], v[9:10], v[15:16]
	s_waitcnt lgkmcnt(4)
	v_add_f64 v[15:16], v[11:12], v[19:20]
	;; [unrolled: 2-line block ×4, first 2 shown]
	v_xor_b32_e32 v17, 1, v26
	s_delay_alu instid0(VALU_DEP_1) | instskip(SKIP_2) | instid1(VALU_DEP_2)
	v_cmp_gt_i32_e32 vcc_lo, 32, v17
	v_cndmask_b32_e32 v17, v26, v17, vcc_lo
	v_cmp_eq_u32_e32 vcc_lo, 15, v25
	v_lshlrev_b32_e32 v20, 2, v17
	ds_bpermute_b32 v23, v20, v9
	ds_bpermute_b32 v24, v20, v10
	;; [unrolled: 1-line block ×8, first 2 shown]
	s_and_b32 exec_lo, exec_lo, vcc_lo
	s_cbranch_execz .LBB255_25
; %bb.21:
	v_cmp_eq_f64_e32 vcc_lo, 0, v[4:5]
	v_cmp_eq_f64_e64 s0, 0, v[6:7]
	s_waitcnt lgkmcnt(6)
	v_add_f64 v[9:10], v[9:10], v[23:24]
	s_waitcnt lgkmcnt(4)
	v_add_f64 v[15:16], v[15:16], v[21:22]
	;; [unrolled: 2-line block ×4, first 2 shown]
	s_load_b64 s[2:3], s[2:3], 0x48
	s_and_b32 s0, vcc_lo, s0
	s_delay_alu instid0(SALU_CYCLE_1) | instskip(NEXT) | instid1(SALU_CYCLE_1)
	s_and_saveexec_b32 s1, s0
	s_xor_b32 s0, exec_lo, s1
	s_cbranch_execz .LBB255_23
; %bb.22:
	s_delay_alu instid0(VALU_DEP_3) | instskip(SKIP_1) | instid1(VALU_DEP_3)
	v_mul_f64 v[4:5], v[15:16], -v[2:3]
	v_mul_f64 v[6:7], v[0:1], v[15:16]
	v_mul_f64 v[15:16], v[13:14], -v[2:3]
	v_mul_f64 v[13:14], v[0:1], v[13:14]
	v_lshlrev_b32_e32 v8, 1, v8
	v_fma_f64 v[4:5], v[0:1], v[9:10], v[4:5]
	v_fma_f64 v[6:7], v[2:3], v[9:10], v[6:7]
	;; [unrolled: 1-line block ×4, first 2 shown]
	v_ashrrev_i32_e32 v9, 31, v8
                                        ; implicit-def: $vgpr15_vgpr16
                                        ; implicit-def: $vgpr11_vgpr12
                                        ; implicit-def: $vgpr13_vgpr14
	s_delay_alu instid0(VALU_DEP_1) | instskip(SKIP_1) | instid1(VALU_DEP_1)
	v_lshlrev_b64 v[8:9], 4, v[8:9]
	s_waitcnt lgkmcnt(0)
	v_add_co_u32 v8, vcc_lo, s2, v8
	s_delay_alu instid0(VALU_DEP_2)
	v_add_co_ci_u32_e32 v9, vcc_lo, s3, v9, vcc_lo
	s_clause 0x1
	global_store_b128 v[8:9], v[4:7], off
	global_store_b128 v[8:9], v[0:3], off offset:16
                                        ; implicit-def: $vgpr0_vgpr1
                                        ; implicit-def: $vgpr2_vgpr3
                                        ; implicit-def: $vgpr4_vgpr5
                                        ; implicit-def: $vgpr6_vgpr7
                                        ; implicit-def: $vgpr8
                                        ; implicit-def: $vgpr9_vgpr10
.LBB255_23:
	s_and_not1_saveexec_b32 s0, s0
	s_cbranch_execz .LBB255_25
; %bb.24:
	v_lshlrev_b32_e32 v17, 1, v8
	s_delay_alu instid0(VALU_DEP_4) | instskip(SKIP_1) | instid1(VALU_DEP_4)
	v_mul_f64 v[27:28], v[15:16], -v[2:3]
	v_mul_f64 v[15:16], v[0:1], v[15:16]
	v_mul_f64 v[29:30], v[13:14], -v[2:3]
	v_mul_f64 v[13:14], v[0:1], v[13:14]
	v_ashrrev_i32_e32 v18, 31, v17
	s_delay_alu instid0(VALU_DEP_1) | instskip(SKIP_1) | instid1(VALU_DEP_1)
	v_lshlrev_b64 v[17:18], 4, v[17:18]
	s_waitcnt lgkmcnt(0)
	v_add_co_u32 v25, vcc_lo, s2, v17
	s_delay_alu instid0(VALU_DEP_2)
	v_add_co_ci_u32_e32 v26, vcc_lo, s3, v18, vcc_lo
	s_clause 0x1
	global_load_b128 v[17:20], v[25:26], off
	global_load_b128 v[21:24], v[25:26], off offset:16
	v_fma_f64 v[27:28], v[0:1], v[9:10], v[27:28]
	v_fma_f64 v[8:9], v[2:3], v[9:10], v[15:16]
	;; [unrolled: 1-line block ×4, first 2 shown]
	s_waitcnt vmcnt(1)
	s_delay_alu instid0(VALU_DEP_4) | instskip(NEXT) | instid1(VALU_DEP_4)
	v_fma_f64 v[10:11], v[4:5], v[17:18], v[27:28]
	v_fma_f64 v[8:9], v[6:7], v[17:18], v[8:9]
	s_waitcnt vmcnt(0)
	s_delay_alu instid0(VALU_DEP_4) | instskip(NEXT) | instid1(VALU_DEP_4)
	v_fma_f64 v[12:13], v[4:5], v[21:22], v[0:1]
	v_fma_f64 v[14:15], v[6:7], v[21:22], v[2:3]
	s_delay_alu instid0(VALU_DEP_4) | instskip(NEXT) | instid1(VALU_DEP_4)
	v_fma_f64 v[0:1], -v[6:7], v[19:20], v[10:11]
	v_fma_f64 v[2:3], v[4:5], v[19:20], v[8:9]
	s_delay_alu instid0(VALU_DEP_4) | instskip(NEXT) | instid1(VALU_DEP_4)
	v_fma_f64 v[6:7], -v[6:7], v[23:24], v[12:13]
	v_fma_f64 v[8:9], v[4:5], v[23:24], v[14:15]
	s_clause 0x1
	global_store_b128 v[25:26], v[0:3], off
	global_store_b128 v[25:26], v[6:9], off offset:16
.LBB255_25:
	s_nop 0
	s_sendmsg sendmsg(MSG_DEALLOC_VGPRS)
	s_endpgm
	.section	.rodata,"a",@progbits
	.p2align	6, 0x0
	.amdhsa_kernel _ZN9rocsparseL19gebsrmvn_2xn_kernelILj128ELj7ELj16E21rocsparse_complex_numIdEEEvi20rocsparse_direction_NS_24const_host_device_scalarIT2_EEPKiS8_PKS5_SA_S6_PS5_21rocsparse_index_base_b
		.amdhsa_group_segment_fixed_size 2048
		.amdhsa_private_segment_fixed_size 0
		.amdhsa_kernarg_size 88
		.amdhsa_user_sgpr_count 15
		.amdhsa_user_sgpr_dispatch_ptr 1
		.amdhsa_user_sgpr_queue_ptr 0
		.amdhsa_user_sgpr_kernarg_segment_ptr 1
		.amdhsa_user_sgpr_dispatch_id 0
		.amdhsa_user_sgpr_private_segment_size 0
		.amdhsa_wavefront_size32 1
		.amdhsa_uses_dynamic_stack 0
		.amdhsa_enable_private_segment 0
		.amdhsa_system_sgpr_workgroup_id_x 1
		.amdhsa_system_sgpr_workgroup_id_y 0
		.amdhsa_system_sgpr_workgroup_id_z 0
		.amdhsa_system_sgpr_workgroup_info 0
		.amdhsa_system_vgpr_workitem_id 2
		.amdhsa_next_free_vgpr 91
		.amdhsa_next_free_sgpr 18
		.amdhsa_reserve_vcc 1
		.amdhsa_float_round_mode_32 0
		.amdhsa_float_round_mode_16_64 0
		.amdhsa_float_denorm_mode_32 3
		.amdhsa_float_denorm_mode_16_64 3
		.amdhsa_dx10_clamp 1
		.amdhsa_ieee_mode 1
		.amdhsa_fp16_overflow 0
		.amdhsa_workgroup_processor_mode 1
		.amdhsa_memory_ordered 1
		.amdhsa_forward_progress 0
		.amdhsa_shared_vgpr_count 0
		.amdhsa_exception_fp_ieee_invalid_op 0
		.amdhsa_exception_fp_denorm_src 0
		.amdhsa_exception_fp_ieee_div_zero 0
		.amdhsa_exception_fp_ieee_overflow 0
		.amdhsa_exception_fp_ieee_underflow 0
		.amdhsa_exception_fp_ieee_inexact 0
		.amdhsa_exception_int_div_zero 0
	.end_amdhsa_kernel
	.section	.text._ZN9rocsparseL19gebsrmvn_2xn_kernelILj128ELj7ELj16E21rocsparse_complex_numIdEEEvi20rocsparse_direction_NS_24const_host_device_scalarIT2_EEPKiS8_PKS5_SA_S6_PS5_21rocsparse_index_base_b,"axG",@progbits,_ZN9rocsparseL19gebsrmvn_2xn_kernelILj128ELj7ELj16E21rocsparse_complex_numIdEEEvi20rocsparse_direction_NS_24const_host_device_scalarIT2_EEPKiS8_PKS5_SA_S6_PS5_21rocsparse_index_base_b,comdat
.Lfunc_end255:
	.size	_ZN9rocsparseL19gebsrmvn_2xn_kernelILj128ELj7ELj16E21rocsparse_complex_numIdEEEvi20rocsparse_direction_NS_24const_host_device_scalarIT2_EEPKiS8_PKS5_SA_S6_PS5_21rocsparse_index_base_b, .Lfunc_end255-_ZN9rocsparseL19gebsrmvn_2xn_kernelILj128ELj7ELj16E21rocsparse_complex_numIdEEEvi20rocsparse_direction_NS_24const_host_device_scalarIT2_EEPKiS8_PKS5_SA_S6_PS5_21rocsparse_index_base_b
                                        ; -- End function
	.section	.AMDGPU.csdata,"",@progbits
; Kernel info:
; codeLenInByte = 4256
; NumSgprs: 20
; NumVgprs: 91
; ScratchSize: 0
; MemoryBound: 0
; FloatMode: 240
; IeeeMode: 1
; LDSByteSize: 2048 bytes/workgroup (compile time only)
; SGPRBlocks: 2
; VGPRBlocks: 11
; NumSGPRsForWavesPerEU: 20
; NumVGPRsForWavesPerEU: 91
; Occupancy: 16
; WaveLimiterHint : 1
; COMPUTE_PGM_RSRC2:SCRATCH_EN: 0
; COMPUTE_PGM_RSRC2:USER_SGPR: 15
; COMPUTE_PGM_RSRC2:TRAP_HANDLER: 0
; COMPUTE_PGM_RSRC2:TGID_X_EN: 1
; COMPUTE_PGM_RSRC2:TGID_Y_EN: 0
; COMPUTE_PGM_RSRC2:TGID_Z_EN: 0
; COMPUTE_PGM_RSRC2:TIDIG_COMP_CNT: 2
	.section	.text._ZN9rocsparseL19gebsrmvn_2xn_kernelILj128ELj7ELj32E21rocsparse_complex_numIdEEEvi20rocsparse_direction_NS_24const_host_device_scalarIT2_EEPKiS8_PKS5_SA_S6_PS5_21rocsparse_index_base_b,"axG",@progbits,_ZN9rocsparseL19gebsrmvn_2xn_kernelILj128ELj7ELj32E21rocsparse_complex_numIdEEEvi20rocsparse_direction_NS_24const_host_device_scalarIT2_EEPKiS8_PKS5_SA_S6_PS5_21rocsparse_index_base_b,comdat
	.globl	_ZN9rocsparseL19gebsrmvn_2xn_kernelILj128ELj7ELj32E21rocsparse_complex_numIdEEEvi20rocsparse_direction_NS_24const_host_device_scalarIT2_EEPKiS8_PKS5_SA_S6_PS5_21rocsparse_index_base_b ; -- Begin function _ZN9rocsparseL19gebsrmvn_2xn_kernelILj128ELj7ELj32E21rocsparse_complex_numIdEEEvi20rocsparse_direction_NS_24const_host_device_scalarIT2_EEPKiS8_PKS5_SA_S6_PS5_21rocsparse_index_base_b
	.p2align	8
	.type	_ZN9rocsparseL19gebsrmvn_2xn_kernelILj128ELj7ELj32E21rocsparse_complex_numIdEEEvi20rocsparse_direction_NS_24const_host_device_scalarIT2_EEPKiS8_PKS5_SA_S6_PS5_21rocsparse_index_base_b,@function
_ZN9rocsparseL19gebsrmvn_2xn_kernelILj128ELj7ELj32E21rocsparse_complex_numIdEEEvi20rocsparse_direction_NS_24const_host_device_scalarIT2_EEPKiS8_PKS5_SA_S6_PS5_21rocsparse_index_base_b: ; @_ZN9rocsparseL19gebsrmvn_2xn_kernelILj128ELj7ELj32E21rocsparse_complex_numIdEEEvi20rocsparse_direction_NS_24const_host_device_scalarIT2_EEPKiS8_PKS5_SA_S6_PS5_21rocsparse_index_base_b
; %bb.0:
	s_load_b64 s[12:13], s[2:3], 0x50
	s_load_b64 s[16:17], s[0:1], 0x4
	s_load_b128 s[8:11], s[2:3], 0x8
	v_bfe_u32 v1, v0, 10, 10
	s_mov_b64 s[0:1], src_shared_base
	s_load_b128 s[4:7], s[2:3], 0x38
	v_and_b32_e32 v10, 0x3ff, v0
	v_bfe_u32 v0, v0, 20, 10
	s_waitcnt lgkmcnt(0)
	s_bitcmp1_b32 s13, 0
	v_mul_u32_u24_e32 v1, s17, v1
	s_cselect_b32 s0, -1, 0
	s_delay_alu instid0(SALU_CYCLE_1)
	s_and_b32 vcc_lo, s0, exec_lo
	s_cselect_b32 s13, s1, s9
	s_lshr_b32 s14, s16, 16
	v_dual_mov_b32 v2, s4 :: v_dual_mov_b32 v3, s5
	s_mul_i32 s14, s14, s17
	v_mov_b32_e32 v6, s13
	v_mad_u32_u24 v1, s14, v10, v1
	s_delay_alu instid0(VALU_DEP_1) | instskip(SKIP_1) | instid1(VALU_DEP_2)
	v_add_lshl_u32 v4, v1, v0, 3
	v_dual_mov_b32 v0, s8 :: v_dual_mov_b32 v1, s9
	v_add_nc_u32_e32 v5, 0x400, v4
	ds_store_2addr_stride64_b64 v4, v[2:3], v[0:1] offset1:2
	v_dual_mov_b32 v2, s10 :: v_dual_mov_b32 v3, s11
	v_cndmask_b32_e64 v5, s8, v5, s0
	s_xor_b32 s10, s0, -1
	flat_load_b64 v[0:1], v[5:6]
	s_cbranch_vccnz .LBB256_2
; %bb.1:
	v_dual_mov_b32 v2, s8 :: v_dual_mov_b32 v3, s9
	flat_load_b64 v[2:3], v[2:3] offset:8
.LBB256_2:
	s_and_b32 s8, s0, exec_lo
	s_cselect_b32 s1, s1, s5
	v_cndmask_b32_e64 v4, s4, v4, s0
	v_dual_mov_b32 v5, s1 :: v_dual_mov_b32 v6, s6
	v_mov_b32_e32 v7, s7
	s_and_not1_b32 vcc_lo, exec_lo, s10
	flat_load_b64 v[4:5], v[4:5]
	s_cbranch_vccnz .LBB256_4
; %bb.3:
	v_dual_mov_b32 v7, s5 :: v_dual_mov_b32 v6, s4
	flat_load_b64 v[6:7], v[6:7] offset:8
.LBB256_4:
	s_waitcnt vmcnt(1) lgkmcnt(1)
	v_cmp_eq_f64_e32 vcc_lo, 0, v[0:1]
	v_cmp_eq_f64_e64 s0, 0, v[2:3]
	s_delay_alu instid0(VALU_DEP_1)
	s_and_b32 s4, vcc_lo, s0
	s_mov_b32 s0, -1
	s_and_saveexec_b32 s1, s4
	s_cbranch_execz .LBB256_6
; %bb.5:
	s_waitcnt vmcnt(0) lgkmcnt(0)
	v_cmp_neq_f64_e32 vcc_lo, 1.0, v[4:5]
	v_cmp_neq_f64_e64 s0, 0, v[6:7]
	s_delay_alu instid0(VALU_DEP_1) | instskip(NEXT) | instid1(SALU_CYCLE_1)
	s_or_b32 s0, vcc_lo, s0
	s_or_not1_b32 s0, s0, exec_lo
.LBB256_6:
	s_or_b32 exec_lo, exec_lo, s1
	s_and_saveexec_b32 s1, s0
	s_cbranch_execz .LBB256_25
; %bb.7:
	s_load_b64 s[0:1], s[2:3], 0x0
	v_lshrrev_b32_e32 v8, 5, v10
	s_delay_alu instid0(VALU_DEP_1) | instskip(SKIP_1) | instid1(VALU_DEP_1)
	v_lshl_or_b32 v8, s15, 2, v8
	s_waitcnt lgkmcnt(0)
	v_cmp_gt_i32_e32 vcc_lo, s0, v8
	s_and_b32 exec_lo, exec_lo, vcc_lo
	s_cbranch_execz .LBB256_25
; %bb.8:
	s_load_b256 s[4:11], s[2:3], 0x18
	v_ashrrev_i32_e32 v9, 31, v8
	v_and_b32_e32 v25, 31, v10
	s_cmp_lg_u32 s1, 0
	s_delay_alu instid0(VALU_DEP_2) | instskip(SKIP_1) | instid1(VALU_DEP_1)
	v_lshlrev_b64 v[11:12], 2, v[8:9]
	s_waitcnt lgkmcnt(0)
	v_add_co_u32 v11, vcc_lo, s4, v11
	s_delay_alu instid0(VALU_DEP_2) | instskip(SKIP_4) | instid1(VALU_DEP_2)
	v_add_co_ci_u32_e32 v12, vcc_lo, s5, v12, vcc_lo
	global_load_b64 v[11:12], v[11:12], off
	s_waitcnt vmcnt(0)
	v_subrev_nc_u32_e32 v9, s12, v11
	v_subrev_nc_u32_e32 v24, s12, v12
	v_add_nc_u32_e32 v9, v9, v25
	s_delay_alu instid0(VALU_DEP_1)
	v_cmp_lt_i32_e64 s0, v9, v24
	s_cbranch_scc0 .LBB256_14
; %bb.9:
	v_mov_b32_e32 v11, 0
	v_mov_b32_e32 v12, 0
	s_delay_alu instid0(VALU_DEP_1)
	v_dual_mov_b32 v14, v12 :: v_dual_mov_b32 v13, v11
	v_dual_mov_b32 v16, v12 :: v_dual_mov_b32 v15, v11
	;; [unrolled: 1-line block ×3, first 2 shown]
	s_and_saveexec_b32 s1, s0
	s_cbranch_execz .LBB256_13
; %bb.10:
	v_dual_mov_b32 v11, 0 :: v_dual_mov_b32 v22, v9
	v_dual_mov_b32 v12, 0 :: v_dual_mov_b32 v21, 0
	v_mad_u64_u32 v[19:20], null, v9, 14, 12
	s_mov_b32 s4, 0
	s_delay_alu instid0(VALU_DEP_2)
	v_dual_mov_b32 v14, v12 :: v_dual_mov_b32 v13, v11
	v_dual_mov_b32 v16, v12 :: v_dual_mov_b32 v15, v11
	;; [unrolled: 1-line block ×3, first 2 shown]
.LBB256_11:                             ; =>This Inner Loop Header: Depth=1
	v_ashrrev_i32_e32 v23, 31, v22
	v_dual_mov_b32 v87, v21 :: v_dual_add_nc_u32 v20, -12, v19
	s_delay_alu instid0(VALU_DEP_2) | instskip(SKIP_1) | instid1(VALU_DEP_2)
	v_lshlrev_b64 v[26:27], 2, v[22:23]
	v_add_nc_u32_e32 v22, 32, v22
	v_add_co_u32 v26, vcc_lo, s6, v26
	s_delay_alu instid0(VALU_DEP_3) | instskip(SKIP_3) | instid1(VALU_DEP_1)
	v_add_co_ci_u32_e32 v27, vcc_lo, s7, v27, vcc_lo
	global_load_b32 v10, v[26:27], off
	v_lshlrev_b64 v[26:27], 4, v[20:21]
	v_add_nc_u32_e32 v20, -10, v19
	v_lshlrev_b64 v[38:39], 4, v[20:21]
	s_delay_alu instid0(VALU_DEP_3) | instskip(NEXT) | instid1(VALU_DEP_4)
	v_add_co_u32 v30, vcc_lo, s8, v26
	v_add_co_ci_u32_e32 v31, vcc_lo, s9, v27, vcc_lo
	global_load_b128 v[26:29], v[30:31], off offset:16
	s_waitcnt vmcnt(1)
	v_subrev_nc_u32_e32 v10, s12, v10
	s_delay_alu instid0(VALU_DEP_1) | instskip(NEXT) | instid1(VALU_DEP_1)
	v_mul_lo_u32 v86, v10, 7
	v_lshlrev_b64 v[32:33], 4, v[86:87]
	v_add_nc_u32_e32 v20, 1, v86
	s_delay_alu instid0(VALU_DEP_1) | instskip(NEXT) | instid1(VALU_DEP_3)
	v_lshlrev_b64 v[44:45], 4, v[20:21]
	v_add_co_u32 v34, vcc_lo, s10, v32
	s_delay_alu instid0(VALU_DEP_4)
	v_add_co_ci_u32_e32 v35, vcc_lo, s11, v33, vcc_lo
	v_add_co_u32 v42, vcc_lo, s8, v38
	global_load_b128 v[30:33], v[30:31], off
	global_load_b128 v[34:37], v[34:35], off
	v_add_co_ci_u32_e32 v43, vcc_lo, s9, v39, vcc_lo
	v_add_co_u32 v46, vcc_lo, s10, v44
	v_add_co_ci_u32_e32 v47, vcc_lo, s11, v45, vcc_lo
	s_clause 0x1
	global_load_b128 v[38:41], v[42:43], off offset:16
	global_load_b128 v[42:45], v[42:43], off
	global_load_b128 v[46:49], v[46:47], off
	v_add_nc_u32_e32 v20, -8, v19
	s_delay_alu instid0(VALU_DEP_1) | instskip(SKIP_1) | instid1(VALU_DEP_1)
	v_lshlrev_b64 v[50:51], 4, v[20:21]
	v_add_nc_u32_e32 v20, 2, v86
	v_lshlrev_b64 v[52:53], 4, v[20:21]
	s_delay_alu instid0(VALU_DEP_3) | instskip(NEXT) | instid1(VALU_DEP_4)
	v_add_co_u32 v54, vcc_lo, s8, v50
	v_add_co_ci_u32_e32 v55, vcc_lo, s9, v51, vcc_lo
	v_add_nc_u32_e32 v20, -6, v19
	s_delay_alu instid0(VALU_DEP_4)
	v_add_co_u32 v58, vcc_lo, s10, v52
	v_add_co_ci_u32_e32 v59, vcc_lo, s11, v53, vcc_lo
	s_clause 0x1
	global_load_b128 v[50:53], v[54:55], off offset:16
	global_load_b128 v[54:57], v[54:55], off
	global_load_b128 v[58:61], v[58:59], off
	v_lshlrev_b64 v[62:63], 4, v[20:21]
	v_add_nc_u32_e32 v20, 3, v86
	s_delay_alu instid0(VALU_DEP_1) | instskip(NEXT) | instid1(VALU_DEP_3)
	v_lshlrev_b64 v[64:65], 4, v[20:21]
	v_add_co_u32 v66, vcc_lo, s8, v62
	s_delay_alu instid0(VALU_DEP_4) | instskip(SKIP_1) | instid1(VALU_DEP_4)
	v_add_co_ci_u32_e32 v67, vcc_lo, s9, v63, vcc_lo
	v_add_nc_u32_e32 v20, -4, v19
	v_add_co_u32 v70, vcc_lo, s10, v64
	v_add_co_ci_u32_e32 v71, vcc_lo, s11, v65, vcc_lo
	s_clause 0x1
	global_load_b128 v[62:65], v[66:67], off offset:16
	global_load_b128 v[66:69], v[66:67], off
	global_load_b128 v[70:73], v[70:71], off
	v_lshlrev_b64 v[74:75], 4, v[20:21]
	v_add_nc_u32_e32 v20, 4, v86
	s_delay_alu instid0(VALU_DEP_1) | instskip(NEXT) | instid1(VALU_DEP_3)
	v_lshlrev_b64 v[76:77], 4, v[20:21]
	v_add_co_u32 v78, vcc_lo, s8, v74
	s_delay_alu instid0(VALU_DEP_4) | instskip(SKIP_1) | instid1(VALU_DEP_4)
	v_add_co_ci_u32_e32 v79, vcc_lo, s9, v75, vcc_lo
	v_add_nc_u32_e32 v20, -2, v19
	v_add_co_u32 v82, vcc_lo, s10, v76
	v_add_co_ci_u32_e32 v83, vcc_lo, s11, v77, vcc_lo
	s_clause 0x1
	global_load_b128 v[74:77], v[78:79], off offset:16
	global_load_b128 v[78:81], v[78:79], off
	global_load_b128 v[82:85], v[82:83], off
	s_waitcnt vmcnt(12)
	v_fma_f64 v[13:14], v[30:31], v[34:35], v[13:14]
	v_fma_f64 v[10:11], v[32:33], v[34:35], v[11:12]
	;; [unrolled: 1-line block ×4, first 2 shown]
	v_lshlrev_b64 v[34:35], 4, v[20:21]
	v_add_nc_u32_e32 v20, 5, v86
	v_fma_f64 v[32:33], -v[32:33], v[36:37], v[13:14]
	v_fma_f64 v[30:31], v[30:31], v[36:37], v[10:11]
	v_fma_f64 v[87:88], -v[28:29], v[36:37], v[15:16]
	v_fma_f64 v[36:37], v[26:27], v[36:37], v[17:18]
	v_lshlrev_b64 v[10:11], 4, v[20:21]
	v_add_co_u32 v14, vcc_lo, s8, v34
	v_add_co_ci_u32_e32 v15, vcc_lo, s9, v35, vcc_lo
	v_mov_b32_e32 v20, v21
	s_delay_alu instid0(VALU_DEP_4)
	v_add_co_u32 v26, vcc_lo, s10, v10
	v_add_co_ci_u32_e32 v27, vcc_lo, s11, v11, vcc_lo
	s_clause 0x1
	global_load_b128 v[10:13], v[14:15], off offset:16
	global_load_b128 v[14:17], v[14:15], off
	global_load_b128 v[26:29], v[26:27], off
	s_waitcnt vmcnt(12)
	v_fma_f64 v[34:35], v[42:43], v[46:47], v[32:33]
	v_fma_f64 v[89:90], v[44:45], v[46:47], v[30:31]
	;; [unrolled: 1-line block ×4, first 2 shown]
	v_lshlrev_b64 v[30:31], 4, v[19:20]
	v_add_nc_u32_e32 v19, 0x1c0, v19
	v_add_nc_u32_e32 v20, 6, v86
	s_delay_alu instid0(VALU_DEP_3) | instskip(NEXT) | instid1(VALU_DEP_4)
	v_add_co_u32 v46, vcc_lo, s8, v30
	v_add_co_ci_u32_e32 v47, vcc_lo, s9, v31, vcc_lo
	global_load_b128 v[30:33], v[46:47], off offset:16
	v_fma_f64 v[44:45], -v[44:45], v[48:49], v[34:35]
	v_fma_f64 v[42:43], v[42:43], v[48:49], v[89:90]
	v_fma_f64 v[87:88], -v[40:41], v[48:49], v[87:88]
	v_fma_f64 v[48:49], v[38:39], v[48:49], v[36:37]
	v_lshlrev_b64 v[34:35], 4, v[20:21]
	s_delay_alu instid0(VALU_DEP_1) | instskip(NEXT) | instid1(VALU_DEP_2)
	v_add_co_u32 v38, vcc_lo, s10, v34
	v_add_co_ci_u32_e32 v39, vcc_lo, s11, v35, vcc_lo
	global_load_b128 v[34:37], v[46:47], off
	global_load_b128 v[38:41], v[38:39], off
	v_cmp_ge_i32_e32 vcc_lo, v22, v24
	s_or_b32 s4, vcc_lo, s4
	s_waitcnt vmcnt(12)
	v_fma_f64 v[44:45], v[54:55], v[58:59], v[44:45]
	v_fma_f64 v[42:43], v[56:57], v[58:59], v[42:43]
	;; [unrolled: 1-line block ×4, first 2 shown]
	s_delay_alu instid0(VALU_DEP_4) | instskip(NEXT) | instid1(VALU_DEP_4)
	v_fma_f64 v[44:45], -v[56:57], v[60:61], v[44:45]
	v_fma_f64 v[42:43], v[54:55], v[60:61], v[42:43]
	s_delay_alu instid0(VALU_DEP_4) | instskip(NEXT) | instid1(VALU_DEP_4)
	v_fma_f64 v[46:47], -v[52:53], v[60:61], v[46:47]
	v_fma_f64 v[48:49], v[50:51], v[60:61], v[48:49]
	s_waitcnt vmcnt(9)
	s_delay_alu instid0(VALU_DEP_4) | instskip(NEXT) | instid1(VALU_DEP_4)
	v_fma_f64 v[44:45], v[66:67], v[70:71], v[44:45]
	v_fma_f64 v[42:43], v[68:69], v[70:71], v[42:43]
	s_delay_alu instid0(VALU_DEP_4) | instskip(NEXT) | instid1(VALU_DEP_4)
	v_fma_f64 v[46:47], v[62:63], v[70:71], v[46:47]
	v_fma_f64 v[48:49], v[64:65], v[70:71], v[48:49]
	s_delay_alu instid0(VALU_DEP_4) | instskip(NEXT) | instid1(VALU_DEP_4)
	v_fma_f64 v[44:45], -v[68:69], v[72:73], v[44:45]
	v_fma_f64 v[42:43], v[66:67], v[72:73], v[42:43]
	s_delay_alu instid0(VALU_DEP_4) | instskip(NEXT) | instid1(VALU_DEP_4)
	v_fma_f64 v[46:47], -v[64:65], v[72:73], v[46:47]
	v_fma_f64 v[48:49], v[62:63], v[72:73], v[48:49]
	s_waitcnt vmcnt(6)
	s_delay_alu instid0(VALU_DEP_4) | instskip(NEXT) | instid1(VALU_DEP_4)
	v_fma_f64 v[44:45], v[78:79], v[82:83], v[44:45]
	v_fma_f64 v[42:43], v[80:81], v[82:83], v[42:43]
	s_delay_alu instid0(VALU_DEP_4) | instskip(NEXT) | instid1(VALU_DEP_4)
	v_fma_f64 v[46:47], v[74:75], v[82:83], v[46:47]
	v_fma_f64 v[48:49], v[76:77], v[82:83], v[48:49]
	;; [unrolled: 13-line block ×4, first 2 shown]
	s_delay_alu instid0(VALU_DEP_4) | instskip(NEXT) | instid1(VALU_DEP_4)
	v_fma_f64 v[13:14], -v[36:37], v[40:41], v[16:17]
	v_fma_f64 v[11:12], v[34:35], v[40:41], v[26:27]
	s_delay_alu instid0(VALU_DEP_4) | instskip(NEXT) | instid1(VALU_DEP_4)
	v_fma_f64 v[15:16], -v[32:33], v[40:41], v[28:29]
	v_fma_f64 v[17:18], v[30:31], v[40:41], v[38:39]
	s_and_not1_b32 exec_lo, exec_lo, s4
	s_cbranch_execnz .LBB256_11
; %bb.12:
	s_or_b32 exec_lo, exec_lo, s4
.LBB256_13:
	s_delay_alu instid0(SALU_CYCLE_1)
	s_or_b32 exec_lo, exec_lo, s1
	s_cbranch_execz .LBB256_15
	s_branch .LBB256_20
.LBB256_14:
                                        ; implicit-def: $vgpr11_vgpr12
                                        ; implicit-def: $vgpr13_vgpr14
                                        ; implicit-def: $vgpr15_vgpr16
                                        ; implicit-def: $vgpr17_vgpr18
.LBB256_15:
	v_mov_b32_e32 v11, 0
	v_mov_b32_e32 v12, 0
	s_delay_alu instid0(VALU_DEP_1)
	v_dual_mov_b32 v14, v12 :: v_dual_mov_b32 v13, v11
	v_dual_mov_b32 v16, v12 :: v_dual_mov_b32 v15, v11
	v_dual_mov_b32 v18, v12 :: v_dual_mov_b32 v17, v11
	s_and_saveexec_b32 s1, s0
	s_cbranch_execz .LBB256_19
; %bb.16:
	v_mov_b32_e32 v11, 0
	v_dual_mov_b32 v12, 0 :: v_dual_mov_b32 v21, 0
	v_mad_u64_u32 v[19:20], null, v9, 14, 13
	s_mov_b32 s0, 0
	s_delay_alu instid0(VALU_DEP_2)
	v_dual_mov_b32 v14, v12 :: v_dual_mov_b32 v13, v11
	v_dual_mov_b32 v16, v12 :: v_dual_mov_b32 v15, v11
	;; [unrolled: 1-line block ×3, first 2 shown]
.LBB256_17:                             ; =>This Inner Loop Header: Depth=1
	v_ashrrev_i32_e32 v10, 31, v9
	v_dual_mov_b32 v87, v21 :: v_dual_add_nc_u32 v20, -13, v19
	s_delay_alu instid0(VALU_DEP_2) | instskip(NEXT) | instid1(VALU_DEP_2)
	v_lshlrev_b64 v[22:23], 2, v[9:10]
	v_lshlrev_b64 v[26:27], 4, v[20:21]
	v_add_nc_u32_e32 v9, 32, v9
	s_delay_alu instid0(VALU_DEP_3) | instskip(NEXT) | instid1(VALU_DEP_4)
	v_add_co_u32 v22, vcc_lo, s6, v22
	v_add_co_ci_u32_e32 v23, vcc_lo, s7, v23, vcc_lo
	s_delay_alu instid0(VALU_DEP_4) | instskip(SKIP_3) | instid1(VALU_DEP_1)
	v_add_co_u32 v30, vcc_lo, s8, v26
	v_add_co_ci_u32_e32 v31, vcc_lo, s9, v27, vcc_lo
	global_load_b32 v10, v[22:23], off
	v_dual_mov_b32 v23, v21 :: v_dual_add_nc_u32 v22, -6, v19
	v_lshlrev_b64 v[22:23], 4, v[22:23]
	s_delay_alu instid0(VALU_DEP_1) | instskip(NEXT) | instid1(VALU_DEP_2)
	v_add_co_u32 v22, vcc_lo, s8, v22
	v_add_co_ci_u32_e32 v23, vcc_lo, s9, v23, vcc_lo
	s_clause 0x2
	global_load_b128 v[26:29], v[30:31], off offset:16
	global_load_b128 v[30:33], v[30:31], off
	global_load_b128 v[34:37], v[22:23], off
	s_waitcnt vmcnt(3)
	v_subrev_nc_u32_e32 v10, s12, v10
	s_delay_alu instid0(VALU_DEP_1) | instskip(NEXT) | instid1(VALU_DEP_1)
	v_mul_lo_u32 v86, v10, 7
	v_lshlrev_b64 v[22:23], 4, v[86:87]
	v_add_nc_u32_e32 v20, 1, v86
	s_delay_alu instid0(VALU_DEP_2) | instskip(NEXT) | instid1(VALU_DEP_3)
	v_add_co_u32 v22, vcc_lo, s10, v22
	v_add_co_ci_u32_e32 v23, vcc_lo, s11, v23, vcc_lo
	global_load_b128 v[38:41], v[22:23], off
	v_lshlrev_b64 v[22:23], 4, v[20:21]
	v_add_nc_u32_e32 v20, -5, v19
	s_delay_alu instid0(VALU_DEP_1) | instskip(NEXT) | instid1(VALU_DEP_3)
	v_lshlrev_b64 v[42:43], 4, v[20:21]
	v_add_co_u32 v22, vcc_lo, s10, v22
	s_delay_alu instid0(VALU_DEP_4) | instskip(SKIP_1) | instid1(VALU_DEP_4)
	v_add_co_ci_u32_e32 v23, vcc_lo, s11, v23, vcc_lo
	v_add_nc_u32_e32 v20, -11, v19
	v_add_co_u32 v46, vcc_lo, s8, v42
	v_add_co_ci_u32_e32 v47, vcc_lo, s9, v43, vcc_lo
	global_load_b128 v[42:45], v[22:23], off
	global_load_b128 v[46:49], v[46:47], off
	v_lshlrev_b64 v[22:23], 4, v[20:21]
	v_add_nc_u32_e32 v20, 2, v86
	s_delay_alu instid0(VALU_DEP_1) | instskip(SKIP_1) | instid1(VALU_DEP_4)
	v_lshlrev_b64 v[50:51], 4, v[20:21]
	v_add_nc_u32_e32 v20, -4, v19
	v_add_co_u32 v22, vcc_lo, s8, v22
	v_add_co_ci_u32_e32 v23, vcc_lo, s9, v23, vcc_lo
	s_delay_alu instid0(VALU_DEP_3) | instskip(SKIP_3) | instid1(VALU_DEP_4)
	v_lshlrev_b64 v[52:53], 4, v[20:21]
	v_add_co_u32 v54, vcc_lo, s10, v50
	v_add_co_ci_u32_e32 v55, vcc_lo, s11, v51, vcc_lo
	v_add_nc_u32_e32 v20, -10, v19
	v_add_co_u32 v58, vcc_lo, s8, v52
	v_add_co_ci_u32_e32 v59, vcc_lo, s9, v53, vcc_lo
	global_load_b128 v[50:53], v[22:23], off
	global_load_b128 v[54:57], v[54:55], off
	global_load_b128 v[58:61], v[58:59], off
	v_lshlrev_b64 v[22:23], 4, v[20:21]
	v_add_nc_u32_e32 v20, 3, v86
	s_delay_alu instid0(VALU_DEP_1) | instskip(SKIP_1) | instid1(VALU_DEP_4)
	v_lshlrev_b64 v[62:63], 4, v[20:21]
	v_add_nc_u32_e32 v20, -3, v19
	v_add_co_u32 v22, vcc_lo, s8, v22
	v_add_co_ci_u32_e32 v23, vcc_lo, s9, v23, vcc_lo
	s_delay_alu instid0(VALU_DEP_3) | instskip(SKIP_3) | instid1(VALU_DEP_4)
	v_lshlrev_b64 v[64:65], 4, v[20:21]
	v_add_co_u32 v66, vcc_lo, s10, v62
	v_add_co_ci_u32_e32 v67, vcc_lo, s11, v63, vcc_lo
	v_add_nc_u32_e32 v20, -9, v19
	v_add_co_u32 v70, vcc_lo, s8, v64
	v_add_co_ci_u32_e32 v71, vcc_lo, s9, v65, vcc_lo
	global_load_b128 v[62:65], v[22:23], off
	;; [unrolled: 17-line block ×3, first 2 shown]
	global_load_b128 v[78:81], v[78:79], off
	global_load_b128 v[82:85], v[82:83], off
	v_lshlrev_b64 v[22:23], 4, v[20:21]
	v_add_nc_u32_e32 v20, 5, v86
	s_waitcnt vmcnt(11)
	v_fma_f64 v[13:14], v[30:31], v[38:39], v[13:14]
	v_fma_f64 v[10:11], v[32:33], v[38:39], v[11:12]
	;; [unrolled: 1-line block ×4, first 2 shown]
	v_add_co_u32 v12, vcc_lo, s8, v22
	v_fma_f64 v[38:39], -v[32:33], v[40:41], v[13:14]
	v_fma_f64 v[87:88], v[30:31], v[40:41], v[10:11]
	v_fma_f64 v[36:37], -v[36:37], v[40:41], v[15:16]
	v_fma_f64 v[34:35], v[34:35], v[40:41], v[17:18]
	v_lshlrev_b64 v[10:11], 4, v[20:21]
	v_add_nc_u32_e32 v20, -1, v19
	v_add_co_ci_u32_e32 v13, vcc_lo, s9, v23, vcc_lo
	s_delay_alu instid0(VALU_DEP_2) | instskip(NEXT) | instid1(VALU_DEP_4)
	v_lshlrev_b64 v[14:15], 4, v[20:21]
	v_add_co_u32 v16, vcc_lo, s10, v10
	v_add_co_ci_u32_e32 v17, vcc_lo, s11, v11, vcc_lo
	v_mov_b32_e32 v20, v21
	s_delay_alu instid0(VALU_DEP_4)
	v_add_co_u32 v22, vcc_lo, s8, v14
	v_add_co_ci_u32_e32 v23, vcc_lo, s9, v15, vcc_lo
	global_load_b128 v[10:13], v[12:13], off
	global_load_b128 v[14:17], v[16:17], off
	;; [unrolled: 1-line block ×3, first 2 shown]
	s_waitcnt vmcnt(13)
	v_fma_f64 v[22:23], v[26:27], v[42:43], v[38:39]
	v_fma_f64 v[38:39], v[28:29], v[42:43], v[87:88]
	s_waitcnt vmcnt(12)
	v_fma_f64 v[40:41], v[46:47], v[42:43], v[36:37]
	v_fma_f64 v[42:43], v[48:49], v[42:43], v[34:35]
	v_lshlrev_b64 v[34:35], 4, v[19:20]
	v_add_nc_u32_e32 v20, -7, v19
	v_add_nc_u32_e32 v19, 0x1c0, v19
	s_delay_alu instid0(VALU_DEP_2)
	v_lshlrev_b64 v[87:88], 4, v[20:21]
	v_add_nc_u32_e32 v20, 6, v86
	v_add_co_u32 v34, vcc_lo, s8, v34
	v_add_co_ci_u32_e32 v35, vcc_lo, s9, v35, vcc_lo
	global_load_b128 v[34:37], v[34:35], off
	v_fma_f64 v[22:23], -v[28:29], v[44:45], v[22:23]
	v_fma_f64 v[89:90], v[26:27], v[44:45], v[38:39]
	v_fma_f64 v[48:49], -v[48:49], v[44:45], v[40:41]
	v_fma_f64 v[42:43], v[46:47], v[44:45], v[42:43]
	v_lshlrev_b64 v[26:27], 4, v[20:21]
	v_add_co_u32 v28, vcc_lo, s8, v87
	v_add_co_ci_u32_e32 v29, vcc_lo, s9, v88, vcc_lo
	s_delay_alu instid0(VALU_DEP_3) | instskip(NEXT) | instid1(VALU_DEP_4)
	v_add_co_u32 v38, vcc_lo, s10, v26
	v_add_co_ci_u32_e32 v39, vcc_lo, s11, v27, vcc_lo
	global_load_b128 v[26:29], v[28:29], off
	global_load_b128 v[38:41], v[38:39], off
	v_cmp_ge_i32_e32 vcc_lo, v9, v24
	s_or_b32 s0, vcc_lo, s0
	s_waitcnt vmcnt(13)
	v_fma_f64 v[22:23], v[50:51], v[54:55], v[22:23]
	v_fma_f64 v[44:45], v[52:53], v[54:55], v[89:90]
	s_waitcnt vmcnt(12)
	v_fma_f64 v[46:47], v[58:59], v[54:55], v[48:49]
	v_fma_f64 v[42:43], v[60:61], v[54:55], v[42:43]
	s_delay_alu instid0(VALU_DEP_4) | instskip(NEXT) | instid1(VALU_DEP_4)
	v_fma_f64 v[22:23], -v[52:53], v[56:57], v[22:23]
	v_fma_f64 v[44:45], v[50:51], v[56:57], v[44:45]
	s_delay_alu instid0(VALU_DEP_4) | instskip(NEXT) | instid1(VALU_DEP_4)
	v_fma_f64 v[46:47], -v[60:61], v[56:57], v[46:47]
	v_fma_f64 v[42:43], v[58:59], v[56:57], v[42:43]
	s_waitcnt vmcnt(10)
	s_delay_alu instid0(VALU_DEP_4) | instskip(NEXT) | instid1(VALU_DEP_4)
	v_fma_f64 v[22:23], v[62:63], v[66:67], v[22:23]
	v_fma_f64 v[44:45], v[64:65], v[66:67], v[44:45]
	s_waitcnt vmcnt(9)
	s_delay_alu instid0(VALU_DEP_4) | instskip(NEXT) | instid1(VALU_DEP_4)
	v_fma_f64 v[46:47], v[70:71], v[66:67], v[46:47]
	v_fma_f64 v[42:43], v[72:73], v[66:67], v[42:43]
	s_delay_alu instid0(VALU_DEP_4) | instskip(NEXT) | instid1(VALU_DEP_4)
	v_fma_f64 v[22:23], -v[64:65], v[68:69], v[22:23]
	v_fma_f64 v[44:45], v[62:63], v[68:69], v[44:45]
	s_delay_alu instid0(VALU_DEP_4) | instskip(NEXT) | instid1(VALU_DEP_4)
	v_fma_f64 v[46:47], -v[72:73], v[68:69], v[46:47]
	v_fma_f64 v[42:43], v[70:71], v[68:69], v[42:43]
	s_waitcnt vmcnt(7)
	s_delay_alu instid0(VALU_DEP_4) | instskip(NEXT) | instid1(VALU_DEP_4)
	v_fma_f64 v[22:23], v[74:75], v[78:79], v[22:23]
	v_fma_f64 v[44:45], v[76:77], v[78:79], v[44:45]
	s_waitcnt vmcnt(6)
	s_delay_alu instid0(VALU_DEP_4) | instskip(NEXT) | instid1(VALU_DEP_4)
	v_fma_f64 v[46:47], v[82:83], v[78:79], v[46:47]
	v_fma_f64 v[42:43], v[84:85], v[78:79], v[42:43]
	s_delay_alu instid0(VALU_DEP_4) | instskip(NEXT) | instid1(VALU_DEP_4)
	v_fma_f64 v[22:23], -v[76:77], v[80:81], v[22:23]
	v_fma_f64 v[44:45], v[74:75], v[80:81], v[44:45]
	s_delay_alu instid0(VALU_DEP_4) | instskip(NEXT) | instid1(VALU_DEP_4)
	v_fma_f64 v[46:47], -v[84:85], v[80:81], v[46:47]
	v_fma_f64 v[42:43], v[82:83], v[80:81], v[42:43]
	s_waitcnt vmcnt(4)
	s_delay_alu instid0(VALU_DEP_4) | instskip(NEXT) | instid1(VALU_DEP_4)
	v_fma_f64 v[22:23], v[10:11], v[14:15], v[22:23]
	v_fma_f64 v[44:45], v[12:13], v[14:15], v[44:45]
	s_waitcnt vmcnt(3)
	s_delay_alu instid0(VALU_DEP_4) | instskip(NEXT) | instid1(VALU_DEP_4)
	v_fma_f64 v[46:47], v[30:31], v[14:15], v[46:47]
	v_fma_f64 v[14:15], v[32:33], v[14:15], v[42:43]
	s_delay_alu instid0(VALU_DEP_4) | instskip(NEXT) | instid1(VALU_DEP_4)
	v_fma_f64 v[12:13], -v[12:13], v[16:17], v[22:23]
	v_fma_f64 v[10:11], v[10:11], v[16:17], v[44:45]
	s_delay_alu instid0(VALU_DEP_4) | instskip(NEXT) | instid1(VALU_DEP_4)
	v_fma_f64 v[22:23], -v[32:33], v[16:17], v[46:47]
	v_fma_f64 v[14:15], v[30:31], v[16:17], v[14:15]
	s_waitcnt vmcnt(0)
	s_delay_alu instid0(VALU_DEP_4) | instskip(NEXT) | instid1(VALU_DEP_4)
	v_fma_f64 v[12:13], v[26:27], v[38:39], v[12:13]
	v_fma_f64 v[10:11], v[28:29], v[38:39], v[10:11]
	s_delay_alu instid0(VALU_DEP_4) | instskip(NEXT) | instid1(VALU_DEP_4)
	v_fma_f64 v[16:17], v[34:35], v[38:39], v[22:23]
	v_fma_f64 v[22:23], v[36:37], v[38:39], v[14:15]
	s_delay_alu instid0(VALU_DEP_4) | instskip(NEXT) | instid1(VALU_DEP_4)
	v_fma_f64 v[13:14], -v[28:29], v[40:41], v[12:13]
	v_fma_f64 v[11:12], v[26:27], v[40:41], v[10:11]
	s_delay_alu instid0(VALU_DEP_4) | instskip(NEXT) | instid1(VALU_DEP_4)
	v_fma_f64 v[15:16], -v[36:37], v[40:41], v[16:17]
	v_fma_f64 v[17:18], v[34:35], v[40:41], v[22:23]
	s_and_not1_b32 exec_lo, exec_lo, s0
	s_cbranch_execnz .LBB256_17
; %bb.18:
	s_or_b32 exec_lo, exec_lo, s0
.LBB256_19:
	s_delay_alu instid0(SALU_CYCLE_1)
	s_or_b32 exec_lo, exec_lo, s1
.LBB256_20:
	v_mbcnt_lo_u32_b32 v26, -1, 0
	s_delay_alu instid0(VALU_DEP_1) | instskip(NEXT) | instid1(VALU_DEP_1)
	v_xor_b32_e32 v9, 16, v26
	v_cmp_gt_i32_e32 vcc_lo, 32, v9
	v_cndmask_b32_e32 v9, v26, v9, vcc_lo
	s_delay_alu instid0(VALU_DEP_1)
	v_lshlrev_b32_e32 v24, 2, v9
	ds_bpermute_b32 v9, v24, v13
	ds_bpermute_b32 v10, v24, v14
	;; [unrolled: 1-line block ×8, first 2 shown]
	s_waitcnt lgkmcnt(6)
	v_add_f64 v[9:10], v[13:14], v[9:10]
	s_waitcnt lgkmcnt(4)
	v_add_f64 v[11:12], v[11:12], v[19:20]
	;; [unrolled: 2-line block ×4, first 2 shown]
	v_xor_b32_e32 v17, 8, v26
	s_delay_alu instid0(VALU_DEP_1) | instskip(SKIP_1) | instid1(VALU_DEP_1)
	v_cmp_gt_i32_e32 vcc_lo, 32, v17
	v_cndmask_b32_e32 v17, v26, v17, vcc_lo
	v_lshlrev_b32_e32 v24, 2, v17
	ds_bpermute_b32 v17, v24, v9
	ds_bpermute_b32 v18, v24, v10
	;; [unrolled: 1-line block ×8, first 2 shown]
	s_waitcnt lgkmcnt(6)
	v_add_f64 v[9:10], v[9:10], v[17:18]
	v_xor_b32_e32 v17, 4, v26
	s_waitcnt lgkmcnt(4)
	v_add_f64 v[11:12], v[11:12], v[19:20]
	s_waitcnt lgkmcnt(2)
	v_add_f64 v[13:14], v[13:14], v[21:22]
	;; [unrolled: 2-line block ×3, first 2 shown]
	v_cmp_gt_i32_e32 vcc_lo, 32, v17
	v_cndmask_b32_e32 v17, v26, v17, vcc_lo
	s_delay_alu instid0(VALU_DEP_1)
	v_lshlrev_b32_e32 v24, 2, v17
	ds_bpermute_b32 v17, v24, v9
	ds_bpermute_b32 v18, v24, v10
	;; [unrolled: 1-line block ×8, first 2 shown]
	s_waitcnt lgkmcnt(6)
	v_add_f64 v[9:10], v[9:10], v[17:18]
	s_waitcnt lgkmcnt(4)
	v_add_f64 v[11:12], v[11:12], v[19:20]
	;; [unrolled: 2-line block ×4, first 2 shown]
	v_xor_b32_e32 v15, 2, v26
	s_delay_alu instid0(VALU_DEP_1) | instskip(SKIP_1) | instid1(VALU_DEP_1)
	v_cmp_gt_i32_e32 vcc_lo, 32, v15
	v_cndmask_b32_e32 v15, v26, v15, vcc_lo
	v_lshlrev_b32_e32 v24, 2, v15
	ds_bpermute_b32 v15, v24, v9
	ds_bpermute_b32 v16, v24, v10
	;; [unrolled: 1-line block ×8, first 2 shown]
	s_waitcnt lgkmcnt(6)
	v_add_f64 v[9:10], v[9:10], v[15:16]
	s_waitcnt lgkmcnt(4)
	v_add_f64 v[15:16], v[11:12], v[19:20]
	;; [unrolled: 2-line block ×4, first 2 shown]
	v_xor_b32_e32 v17, 1, v26
	s_delay_alu instid0(VALU_DEP_1) | instskip(SKIP_2) | instid1(VALU_DEP_2)
	v_cmp_gt_i32_e32 vcc_lo, 32, v17
	v_cndmask_b32_e32 v17, v26, v17, vcc_lo
	v_cmp_eq_u32_e32 vcc_lo, 31, v25
	v_lshlrev_b32_e32 v20, 2, v17
	ds_bpermute_b32 v23, v20, v9
	ds_bpermute_b32 v24, v20, v10
	;; [unrolled: 1-line block ×8, first 2 shown]
	s_and_b32 exec_lo, exec_lo, vcc_lo
	s_cbranch_execz .LBB256_25
; %bb.21:
	v_cmp_eq_f64_e32 vcc_lo, 0, v[4:5]
	v_cmp_eq_f64_e64 s0, 0, v[6:7]
	s_waitcnt lgkmcnt(6)
	v_add_f64 v[9:10], v[9:10], v[23:24]
	s_waitcnt lgkmcnt(4)
	v_add_f64 v[15:16], v[15:16], v[21:22]
	;; [unrolled: 2-line block ×4, first 2 shown]
	s_load_b64 s[2:3], s[2:3], 0x48
	s_and_b32 s0, vcc_lo, s0
	s_delay_alu instid0(SALU_CYCLE_1) | instskip(NEXT) | instid1(SALU_CYCLE_1)
	s_and_saveexec_b32 s1, s0
	s_xor_b32 s0, exec_lo, s1
	s_cbranch_execz .LBB256_23
; %bb.22:
	s_delay_alu instid0(VALU_DEP_3) | instskip(SKIP_1) | instid1(VALU_DEP_3)
	v_mul_f64 v[4:5], v[15:16], -v[2:3]
	v_mul_f64 v[6:7], v[0:1], v[15:16]
	v_mul_f64 v[15:16], v[13:14], -v[2:3]
	v_mul_f64 v[13:14], v[0:1], v[13:14]
	v_lshlrev_b32_e32 v8, 1, v8
	v_fma_f64 v[4:5], v[0:1], v[9:10], v[4:5]
	v_fma_f64 v[6:7], v[2:3], v[9:10], v[6:7]
	v_fma_f64 v[0:1], v[0:1], v[11:12], v[15:16]
	v_fma_f64 v[2:3], v[2:3], v[11:12], v[13:14]
	v_ashrrev_i32_e32 v9, 31, v8
                                        ; implicit-def: $vgpr15_vgpr16
                                        ; implicit-def: $vgpr11_vgpr12
                                        ; implicit-def: $vgpr13_vgpr14
	s_delay_alu instid0(VALU_DEP_1) | instskip(SKIP_1) | instid1(VALU_DEP_1)
	v_lshlrev_b64 v[8:9], 4, v[8:9]
	s_waitcnt lgkmcnt(0)
	v_add_co_u32 v8, vcc_lo, s2, v8
	s_delay_alu instid0(VALU_DEP_2)
	v_add_co_ci_u32_e32 v9, vcc_lo, s3, v9, vcc_lo
	s_clause 0x1
	global_store_b128 v[8:9], v[4:7], off
	global_store_b128 v[8:9], v[0:3], off offset:16
                                        ; implicit-def: $vgpr0_vgpr1
                                        ; implicit-def: $vgpr2_vgpr3
                                        ; implicit-def: $vgpr4_vgpr5
                                        ; implicit-def: $vgpr6_vgpr7
                                        ; implicit-def: $vgpr8
                                        ; implicit-def: $vgpr9_vgpr10
.LBB256_23:
	s_and_not1_saveexec_b32 s0, s0
	s_cbranch_execz .LBB256_25
; %bb.24:
	v_lshlrev_b32_e32 v17, 1, v8
	s_delay_alu instid0(VALU_DEP_4) | instskip(SKIP_1) | instid1(VALU_DEP_4)
	v_mul_f64 v[27:28], v[15:16], -v[2:3]
	v_mul_f64 v[15:16], v[0:1], v[15:16]
	v_mul_f64 v[29:30], v[13:14], -v[2:3]
	v_mul_f64 v[13:14], v[0:1], v[13:14]
	v_ashrrev_i32_e32 v18, 31, v17
	s_delay_alu instid0(VALU_DEP_1) | instskip(SKIP_1) | instid1(VALU_DEP_1)
	v_lshlrev_b64 v[17:18], 4, v[17:18]
	s_waitcnt lgkmcnt(0)
	v_add_co_u32 v25, vcc_lo, s2, v17
	s_delay_alu instid0(VALU_DEP_2)
	v_add_co_ci_u32_e32 v26, vcc_lo, s3, v18, vcc_lo
	s_clause 0x1
	global_load_b128 v[17:20], v[25:26], off
	global_load_b128 v[21:24], v[25:26], off offset:16
	v_fma_f64 v[27:28], v[0:1], v[9:10], v[27:28]
	v_fma_f64 v[8:9], v[2:3], v[9:10], v[15:16]
	;; [unrolled: 1-line block ×4, first 2 shown]
	s_waitcnt vmcnt(1)
	s_delay_alu instid0(VALU_DEP_4) | instskip(NEXT) | instid1(VALU_DEP_4)
	v_fma_f64 v[10:11], v[4:5], v[17:18], v[27:28]
	v_fma_f64 v[8:9], v[6:7], v[17:18], v[8:9]
	s_waitcnt vmcnt(0)
	s_delay_alu instid0(VALU_DEP_4) | instskip(NEXT) | instid1(VALU_DEP_4)
	v_fma_f64 v[12:13], v[4:5], v[21:22], v[0:1]
	v_fma_f64 v[14:15], v[6:7], v[21:22], v[2:3]
	s_delay_alu instid0(VALU_DEP_4) | instskip(NEXT) | instid1(VALU_DEP_4)
	v_fma_f64 v[0:1], -v[6:7], v[19:20], v[10:11]
	v_fma_f64 v[2:3], v[4:5], v[19:20], v[8:9]
	s_delay_alu instid0(VALU_DEP_4) | instskip(NEXT) | instid1(VALU_DEP_4)
	v_fma_f64 v[6:7], -v[6:7], v[23:24], v[12:13]
	v_fma_f64 v[8:9], v[4:5], v[23:24], v[14:15]
	s_clause 0x1
	global_store_b128 v[25:26], v[0:3], off
	global_store_b128 v[25:26], v[6:9], off offset:16
.LBB256_25:
	s_nop 0
	s_sendmsg sendmsg(MSG_DEALLOC_VGPRS)
	s_endpgm
	.section	.rodata,"a",@progbits
	.p2align	6, 0x0
	.amdhsa_kernel _ZN9rocsparseL19gebsrmvn_2xn_kernelILj128ELj7ELj32E21rocsparse_complex_numIdEEEvi20rocsparse_direction_NS_24const_host_device_scalarIT2_EEPKiS8_PKS5_SA_S6_PS5_21rocsparse_index_base_b
		.amdhsa_group_segment_fixed_size 2048
		.amdhsa_private_segment_fixed_size 0
		.amdhsa_kernarg_size 88
		.amdhsa_user_sgpr_count 15
		.amdhsa_user_sgpr_dispatch_ptr 1
		.amdhsa_user_sgpr_queue_ptr 0
		.amdhsa_user_sgpr_kernarg_segment_ptr 1
		.amdhsa_user_sgpr_dispatch_id 0
		.amdhsa_user_sgpr_private_segment_size 0
		.amdhsa_wavefront_size32 1
		.amdhsa_uses_dynamic_stack 0
		.amdhsa_enable_private_segment 0
		.amdhsa_system_sgpr_workgroup_id_x 1
		.amdhsa_system_sgpr_workgroup_id_y 0
		.amdhsa_system_sgpr_workgroup_id_z 0
		.amdhsa_system_sgpr_workgroup_info 0
		.amdhsa_system_vgpr_workitem_id 2
		.amdhsa_next_free_vgpr 91
		.amdhsa_next_free_sgpr 18
		.amdhsa_reserve_vcc 1
		.amdhsa_float_round_mode_32 0
		.amdhsa_float_round_mode_16_64 0
		.amdhsa_float_denorm_mode_32 3
		.amdhsa_float_denorm_mode_16_64 3
		.amdhsa_dx10_clamp 1
		.amdhsa_ieee_mode 1
		.amdhsa_fp16_overflow 0
		.amdhsa_workgroup_processor_mode 1
		.amdhsa_memory_ordered 1
		.amdhsa_forward_progress 0
		.amdhsa_shared_vgpr_count 0
		.amdhsa_exception_fp_ieee_invalid_op 0
		.amdhsa_exception_fp_denorm_src 0
		.amdhsa_exception_fp_ieee_div_zero 0
		.amdhsa_exception_fp_ieee_overflow 0
		.amdhsa_exception_fp_ieee_underflow 0
		.amdhsa_exception_fp_ieee_inexact 0
		.amdhsa_exception_int_div_zero 0
	.end_amdhsa_kernel
	.section	.text._ZN9rocsparseL19gebsrmvn_2xn_kernelILj128ELj7ELj32E21rocsparse_complex_numIdEEEvi20rocsparse_direction_NS_24const_host_device_scalarIT2_EEPKiS8_PKS5_SA_S6_PS5_21rocsparse_index_base_b,"axG",@progbits,_ZN9rocsparseL19gebsrmvn_2xn_kernelILj128ELj7ELj32E21rocsparse_complex_numIdEEEvi20rocsparse_direction_NS_24const_host_device_scalarIT2_EEPKiS8_PKS5_SA_S6_PS5_21rocsparse_index_base_b,comdat
.Lfunc_end256:
	.size	_ZN9rocsparseL19gebsrmvn_2xn_kernelILj128ELj7ELj32E21rocsparse_complex_numIdEEEvi20rocsparse_direction_NS_24const_host_device_scalarIT2_EEPKiS8_PKS5_SA_S6_PS5_21rocsparse_index_base_b, .Lfunc_end256-_ZN9rocsparseL19gebsrmvn_2xn_kernelILj128ELj7ELj32E21rocsparse_complex_numIdEEEvi20rocsparse_direction_NS_24const_host_device_scalarIT2_EEPKiS8_PKS5_SA_S6_PS5_21rocsparse_index_base_b
                                        ; -- End function
	.section	.AMDGPU.csdata,"",@progbits
; Kernel info:
; codeLenInByte = 4388
; NumSgprs: 20
; NumVgprs: 91
; ScratchSize: 0
; MemoryBound: 0
; FloatMode: 240
; IeeeMode: 1
; LDSByteSize: 2048 bytes/workgroup (compile time only)
; SGPRBlocks: 2
; VGPRBlocks: 11
; NumSGPRsForWavesPerEU: 20
; NumVGPRsForWavesPerEU: 91
; Occupancy: 16
; WaveLimiterHint : 1
; COMPUTE_PGM_RSRC2:SCRATCH_EN: 0
; COMPUTE_PGM_RSRC2:USER_SGPR: 15
; COMPUTE_PGM_RSRC2:TRAP_HANDLER: 0
; COMPUTE_PGM_RSRC2:TGID_X_EN: 1
; COMPUTE_PGM_RSRC2:TGID_Y_EN: 0
; COMPUTE_PGM_RSRC2:TGID_Z_EN: 0
; COMPUTE_PGM_RSRC2:TIDIG_COMP_CNT: 2
	.section	.text._ZN9rocsparseL19gebsrmvn_2xn_kernelILj128ELj7ELj64E21rocsparse_complex_numIdEEEvi20rocsparse_direction_NS_24const_host_device_scalarIT2_EEPKiS8_PKS5_SA_S6_PS5_21rocsparse_index_base_b,"axG",@progbits,_ZN9rocsparseL19gebsrmvn_2xn_kernelILj128ELj7ELj64E21rocsparse_complex_numIdEEEvi20rocsparse_direction_NS_24const_host_device_scalarIT2_EEPKiS8_PKS5_SA_S6_PS5_21rocsparse_index_base_b,comdat
	.globl	_ZN9rocsparseL19gebsrmvn_2xn_kernelILj128ELj7ELj64E21rocsparse_complex_numIdEEEvi20rocsparse_direction_NS_24const_host_device_scalarIT2_EEPKiS8_PKS5_SA_S6_PS5_21rocsparse_index_base_b ; -- Begin function _ZN9rocsparseL19gebsrmvn_2xn_kernelILj128ELj7ELj64E21rocsparse_complex_numIdEEEvi20rocsparse_direction_NS_24const_host_device_scalarIT2_EEPKiS8_PKS5_SA_S6_PS5_21rocsparse_index_base_b
	.p2align	8
	.type	_ZN9rocsparseL19gebsrmvn_2xn_kernelILj128ELj7ELj64E21rocsparse_complex_numIdEEEvi20rocsparse_direction_NS_24const_host_device_scalarIT2_EEPKiS8_PKS5_SA_S6_PS5_21rocsparse_index_base_b,@function
_ZN9rocsparseL19gebsrmvn_2xn_kernelILj128ELj7ELj64E21rocsparse_complex_numIdEEEvi20rocsparse_direction_NS_24const_host_device_scalarIT2_EEPKiS8_PKS5_SA_S6_PS5_21rocsparse_index_base_b: ; @_ZN9rocsparseL19gebsrmvn_2xn_kernelILj128ELj7ELj64E21rocsparse_complex_numIdEEEvi20rocsparse_direction_NS_24const_host_device_scalarIT2_EEPKiS8_PKS5_SA_S6_PS5_21rocsparse_index_base_b
; %bb.0:
	s_load_b64 s[12:13], s[2:3], 0x50
	s_load_b64 s[16:17], s[0:1], 0x4
	s_load_b128 s[8:11], s[2:3], 0x8
	v_bfe_u32 v1, v0, 10, 10
	s_mov_b64 s[0:1], src_shared_base
	s_load_b128 s[4:7], s[2:3], 0x38
	v_and_b32_e32 v10, 0x3ff, v0
	v_bfe_u32 v0, v0, 20, 10
	s_waitcnt lgkmcnt(0)
	s_bitcmp1_b32 s13, 0
	v_mul_u32_u24_e32 v1, s17, v1
	s_cselect_b32 s0, -1, 0
	s_delay_alu instid0(SALU_CYCLE_1)
	s_and_b32 vcc_lo, s0, exec_lo
	s_cselect_b32 s13, s1, s9
	s_lshr_b32 s14, s16, 16
	v_dual_mov_b32 v2, s4 :: v_dual_mov_b32 v3, s5
	s_mul_i32 s14, s14, s17
	v_mov_b32_e32 v6, s13
	v_mad_u32_u24 v1, s14, v10, v1
	s_delay_alu instid0(VALU_DEP_1) | instskip(SKIP_1) | instid1(VALU_DEP_2)
	v_add_lshl_u32 v4, v1, v0, 3
	v_dual_mov_b32 v0, s8 :: v_dual_mov_b32 v1, s9
	v_add_nc_u32_e32 v5, 0x400, v4
	ds_store_2addr_stride64_b64 v4, v[2:3], v[0:1] offset1:2
	v_dual_mov_b32 v2, s10 :: v_dual_mov_b32 v3, s11
	v_cndmask_b32_e64 v5, s8, v5, s0
	s_xor_b32 s10, s0, -1
	flat_load_b64 v[0:1], v[5:6]
	s_cbranch_vccnz .LBB257_2
; %bb.1:
	v_dual_mov_b32 v2, s8 :: v_dual_mov_b32 v3, s9
	flat_load_b64 v[2:3], v[2:3] offset:8
.LBB257_2:
	s_and_b32 s8, s0, exec_lo
	s_cselect_b32 s1, s1, s5
	v_cndmask_b32_e64 v4, s4, v4, s0
	v_dual_mov_b32 v5, s1 :: v_dual_mov_b32 v6, s6
	v_mov_b32_e32 v7, s7
	s_and_not1_b32 vcc_lo, exec_lo, s10
	flat_load_b64 v[4:5], v[4:5]
	s_cbranch_vccnz .LBB257_4
; %bb.3:
	v_dual_mov_b32 v7, s5 :: v_dual_mov_b32 v6, s4
	flat_load_b64 v[6:7], v[6:7] offset:8
.LBB257_4:
	s_waitcnt vmcnt(1) lgkmcnt(1)
	v_cmp_eq_f64_e32 vcc_lo, 0, v[0:1]
	v_cmp_eq_f64_e64 s0, 0, v[2:3]
	s_delay_alu instid0(VALU_DEP_1)
	s_and_b32 s4, vcc_lo, s0
	s_mov_b32 s0, -1
	s_and_saveexec_b32 s1, s4
	s_cbranch_execz .LBB257_6
; %bb.5:
	s_waitcnt vmcnt(0) lgkmcnt(0)
	v_cmp_neq_f64_e32 vcc_lo, 1.0, v[4:5]
	v_cmp_neq_f64_e64 s0, 0, v[6:7]
	s_delay_alu instid0(VALU_DEP_1) | instskip(NEXT) | instid1(SALU_CYCLE_1)
	s_or_b32 s0, vcc_lo, s0
	s_or_not1_b32 s0, s0, exec_lo
.LBB257_6:
	s_or_b32 exec_lo, exec_lo, s1
	s_and_saveexec_b32 s1, s0
	s_cbranch_execz .LBB257_25
; %bb.7:
	s_load_b64 s[0:1], s[2:3], 0x0
	v_lshrrev_b32_e32 v8, 6, v10
	s_delay_alu instid0(VALU_DEP_1) | instskip(SKIP_1) | instid1(VALU_DEP_1)
	v_lshl_or_b32 v8, s15, 1, v8
	s_waitcnt lgkmcnt(0)
	v_cmp_gt_i32_e32 vcc_lo, s0, v8
	s_and_b32 exec_lo, exec_lo, vcc_lo
	s_cbranch_execz .LBB257_25
; %bb.8:
	s_load_b256 s[4:11], s[2:3], 0x18
	v_ashrrev_i32_e32 v9, 31, v8
	v_and_b32_e32 v25, 63, v10
	s_cmp_lg_u32 s1, 0
	s_delay_alu instid0(VALU_DEP_2) | instskip(SKIP_1) | instid1(VALU_DEP_1)
	v_lshlrev_b64 v[11:12], 2, v[8:9]
	s_waitcnt lgkmcnt(0)
	v_add_co_u32 v11, vcc_lo, s4, v11
	s_delay_alu instid0(VALU_DEP_2) | instskip(SKIP_4) | instid1(VALU_DEP_2)
	v_add_co_ci_u32_e32 v12, vcc_lo, s5, v12, vcc_lo
	global_load_b64 v[11:12], v[11:12], off
	s_waitcnt vmcnt(0)
	v_subrev_nc_u32_e32 v9, s12, v11
	v_subrev_nc_u32_e32 v24, s12, v12
	v_add_nc_u32_e32 v9, v9, v25
	s_delay_alu instid0(VALU_DEP_1)
	v_cmp_lt_i32_e64 s0, v9, v24
	s_cbranch_scc0 .LBB257_14
; %bb.9:
	v_mov_b32_e32 v11, 0
	v_mov_b32_e32 v12, 0
	s_delay_alu instid0(VALU_DEP_1)
	v_dual_mov_b32 v14, v12 :: v_dual_mov_b32 v13, v11
	v_dual_mov_b32 v16, v12 :: v_dual_mov_b32 v15, v11
	v_dual_mov_b32 v18, v12 :: v_dual_mov_b32 v17, v11
	s_and_saveexec_b32 s1, s0
	s_cbranch_execz .LBB257_13
; %bb.10:
	v_dual_mov_b32 v11, 0 :: v_dual_mov_b32 v22, v9
	v_dual_mov_b32 v12, 0 :: v_dual_mov_b32 v21, 0
	v_mad_u64_u32 v[19:20], null, v9, 14, 12
	s_mov_b32 s4, 0
	s_delay_alu instid0(VALU_DEP_2)
	v_dual_mov_b32 v14, v12 :: v_dual_mov_b32 v13, v11
	v_dual_mov_b32 v16, v12 :: v_dual_mov_b32 v15, v11
	;; [unrolled: 1-line block ×3, first 2 shown]
.LBB257_11:                             ; =>This Inner Loop Header: Depth=1
	v_ashrrev_i32_e32 v23, 31, v22
	v_dual_mov_b32 v87, v21 :: v_dual_add_nc_u32 v20, -12, v19
	s_delay_alu instid0(VALU_DEP_2) | instskip(SKIP_1) | instid1(VALU_DEP_2)
	v_lshlrev_b64 v[26:27], 2, v[22:23]
	v_add_nc_u32_e32 v22, 64, v22
	v_add_co_u32 v26, vcc_lo, s6, v26
	s_delay_alu instid0(VALU_DEP_3) | instskip(SKIP_3) | instid1(VALU_DEP_1)
	v_add_co_ci_u32_e32 v27, vcc_lo, s7, v27, vcc_lo
	global_load_b32 v10, v[26:27], off
	v_lshlrev_b64 v[26:27], 4, v[20:21]
	v_add_nc_u32_e32 v20, -10, v19
	v_lshlrev_b64 v[38:39], 4, v[20:21]
	s_delay_alu instid0(VALU_DEP_3) | instskip(NEXT) | instid1(VALU_DEP_4)
	v_add_co_u32 v30, vcc_lo, s8, v26
	v_add_co_ci_u32_e32 v31, vcc_lo, s9, v27, vcc_lo
	global_load_b128 v[26:29], v[30:31], off offset:16
	s_waitcnt vmcnt(1)
	v_subrev_nc_u32_e32 v10, s12, v10
	s_delay_alu instid0(VALU_DEP_1) | instskip(NEXT) | instid1(VALU_DEP_1)
	v_mul_lo_u32 v86, v10, 7
	v_lshlrev_b64 v[32:33], 4, v[86:87]
	v_add_nc_u32_e32 v20, 1, v86
	s_delay_alu instid0(VALU_DEP_1) | instskip(NEXT) | instid1(VALU_DEP_3)
	v_lshlrev_b64 v[44:45], 4, v[20:21]
	v_add_co_u32 v34, vcc_lo, s10, v32
	s_delay_alu instid0(VALU_DEP_4)
	v_add_co_ci_u32_e32 v35, vcc_lo, s11, v33, vcc_lo
	v_add_co_u32 v42, vcc_lo, s8, v38
	global_load_b128 v[30:33], v[30:31], off
	global_load_b128 v[34:37], v[34:35], off
	v_add_co_ci_u32_e32 v43, vcc_lo, s9, v39, vcc_lo
	v_add_co_u32 v46, vcc_lo, s10, v44
	v_add_co_ci_u32_e32 v47, vcc_lo, s11, v45, vcc_lo
	s_clause 0x1
	global_load_b128 v[38:41], v[42:43], off offset:16
	global_load_b128 v[42:45], v[42:43], off
	global_load_b128 v[46:49], v[46:47], off
	v_add_nc_u32_e32 v20, -8, v19
	s_delay_alu instid0(VALU_DEP_1) | instskip(SKIP_1) | instid1(VALU_DEP_1)
	v_lshlrev_b64 v[50:51], 4, v[20:21]
	v_add_nc_u32_e32 v20, 2, v86
	v_lshlrev_b64 v[52:53], 4, v[20:21]
	s_delay_alu instid0(VALU_DEP_3) | instskip(NEXT) | instid1(VALU_DEP_4)
	v_add_co_u32 v54, vcc_lo, s8, v50
	v_add_co_ci_u32_e32 v55, vcc_lo, s9, v51, vcc_lo
	v_add_nc_u32_e32 v20, -6, v19
	s_delay_alu instid0(VALU_DEP_4)
	v_add_co_u32 v58, vcc_lo, s10, v52
	v_add_co_ci_u32_e32 v59, vcc_lo, s11, v53, vcc_lo
	s_clause 0x1
	global_load_b128 v[50:53], v[54:55], off offset:16
	global_load_b128 v[54:57], v[54:55], off
	global_load_b128 v[58:61], v[58:59], off
	v_lshlrev_b64 v[62:63], 4, v[20:21]
	v_add_nc_u32_e32 v20, 3, v86
	s_delay_alu instid0(VALU_DEP_1) | instskip(NEXT) | instid1(VALU_DEP_3)
	v_lshlrev_b64 v[64:65], 4, v[20:21]
	v_add_co_u32 v66, vcc_lo, s8, v62
	s_delay_alu instid0(VALU_DEP_4) | instskip(SKIP_1) | instid1(VALU_DEP_4)
	v_add_co_ci_u32_e32 v67, vcc_lo, s9, v63, vcc_lo
	v_add_nc_u32_e32 v20, -4, v19
	v_add_co_u32 v70, vcc_lo, s10, v64
	v_add_co_ci_u32_e32 v71, vcc_lo, s11, v65, vcc_lo
	s_clause 0x1
	global_load_b128 v[62:65], v[66:67], off offset:16
	global_load_b128 v[66:69], v[66:67], off
	global_load_b128 v[70:73], v[70:71], off
	v_lshlrev_b64 v[74:75], 4, v[20:21]
	v_add_nc_u32_e32 v20, 4, v86
	s_delay_alu instid0(VALU_DEP_1) | instskip(NEXT) | instid1(VALU_DEP_3)
	v_lshlrev_b64 v[76:77], 4, v[20:21]
	v_add_co_u32 v78, vcc_lo, s8, v74
	s_delay_alu instid0(VALU_DEP_4) | instskip(SKIP_1) | instid1(VALU_DEP_4)
	v_add_co_ci_u32_e32 v79, vcc_lo, s9, v75, vcc_lo
	v_add_nc_u32_e32 v20, -2, v19
	v_add_co_u32 v82, vcc_lo, s10, v76
	v_add_co_ci_u32_e32 v83, vcc_lo, s11, v77, vcc_lo
	s_clause 0x1
	global_load_b128 v[74:77], v[78:79], off offset:16
	global_load_b128 v[78:81], v[78:79], off
	global_load_b128 v[82:85], v[82:83], off
	s_waitcnt vmcnt(12)
	v_fma_f64 v[13:14], v[30:31], v[34:35], v[13:14]
	v_fma_f64 v[10:11], v[32:33], v[34:35], v[11:12]
	;; [unrolled: 1-line block ×4, first 2 shown]
	v_lshlrev_b64 v[34:35], 4, v[20:21]
	v_add_nc_u32_e32 v20, 5, v86
	v_fma_f64 v[32:33], -v[32:33], v[36:37], v[13:14]
	v_fma_f64 v[30:31], v[30:31], v[36:37], v[10:11]
	v_fma_f64 v[87:88], -v[28:29], v[36:37], v[15:16]
	v_fma_f64 v[36:37], v[26:27], v[36:37], v[17:18]
	v_lshlrev_b64 v[10:11], 4, v[20:21]
	v_add_co_u32 v14, vcc_lo, s8, v34
	v_add_co_ci_u32_e32 v15, vcc_lo, s9, v35, vcc_lo
	v_mov_b32_e32 v20, v21
	s_delay_alu instid0(VALU_DEP_4)
	v_add_co_u32 v26, vcc_lo, s10, v10
	v_add_co_ci_u32_e32 v27, vcc_lo, s11, v11, vcc_lo
	s_clause 0x1
	global_load_b128 v[10:13], v[14:15], off offset:16
	global_load_b128 v[14:17], v[14:15], off
	global_load_b128 v[26:29], v[26:27], off
	s_waitcnt vmcnt(12)
	v_fma_f64 v[34:35], v[42:43], v[46:47], v[32:33]
	v_fma_f64 v[89:90], v[44:45], v[46:47], v[30:31]
	;; [unrolled: 1-line block ×4, first 2 shown]
	v_lshlrev_b64 v[30:31], 4, v[19:20]
	v_add_nc_u32_e32 v19, 0x380, v19
	v_add_nc_u32_e32 v20, 6, v86
	s_delay_alu instid0(VALU_DEP_3) | instskip(NEXT) | instid1(VALU_DEP_4)
	v_add_co_u32 v46, vcc_lo, s8, v30
	v_add_co_ci_u32_e32 v47, vcc_lo, s9, v31, vcc_lo
	global_load_b128 v[30:33], v[46:47], off offset:16
	v_fma_f64 v[44:45], -v[44:45], v[48:49], v[34:35]
	v_fma_f64 v[42:43], v[42:43], v[48:49], v[89:90]
	v_fma_f64 v[87:88], -v[40:41], v[48:49], v[87:88]
	v_fma_f64 v[48:49], v[38:39], v[48:49], v[36:37]
	v_lshlrev_b64 v[34:35], 4, v[20:21]
	s_delay_alu instid0(VALU_DEP_1) | instskip(NEXT) | instid1(VALU_DEP_2)
	v_add_co_u32 v38, vcc_lo, s10, v34
	v_add_co_ci_u32_e32 v39, vcc_lo, s11, v35, vcc_lo
	global_load_b128 v[34:37], v[46:47], off
	global_load_b128 v[38:41], v[38:39], off
	v_cmp_ge_i32_e32 vcc_lo, v22, v24
	s_or_b32 s4, vcc_lo, s4
	s_waitcnt vmcnt(12)
	v_fma_f64 v[44:45], v[54:55], v[58:59], v[44:45]
	v_fma_f64 v[42:43], v[56:57], v[58:59], v[42:43]
	;; [unrolled: 1-line block ×4, first 2 shown]
	s_delay_alu instid0(VALU_DEP_4) | instskip(NEXT) | instid1(VALU_DEP_4)
	v_fma_f64 v[44:45], -v[56:57], v[60:61], v[44:45]
	v_fma_f64 v[42:43], v[54:55], v[60:61], v[42:43]
	s_delay_alu instid0(VALU_DEP_4) | instskip(NEXT) | instid1(VALU_DEP_4)
	v_fma_f64 v[46:47], -v[52:53], v[60:61], v[46:47]
	v_fma_f64 v[48:49], v[50:51], v[60:61], v[48:49]
	s_waitcnt vmcnt(9)
	s_delay_alu instid0(VALU_DEP_4) | instskip(NEXT) | instid1(VALU_DEP_4)
	v_fma_f64 v[44:45], v[66:67], v[70:71], v[44:45]
	v_fma_f64 v[42:43], v[68:69], v[70:71], v[42:43]
	s_delay_alu instid0(VALU_DEP_4) | instskip(NEXT) | instid1(VALU_DEP_4)
	v_fma_f64 v[46:47], v[62:63], v[70:71], v[46:47]
	v_fma_f64 v[48:49], v[64:65], v[70:71], v[48:49]
	s_delay_alu instid0(VALU_DEP_4) | instskip(NEXT) | instid1(VALU_DEP_4)
	v_fma_f64 v[44:45], -v[68:69], v[72:73], v[44:45]
	v_fma_f64 v[42:43], v[66:67], v[72:73], v[42:43]
	s_delay_alu instid0(VALU_DEP_4) | instskip(NEXT) | instid1(VALU_DEP_4)
	v_fma_f64 v[46:47], -v[64:65], v[72:73], v[46:47]
	v_fma_f64 v[48:49], v[62:63], v[72:73], v[48:49]
	s_waitcnt vmcnt(6)
	s_delay_alu instid0(VALU_DEP_4) | instskip(NEXT) | instid1(VALU_DEP_4)
	v_fma_f64 v[44:45], v[78:79], v[82:83], v[44:45]
	v_fma_f64 v[42:43], v[80:81], v[82:83], v[42:43]
	s_delay_alu instid0(VALU_DEP_4) | instskip(NEXT) | instid1(VALU_DEP_4)
	v_fma_f64 v[46:47], v[74:75], v[82:83], v[46:47]
	v_fma_f64 v[48:49], v[76:77], v[82:83], v[48:49]
	;; [unrolled: 13-line block ×4, first 2 shown]
	s_delay_alu instid0(VALU_DEP_4) | instskip(NEXT) | instid1(VALU_DEP_4)
	v_fma_f64 v[13:14], -v[36:37], v[40:41], v[16:17]
	v_fma_f64 v[11:12], v[34:35], v[40:41], v[26:27]
	s_delay_alu instid0(VALU_DEP_4) | instskip(NEXT) | instid1(VALU_DEP_4)
	v_fma_f64 v[15:16], -v[32:33], v[40:41], v[28:29]
	v_fma_f64 v[17:18], v[30:31], v[40:41], v[38:39]
	s_and_not1_b32 exec_lo, exec_lo, s4
	s_cbranch_execnz .LBB257_11
; %bb.12:
	s_or_b32 exec_lo, exec_lo, s4
.LBB257_13:
	s_delay_alu instid0(SALU_CYCLE_1)
	s_or_b32 exec_lo, exec_lo, s1
	s_cbranch_execz .LBB257_15
	s_branch .LBB257_20
.LBB257_14:
                                        ; implicit-def: $vgpr11_vgpr12
                                        ; implicit-def: $vgpr13_vgpr14
                                        ; implicit-def: $vgpr15_vgpr16
                                        ; implicit-def: $vgpr17_vgpr18
.LBB257_15:
	v_mov_b32_e32 v11, 0
	v_mov_b32_e32 v12, 0
	s_delay_alu instid0(VALU_DEP_1)
	v_dual_mov_b32 v14, v12 :: v_dual_mov_b32 v13, v11
	v_dual_mov_b32 v16, v12 :: v_dual_mov_b32 v15, v11
	;; [unrolled: 1-line block ×3, first 2 shown]
	s_and_saveexec_b32 s1, s0
	s_cbranch_execz .LBB257_19
; %bb.16:
	v_mov_b32_e32 v11, 0
	v_dual_mov_b32 v12, 0 :: v_dual_mov_b32 v21, 0
	v_mad_u64_u32 v[19:20], null, v9, 14, 13
	s_mov_b32 s0, 0
	s_delay_alu instid0(VALU_DEP_2)
	v_dual_mov_b32 v14, v12 :: v_dual_mov_b32 v13, v11
	v_dual_mov_b32 v16, v12 :: v_dual_mov_b32 v15, v11
	v_dual_mov_b32 v18, v12 :: v_dual_mov_b32 v17, v11
.LBB257_17:                             ; =>This Inner Loop Header: Depth=1
	v_ashrrev_i32_e32 v10, 31, v9
	v_dual_mov_b32 v87, v21 :: v_dual_add_nc_u32 v20, -13, v19
	s_delay_alu instid0(VALU_DEP_2) | instskip(NEXT) | instid1(VALU_DEP_2)
	v_lshlrev_b64 v[22:23], 2, v[9:10]
	v_lshlrev_b64 v[26:27], 4, v[20:21]
	v_add_nc_u32_e32 v9, 64, v9
	s_delay_alu instid0(VALU_DEP_3) | instskip(NEXT) | instid1(VALU_DEP_4)
	v_add_co_u32 v22, vcc_lo, s6, v22
	v_add_co_ci_u32_e32 v23, vcc_lo, s7, v23, vcc_lo
	s_delay_alu instid0(VALU_DEP_4) | instskip(SKIP_3) | instid1(VALU_DEP_1)
	v_add_co_u32 v30, vcc_lo, s8, v26
	v_add_co_ci_u32_e32 v31, vcc_lo, s9, v27, vcc_lo
	global_load_b32 v10, v[22:23], off
	v_dual_mov_b32 v23, v21 :: v_dual_add_nc_u32 v22, -6, v19
	v_lshlrev_b64 v[22:23], 4, v[22:23]
	s_delay_alu instid0(VALU_DEP_1) | instskip(NEXT) | instid1(VALU_DEP_2)
	v_add_co_u32 v22, vcc_lo, s8, v22
	v_add_co_ci_u32_e32 v23, vcc_lo, s9, v23, vcc_lo
	s_clause 0x2
	global_load_b128 v[26:29], v[30:31], off offset:16
	global_load_b128 v[30:33], v[30:31], off
	global_load_b128 v[34:37], v[22:23], off
	s_waitcnt vmcnt(3)
	v_subrev_nc_u32_e32 v10, s12, v10
	s_delay_alu instid0(VALU_DEP_1) | instskip(NEXT) | instid1(VALU_DEP_1)
	v_mul_lo_u32 v86, v10, 7
	v_lshlrev_b64 v[22:23], 4, v[86:87]
	v_add_nc_u32_e32 v20, 1, v86
	s_delay_alu instid0(VALU_DEP_2) | instskip(NEXT) | instid1(VALU_DEP_3)
	v_add_co_u32 v22, vcc_lo, s10, v22
	v_add_co_ci_u32_e32 v23, vcc_lo, s11, v23, vcc_lo
	global_load_b128 v[38:41], v[22:23], off
	v_lshlrev_b64 v[22:23], 4, v[20:21]
	v_add_nc_u32_e32 v20, -5, v19
	s_delay_alu instid0(VALU_DEP_1) | instskip(NEXT) | instid1(VALU_DEP_3)
	v_lshlrev_b64 v[42:43], 4, v[20:21]
	v_add_co_u32 v22, vcc_lo, s10, v22
	s_delay_alu instid0(VALU_DEP_4) | instskip(SKIP_1) | instid1(VALU_DEP_4)
	v_add_co_ci_u32_e32 v23, vcc_lo, s11, v23, vcc_lo
	v_add_nc_u32_e32 v20, -11, v19
	v_add_co_u32 v46, vcc_lo, s8, v42
	v_add_co_ci_u32_e32 v47, vcc_lo, s9, v43, vcc_lo
	global_load_b128 v[42:45], v[22:23], off
	global_load_b128 v[46:49], v[46:47], off
	v_lshlrev_b64 v[22:23], 4, v[20:21]
	v_add_nc_u32_e32 v20, 2, v86
	s_delay_alu instid0(VALU_DEP_1) | instskip(SKIP_1) | instid1(VALU_DEP_4)
	v_lshlrev_b64 v[50:51], 4, v[20:21]
	v_add_nc_u32_e32 v20, -4, v19
	v_add_co_u32 v22, vcc_lo, s8, v22
	v_add_co_ci_u32_e32 v23, vcc_lo, s9, v23, vcc_lo
	s_delay_alu instid0(VALU_DEP_3) | instskip(SKIP_3) | instid1(VALU_DEP_4)
	v_lshlrev_b64 v[52:53], 4, v[20:21]
	v_add_co_u32 v54, vcc_lo, s10, v50
	v_add_co_ci_u32_e32 v55, vcc_lo, s11, v51, vcc_lo
	v_add_nc_u32_e32 v20, -10, v19
	v_add_co_u32 v58, vcc_lo, s8, v52
	v_add_co_ci_u32_e32 v59, vcc_lo, s9, v53, vcc_lo
	global_load_b128 v[50:53], v[22:23], off
	global_load_b128 v[54:57], v[54:55], off
	global_load_b128 v[58:61], v[58:59], off
	v_lshlrev_b64 v[22:23], 4, v[20:21]
	v_add_nc_u32_e32 v20, 3, v86
	s_delay_alu instid0(VALU_DEP_1) | instskip(SKIP_1) | instid1(VALU_DEP_4)
	v_lshlrev_b64 v[62:63], 4, v[20:21]
	v_add_nc_u32_e32 v20, -3, v19
	v_add_co_u32 v22, vcc_lo, s8, v22
	v_add_co_ci_u32_e32 v23, vcc_lo, s9, v23, vcc_lo
	s_delay_alu instid0(VALU_DEP_3) | instskip(SKIP_3) | instid1(VALU_DEP_4)
	v_lshlrev_b64 v[64:65], 4, v[20:21]
	v_add_co_u32 v66, vcc_lo, s10, v62
	v_add_co_ci_u32_e32 v67, vcc_lo, s11, v63, vcc_lo
	v_add_nc_u32_e32 v20, -9, v19
	v_add_co_u32 v70, vcc_lo, s8, v64
	v_add_co_ci_u32_e32 v71, vcc_lo, s9, v65, vcc_lo
	global_load_b128 v[62:65], v[22:23], off
	;; [unrolled: 17-line block ×3, first 2 shown]
	global_load_b128 v[78:81], v[78:79], off
	global_load_b128 v[82:85], v[82:83], off
	v_lshlrev_b64 v[22:23], 4, v[20:21]
	v_add_nc_u32_e32 v20, 5, v86
	s_waitcnt vmcnt(11)
	v_fma_f64 v[13:14], v[30:31], v[38:39], v[13:14]
	v_fma_f64 v[10:11], v[32:33], v[38:39], v[11:12]
	;; [unrolled: 1-line block ×4, first 2 shown]
	v_add_co_u32 v12, vcc_lo, s8, v22
	v_fma_f64 v[38:39], -v[32:33], v[40:41], v[13:14]
	v_fma_f64 v[87:88], v[30:31], v[40:41], v[10:11]
	v_fma_f64 v[36:37], -v[36:37], v[40:41], v[15:16]
	v_fma_f64 v[34:35], v[34:35], v[40:41], v[17:18]
	v_lshlrev_b64 v[10:11], 4, v[20:21]
	v_add_nc_u32_e32 v20, -1, v19
	v_add_co_ci_u32_e32 v13, vcc_lo, s9, v23, vcc_lo
	s_delay_alu instid0(VALU_DEP_2) | instskip(NEXT) | instid1(VALU_DEP_4)
	v_lshlrev_b64 v[14:15], 4, v[20:21]
	v_add_co_u32 v16, vcc_lo, s10, v10
	v_add_co_ci_u32_e32 v17, vcc_lo, s11, v11, vcc_lo
	v_mov_b32_e32 v20, v21
	s_delay_alu instid0(VALU_DEP_4)
	v_add_co_u32 v22, vcc_lo, s8, v14
	v_add_co_ci_u32_e32 v23, vcc_lo, s9, v15, vcc_lo
	global_load_b128 v[10:13], v[12:13], off
	global_load_b128 v[14:17], v[16:17], off
	;; [unrolled: 1-line block ×3, first 2 shown]
	s_waitcnt vmcnt(13)
	v_fma_f64 v[22:23], v[26:27], v[42:43], v[38:39]
	v_fma_f64 v[38:39], v[28:29], v[42:43], v[87:88]
	s_waitcnt vmcnt(12)
	v_fma_f64 v[40:41], v[46:47], v[42:43], v[36:37]
	v_fma_f64 v[42:43], v[48:49], v[42:43], v[34:35]
	v_lshlrev_b64 v[34:35], 4, v[19:20]
	v_add_nc_u32_e32 v20, -7, v19
	v_add_nc_u32_e32 v19, 0x380, v19
	s_delay_alu instid0(VALU_DEP_2)
	v_lshlrev_b64 v[87:88], 4, v[20:21]
	v_add_nc_u32_e32 v20, 6, v86
	v_add_co_u32 v34, vcc_lo, s8, v34
	v_add_co_ci_u32_e32 v35, vcc_lo, s9, v35, vcc_lo
	global_load_b128 v[34:37], v[34:35], off
	v_fma_f64 v[22:23], -v[28:29], v[44:45], v[22:23]
	v_fma_f64 v[89:90], v[26:27], v[44:45], v[38:39]
	v_fma_f64 v[48:49], -v[48:49], v[44:45], v[40:41]
	v_fma_f64 v[42:43], v[46:47], v[44:45], v[42:43]
	v_lshlrev_b64 v[26:27], 4, v[20:21]
	v_add_co_u32 v28, vcc_lo, s8, v87
	v_add_co_ci_u32_e32 v29, vcc_lo, s9, v88, vcc_lo
	s_delay_alu instid0(VALU_DEP_3) | instskip(NEXT) | instid1(VALU_DEP_4)
	v_add_co_u32 v38, vcc_lo, s10, v26
	v_add_co_ci_u32_e32 v39, vcc_lo, s11, v27, vcc_lo
	global_load_b128 v[26:29], v[28:29], off
	global_load_b128 v[38:41], v[38:39], off
	v_cmp_ge_i32_e32 vcc_lo, v9, v24
	s_or_b32 s0, vcc_lo, s0
	s_waitcnt vmcnt(13)
	v_fma_f64 v[22:23], v[50:51], v[54:55], v[22:23]
	v_fma_f64 v[44:45], v[52:53], v[54:55], v[89:90]
	s_waitcnt vmcnt(12)
	v_fma_f64 v[46:47], v[58:59], v[54:55], v[48:49]
	v_fma_f64 v[42:43], v[60:61], v[54:55], v[42:43]
	s_delay_alu instid0(VALU_DEP_4) | instskip(NEXT) | instid1(VALU_DEP_4)
	v_fma_f64 v[22:23], -v[52:53], v[56:57], v[22:23]
	v_fma_f64 v[44:45], v[50:51], v[56:57], v[44:45]
	s_delay_alu instid0(VALU_DEP_4) | instskip(NEXT) | instid1(VALU_DEP_4)
	v_fma_f64 v[46:47], -v[60:61], v[56:57], v[46:47]
	v_fma_f64 v[42:43], v[58:59], v[56:57], v[42:43]
	s_waitcnt vmcnt(10)
	s_delay_alu instid0(VALU_DEP_4) | instskip(NEXT) | instid1(VALU_DEP_4)
	v_fma_f64 v[22:23], v[62:63], v[66:67], v[22:23]
	v_fma_f64 v[44:45], v[64:65], v[66:67], v[44:45]
	s_waitcnt vmcnt(9)
	s_delay_alu instid0(VALU_DEP_4) | instskip(NEXT) | instid1(VALU_DEP_4)
	v_fma_f64 v[46:47], v[70:71], v[66:67], v[46:47]
	v_fma_f64 v[42:43], v[72:73], v[66:67], v[42:43]
	s_delay_alu instid0(VALU_DEP_4) | instskip(NEXT) | instid1(VALU_DEP_4)
	v_fma_f64 v[22:23], -v[64:65], v[68:69], v[22:23]
	v_fma_f64 v[44:45], v[62:63], v[68:69], v[44:45]
	s_delay_alu instid0(VALU_DEP_4) | instskip(NEXT) | instid1(VALU_DEP_4)
	v_fma_f64 v[46:47], -v[72:73], v[68:69], v[46:47]
	v_fma_f64 v[42:43], v[70:71], v[68:69], v[42:43]
	s_waitcnt vmcnt(7)
	s_delay_alu instid0(VALU_DEP_4) | instskip(NEXT) | instid1(VALU_DEP_4)
	v_fma_f64 v[22:23], v[74:75], v[78:79], v[22:23]
	v_fma_f64 v[44:45], v[76:77], v[78:79], v[44:45]
	s_waitcnt vmcnt(6)
	s_delay_alu instid0(VALU_DEP_4) | instskip(NEXT) | instid1(VALU_DEP_4)
	;; [unrolled: 14-line block ×3, first 2 shown]
	v_fma_f64 v[46:47], v[30:31], v[14:15], v[46:47]
	v_fma_f64 v[14:15], v[32:33], v[14:15], v[42:43]
	s_delay_alu instid0(VALU_DEP_4) | instskip(NEXT) | instid1(VALU_DEP_4)
	v_fma_f64 v[12:13], -v[12:13], v[16:17], v[22:23]
	v_fma_f64 v[10:11], v[10:11], v[16:17], v[44:45]
	s_delay_alu instid0(VALU_DEP_4) | instskip(NEXT) | instid1(VALU_DEP_4)
	v_fma_f64 v[22:23], -v[32:33], v[16:17], v[46:47]
	v_fma_f64 v[14:15], v[30:31], v[16:17], v[14:15]
	s_waitcnt vmcnt(0)
	s_delay_alu instid0(VALU_DEP_4) | instskip(NEXT) | instid1(VALU_DEP_4)
	v_fma_f64 v[12:13], v[26:27], v[38:39], v[12:13]
	v_fma_f64 v[10:11], v[28:29], v[38:39], v[10:11]
	s_delay_alu instid0(VALU_DEP_4) | instskip(NEXT) | instid1(VALU_DEP_4)
	v_fma_f64 v[16:17], v[34:35], v[38:39], v[22:23]
	v_fma_f64 v[22:23], v[36:37], v[38:39], v[14:15]
	s_delay_alu instid0(VALU_DEP_4) | instskip(NEXT) | instid1(VALU_DEP_4)
	v_fma_f64 v[13:14], -v[28:29], v[40:41], v[12:13]
	v_fma_f64 v[11:12], v[26:27], v[40:41], v[10:11]
	s_delay_alu instid0(VALU_DEP_4) | instskip(NEXT) | instid1(VALU_DEP_4)
	v_fma_f64 v[15:16], -v[36:37], v[40:41], v[16:17]
	v_fma_f64 v[17:18], v[34:35], v[40:41], v[22:23]
	s_and_not1_b32 exec_lo, exec_lo, s0
	s_cbranch_execnz .LBB257_17
; %bb.18:
	s_or_b32 exec_lo, exec_lo, s0
.LBB257_19:
	s_delay_alu instid0(SALU_CYCLE_1)
	s_or_b32 exec_lo, exec_lo, s1
.LBB257_20:
	v_mbcnt_lo_u32_b32 v26, -1, 0
	s_delay_alu instid0(VALU_DEP_1) | instskip(NEXT) | instid1(VALU_DEP_1)
	v_or_b32_e32 v9, 32, v26
	v_cmp_gt_i32_e32 vcc_lo, 32, v9
	v_cndmask_b32_e32 v9, v26, v9, vcc_lo
	s_delay_alu instid0(VALU_DEP_1)
	v_lshlrev_b32_e32 v24, 2, v9
	ds_bpermute_b32 v9, v24, v13
	ds_bpermute_b32 v10, v24, v14
	ds_bpermute_b32 v19, v24, v11
	ds_bpermute_b32 v20, v24, v12
	ds_bpermute_b32 v21, v24, v15
	ds_bpermute_b32 v22, v24, v16
	ds_bpermute_b32 v23, v24, v17
	ds_bpermute_b32 v24, v24, v18
	s_waitcnt lgkmcnt(6)
	v_add_f64 v[9:10], v[13:14], v[9:10]
	s_waitcnt lgkmcnt(4)
	v_add_f64 v[11:12], v[11:12], v[19:20]
	;; [unrolled: 2-line block ×4, first 2 shown]
	v_xor_b32_e32 v17, 16, v26
	s_delay_alu instid0(VALU_DEP_1) | instskip(SKIP_1) | instid1(VALU_DEP_1)
	v_cmp_gt_i32_e32 vcc_lo, 32, v17
	v_cndmask_b32_e32 v17, v26, v17, vcc_lo
	v_lshlrev_b32_e32 v24, 2, v17
	ds_bpermute_b32 v17, v24, v9
	ds_bpermute_b32 v18, v24, v10
	;; [unrolled: 1-line block ×8, first 2 shown]
	s_waitcnt lgkmcnt(6)
	v_add_f64 v[9:10], v[9:10], v[17:18]
	v_xor_b32_e32 v17, 8, v26
	s_waitcnt lgkmcnt(4)
	v_add_f64 v[11:12], v[11:12], v[19:20]
	s_waitcnt lgkmcnt(2)
	v_add_f64 v[13:14], v[13:14], v[21:22]
	;; [unrolled: 2-line block ×3, first 2 shown]
	v_cmp_gt_i32_e32 vcc_lo, 32, v17
	v_cndmask_b32_e32 v17, v26, v17, vcc_lo
	s_delay_alu instid0(VALU_DEP_1)
	v_lshlrev_b32_e32 v24, 2, v17
	ds_bpermute_b32 v17, v24, v9
	ds_bpermute_b32 v18, v24, v10
	;; [unrolled: 1-line block ×8, first 2 shown]
	s_waitcnt lgkmcnt(6)
	v_add_f64 v[9:10], v[9:10], v[17:18]
	v_xor_b32_e32 v17, 4, v26
	s_waitcnt lgkmcnt(4)
	v_add_f64 v[11:12], v[11:12], v[19:20]
	s_waitcnt lgkmcnt(2)
	v_add_f64 v[13:14], v[13:14], v[21:22]
	;; [unrolled: 2-line block ×3, first 2 shown]
	v_cmp_gt_i32_e32 vcc_lo, 32, v17
	v_cndmask_b32_e32 v17, v26, v17, vcc_lo
	s_delay_alu instid0(VALU_DEP_1)
	v_lshlrev_b32_e32 v24, 2, v17
	ds_bpermute_b32 v17, v24, v9
	ds_bpermute_b32 v18, v24, v10
	;; [unrolled: 1-line block ×8, first 2 shown]
	s_waitcnt lgkmcnt(6)
	v_add_f64 v[9:10], v[9:10], v[17:18]
	s_waitcnt lgkmcnt(4)
	v_add_f64 v[11:12], v[11:12], v[19:20]
	;; [unrolled: 2-line block ×4, first 2 shown]
	v_xor_b32_e32 v15, 2, v26
	s_delay_alu instid0(VALU_DEP_1) | instskip(SKIP_1) | instid1(VALU_DEP_1)
	v_cmp_gt_i32_e32 vcc_lo, 32, v15
	v_cndmask_b32_e32 v15, v26, v15, vcc_lo
	v_lshlrev_b32_e32 v24, 2, v15
	ds_bpermute_b32 v15, v24, v9
	ds_bpermute_b32 v16, v24, v10
	ds_bpermute_b32 v19, v24, v11
	ds_bpermute_b32 v20, v24, v12
	ds_bpermute_b32 v21, v24, v13
	ds_bpermute_b32 v22, v24, v14
	ds_bpermute_b32 v23, v24, v17
	ds_bpermute_b32 v24, v24, v18
	s_waitcnt lgkmcnt(6)
	v_add_f64 v[9:10], v[9:10], v[15:16]
	s_waitcnt lgkmcnt(4)
	v_add_f64 v[15:16], v[11:12], v[19:20]
	;; [unrolled: 2-line block ×4, first 2 shown]
	v_xor_b32_e32 v17, 1, v26
	s_delay_alu instid0(VALU_DEP_1) | instskip(SKIP_2) | instid1(VALU_DEP_2)
	v_cmp_gt_i32_e32 vcc_lo, 32, v17
	v_cndmask_b32_e32 v17, v26, v17, vcc_lo
	v_cmp_eq_u32_e32 vcc_lo, 63, v25
	v_lshlrev_b32_e32 v20, 2, v17
	ds_bpermute_b32 v23, v20, v9
	ds_bpermute_b32 v24, v20, v10
	;; [unrolled: 1-line block ×8, first 2 shown]
	s_and_b32 exec_lo, exec_lo, vcc_lo
	s_cbranch_execz .LBB257_25
; %bb.21:
	v_cmp_eq_f64_e32 vcc_lo, 0, v[4:5]
	v_cmp_eq_f64_e64 s0, 0, v[6:7]
	s_waitcnt lgkmcnt(6)
	v_add_f64 v[9:10], v[9:10], v[23:24]
	s_waitcnt lgkmcnt(4)
	v_add_f64 v[15:16], v[15:16], v[21:22]
	;; [unrolled: 2-line block ×4, first 2 shown]
	s_load_b64 s[2:3], s[2:3], 0x48
	s_and_b32 s0, vcc_lo, s0
	s_delay_alu instid0(SALU_CYCLE_1) | instskip(NEXT) | instid1(SALU_CYCLE_1)
	s_and_saveexec_b32 s1, s0
	s_xor_b32 s0, exec_lo, s1
	s_cbranch_execz .LBB257_23
; %bb.22:
	s_delay_alu instid0(VALU_DEP_3) | instskip(SKIP_1) | instid1(VALU_DEP_3)
	v_mul_f64 v[4:5], v[15:16], -v[2:3]
	v_mul_f64 v[6:7], v[0:1], v[15:16]
	v_mul_f64 v[15:16], v[13:14], -v[2:3]
	v_mul_f64 v[13:14], v[0:1], v[13:14]
	v_lshlrev_b32_e32 v8, 1, v8
	v_fma_f64 v[4:5], v[0:1], v[9:10], v[4:5]
	v_fma_f64 v[6:7], v[2:3], v[9:10], v[6:7]
	;; [unrolled: 1-line block ×4, first 2 shown]
	v_ashrrev_i32_e32 v9, 31, v8
                                        ; implicit-def: $vgpr15_vgpr16
                                        ; implicit-def: $vgpr11_vgpr12
                                        ; implicit-def: $vgpr13_vgpr14
	s_delay_alu instid0(VALU_DEP_1) | instskip(SKIP_1) | instid1(VALU_DEP_1)
	v_lshlrev_b64 v[8:9], 4, v[8:9]
	s_waitcnt lgkmcnt(0)
	v_add_co_u32 v8, vcc_lo, s2, v8
	s_delay_alu instid0(VALU_DEP_2)
	v_add_co_ci_u32_e32 v9, vcc_lo, s3, v9, vcc_lo
	s_clause 0x1
	global_store_b128 v[8:9], v[4:7], off
	global_store_b128 v[8:9], v[0:3], off offset:16
                                        ; implicit-def: $vgpr0_vgpr1
                                        ; implicit-def: $vgpr2_vgpr3
                                        ; implicit-def: $vgpr4_vgpr5
                                        ; implicit-def: $vgpr6_vgpr7
                                        ; implicit-def: $vgpr8
                                        ; implicit-def: $vgpr9_vgpr10
.LBB257_23:
	s_and_not1_saveexec_b32 s0, s0
	s_cbranch_execz .LBB257_25
; %bb.24:
	v_lshlrev_b32_e32 v17, 1, v8
	s_delay_alu instid0(VALU_DEP_4) | instskip(SKIP_1) | instid1(VALU_DEP_4)
	v_mul_f64 v[27:28], v[15:16], -v[2:3]
	v_mul_f64 v[15:16], v[0:1], v[15:16]
	v_mul_f64 v[29:30], v[13:14], -v[2:3]
	v_mul_f64 v[13:14], v[0:1], v[13:14]
	v_ashrrev_i32_e32 v18, 31, v17
	s_delay_alu instid0(VALU_DEP_1) | instskip(SKIP_1) | instid1(VALU_DEP_1)
	v_lshlrev_b64 v[17:18], 4, v[17:18]
	s_waitcnt lgkmcnt(0)
	v_add_co_u32 v25, vcc_lo, s2, v17
	s_delay_alu instid0(VALU_DEP_2)
	v_add_co_ci_u32_e32 v26, vcc_lo, s3, v18, vcc_lo
	s_clause 0x1
	global_load_b128 v[17:20], v[25:26], off
	global_load_b128 v[21:24], v[25:26], off offset:16
	v_fma_f64 v[27:28], v[0:1], v[9:10], v[27:28]
	v_fma_f64 v[8:9], v[2:3], v[9:10], v[15:16]
	;; [unrolled: 1-line block ×4, first 2 shown]
	s_waitcnt vmcnt(1)
	s_delay_alu instid0(VALU_DEP_4) | instskip(NEXT) | instid1(VALU_DEP_4)
	v_fma_f64 v[10:11], v[4:5], v[17:18], v[27:28]
	v_fma_f64 v[8:9], v[6:7], v[17:18], v[8:9]
	s_waitcnt vmcnt(0)
	s_delay_alu instid0(VALU_DEP_4) | instskip(NEXT) | instid1(VALU_DEP_4)
	v_fma_f64 v[12:13], v[4:5], v[21:22], v[0:1]
	v_fma_f64 v[14:15], v[6:7], v[21:22], v[2:3]
	s_delay_alu instid0(VALU_DEP_4) | instskip(NEXT) | instid1(VALU_DEP_4)
	v_fma_f64 v[0:1], -v[6:7], v[19:20], v[10:11]
	v_fma_f64 v[2:3], v[4:5], v[19:20], v[8:9]
	s_delay_alu instid0(VALU_DEP_4) | instskip(NEXT) | instid1(VALU_DEP_4)
	v_fma_f64 v[6:7], -v[6:7], v[23:24], v[12:13]
	v_fma_f64 v[8:9], v[4:5], v[23:24], v[14:15]
	s_clause 0x1
	global_store_b128 v[25:26], v[0:3], off
	global_store_b128 v[25:26], v[6:9], off offset:16
.LBB257_25:
	s_nop 0
	s_sendmsg sendmsg(MSG_DEALLOC_VGPRS)
	s_endpgm
	.section	.rodata,"a",@progbits
	.p2align	6, 0x0
	.amdhsa_kernel _ZN9rocsparseL19gebsrmvn_2xn_kernelILj128ELj7ELj64E21rocsparse_complex_numIdEEEvi20rocsparse_direction_NS_24const_host_device_scalarIT2_EEPKiS8_PKS5_SA_S6_PS5_21rocsparse_index_base_b
		.amdhsa_group_segment_fixed_size 2048
		.amdhsa_private_segment_fixed_size 0
		.amdhsa_kernarg_size 88
		.amdhsa_user_sgpr_count 15
		.amdhsa_user_sgpr_dispatch_ptr 1
		.amdhsa_user_sgpr_queue_ptr 0
		.amdhsa_user_sgpr_kernarg_segment_ptr 1
		.amdhsa_user_sgpr_dispatch_id 0
		.amdhsa_user_sgpr_private_segment_size 0
		.amdhsa_wavefront_size32 1
		.amdhsa_uses_dynamic_stack 0
		.amdhsa_enable_private_segment 0
		.amdhsa_system_sgpr_workgroup_id_x 1
		.amdhsa_system_sgpr_workgroup_id_y 0
		.amdhsa_system_sgpr_workgroup_id_z 0
		.amdhsa_system_sgpr_workgroup_info 0
		.amdhsa_system_vgpr_workitem_id 2
		.amdhsa_next_free_vgpr 91
		.amdhsa_next_free_sgpr 18
		.amdhsa_reserve_vcc 1
		.amdhsa_float_round_mode_32 0
		.amdhsa_float_round_mode_16_64 0
		.amdhsa_float_denorm_mode_32 3
		.amdhsa_float_denorm_mode_16_64 3
		.amdhsa_dx10_clamp 1
		.amdhsa_ieee_mode 1
		.amdhsa_fp16_overflow 0
		.amdhsa_workgroup_processor_mode 1
		.amdhsa_memory_ordered 1
		.amdhsa_forward_progress 0
		.amdhsa_shared_vgpr_count 0
		.amdhsa_exception_fp_ieee_invalid_op 0
		.amdhsa_exception_fp_denorm_src 0
		.amdhsa_exception_fp_ieee_div_zero 0
		.amdhsa_exception_fp_ieee_overflow 0
		.amdhsa_exception_fp_ieee_underflow 0
		.amdhsa_exception_fp_ieee_inexact 0
		.amdhsa_exception_int_div_zero 0
	.end_amdhsa_kernel
	.section	.text._ZN9rocsparseL19gebsrmvn_2xn_kernelILj128ELj7ELj64E21rocsparse_complex_numIdEEEvi20rocsparse_direction_NS_24const_host_device_scalarIT2_EEPKiS8_PKS5_SA_S6_PS5_21rocsparse_index_base_b,"axG",@progbits,_ZN9rocsparseL19gebsrmvn_2xn_kernelILj128ELj7ELj64E21rocsparse_complex_numIdEEEvi20rocsparse_direction_NS_24const_host_device_scalarIT2_EEPKiS8_PKS5_SA_S6_PS5_21rocsparse_index_base_b,comdat
.Lfunc_end257:
	.size	_ZN9rocsparseL19gebsrmvn_2xn_kernelILj128ELj7ELj64E21rocsparse_complex_numIdEEEvi20rocsparse_direction_NS_24const_host_device_scalarIT2_EEPKiS8_PKS5_SA_S6_PS5_21rocsparse_index_base_b, .Lfunc_end257-_ZN9rocsparseL19gebsrmvn_2xn_kernelILj128ELj7ELj64E21rocsparse_complex_numIdEEEvi20rocsparse_direction_NS_24const_host_device_scalarIT2_EEPKiS8_PKS5_SA_S6_PS5_21rocsparse_index_base_b
                                        ; -- End function
	.section	.AMDGPU.csdata,"",@progbits
; Kernel info:
; codeLenInByte = 4520
; NumSgprs: 20
; NumVgprs: 91
; ScratchSize: 0
; MemoryBound: 0
; FloatMode: 240
; IeeeMode: 1
; LDSByteSize: 2048 bytes/workgroup (compile time only)
; SGPRBlocks: 2
; VGPRBlocks: 11
; NumSGPRsForWavesPerEU: 20
; NumVGPRsForWavesPerEU: 91
; Occupancy: 16
; WaveLimiterHint : 1
; COMPUTE_PGM_RSRC2:SCRATCH_EN: 0
; COMPUTE_PGM_RSRC2:USER_SGPR: 15
; COMPUTE_PGM_RSRC2:TRAP_HANDLER: 0
; COMPUTE_PGM_RSRC2:TGID_X_EN: 1
; COMPUTE_PGM_RSRC2:TGID_Y_EN: 0
; COMPUTE_PGM_RSRC2:TGID_Z_EN: 0
; COMPUTE_PGM_RSRC2:TIDIG_COMP_CNT: 2
	.section	.text._ZN9rocsparseL19gebsrmvn_2xn_kernelILj128ELj8ELj4E21rocsparse_complex_numIdEEEvi20rocsparse_direction_NS_24const_host_device_scalarIT2_EEPKiS8_PKS5_SA_S6_PS5_21rocsparse_index_base_b,"axG",@progbits,_ZN9rocsparseL19gebsrmvn_2xn_kernelILj128ELj8ELj4E21rocsparse_complex_numIdEEEvi20rocsparse_direction_NS_24const_host_device_scalarIT2_EEPKiS8_PKS5_SA_S6_PS5_21rocsparse_index_base_b,comdat
	.globl	_ZN9rocsparseL19gebsrmvn_2xn_kernelILj128ELj8ELj4E21rocsparse_complex_numIdEEEvi20rocsparse_direction_NS_24const_host_device_scalarIT2_EEPKiS8_PKS5_SA_S6_PS5_21rocsparse_index_base_b ; -- Begin function _ZN9rocsparseL19gebsrmvn_2xn_kernelILj128ELj8ELj4E21rocsparse_complex_numIdEEEvi20rocsparse_direction_NS_24const_host_device_scalarIT2_EEPKiS8_PKS5_SA_S6_PS5_21rocsparse_index_base_b
	.p2align	8
	.type	_ZN9rocsparseL19gebsrmvn_2xn_kernelILj128ELj8ELj4E21rocsparse_complex_numIdEEEvi20rocsparse_direction_NS_24const_host_device_scalarIT2_EEPKiS8_PKS5_SA_S6_PS5_21rocsparse_index_base_b,@function
_ZN9rocsparseL19gebsrmvn_2xn_kernelILj128ELj8ELj4E21rocsparse_complex_numIdEEEvi20rocsparse_direction_NS_24const_host_device_scalarIT2_EEPKiS8_PKS5_SA_S6_PS5_21rocsparse_index_base_b: ; @_ZN9rocsparseL19gebsrmvn_2xn_kernelILj128ELj8ELj4E21rocsparse_complex_numIdEEEvi20rocsparse_direction_NS_24const_host_device_scalarIT2_EEPKiS8_PKS5_SA_S6_PS5_21rocsparse_index_base_b
; %bb.0:
	s_load_b64 s[12:13], s[2:3], 0x50
	s_load_b64 s[16:17], s[0:1], 0x4
	s_load_b128 s[8:11], s[2:3], 0x8
	v_bfe_u32 v1, v0, 10, 10
	s_mov_b64 s[0:1], src_shared_base
	s_load_b128 s[4:7], s[2:3], 0x38
	v_and_b32_e32 v10, 0x3ff, v0
	v_bfe_u32 v0, v0, 20, 10
	s_waitcnt lgkmcnt(0)
	s_bitcmp1_b32 s13, 0
	v_mul_u32_u24_e32 v1, s17, v1
	s_cselect_b32 s0, -1, 0
	s_delay_alu instid0(SALU_CYCLE_1)
	s_and_b32 vcc_lo, s0, exec_lo
	s_cselect_b32 s13, s1, s9
	s_lshr_b32 s14, s16, 16
	v_dual_mov_b32 v2, s4 :: v_dual_mov_b32 v3, s5
	s_mul_i32 s14, s14, s17
	v_mov_b32_e32 v6, s13
	v_mad_u32_u24 v1, s14, v10, v1
	s_delay_alu instid0(VALU_DEP_1) | instskip(SKIP_1) | instid1(VALU_DEP_2)
	v_add_lshl_u32 v4, v1, v0, 3
	v_dual_mov_b32 v0, s8 :: v_dual_mov_b32 v1, s9
	v_add_nc_u32_e32 v5, 0x400, v4
	ds_store_2addr_stride64_b64 v4, v[2:3], v[0:1] offset1:2
	v_dual_mov_b32 v2, s10 :: v_dual_mov_b32 v3, s11
	v_cndmask_b32_e64 v5, s8, v5, s0
	s_xor_b32 s10, s0, -1
	flat_load_b64 v[0:1], v[5:6]
	s_cbranch_vccnz .LBB258_2
; %bb.1:
	v_dual_mov_b32 v2, s8 :: v_dual_mov_b32 v3, s9
	flat_load_b64 v[2:3], v[2:3] offset:8
.LBB258_2:
	s_and_b32 s8, s0, exec_lo
	s_cselect_b32 s1, s1, s5
	v_cndmask_b32_e64 v4, s4, v4, s0
	v_dual_mov_b32 v5, s1 :: v_dual_mov_b32 v6, s6
	v_mov_b32_e32 v7, s7
	s_and_not1_b32 vcc_lo, exec_lo, s10
	flat_load_b64 v[4:5], v[4:5]
	s_cbranch_vccnz .LBB258_4
; %bb.3:
	v_dual_mov_b32 v7, s5 :: v_dual_mov_b32 v6, s4
	flat_load_b64 v[6:7], v[6:7] offset:8
.LBB258_4:
	s_waitcnt vmcnt(1) lgkmcnt(1)
	v_cmp_eq_f64_e32 vcc_lo, 0, v[0:1]
	v_cmp_eq_f64_e64 s0, 0, v[2:3]
	s_delay_alu instid0(VALU_DEP_1)
	s_and_b32 s4, vcc_lo, s0
	s_mov_b32 s0, -1
	s_and_saveexec_b32 s1, s4
	s_cbranch_execz .LBB258_6
; %bb.5:
	s_waitcnt vmcnt(0) lgkmcnt(0)
	v_cmp_neq_f64_e32 vcc_lo, 1.0, v[4:5]
	v_cmp_neq_f64_e64 s0, 0, v[6:7]
	s_delay_alu instid0(VALU_DEP_1) | instskip(NEXT) | instid1(SALU_CYCLE_1)
	s_or_b32 s0, vcc_lo, s0
	s_or_not1_b32 s0, s0, exec_lo
.LBB258_6:
	s_or_b32 exec_lo, exec_lo, s1
	s_and_saveexec_b32 s1, s0
	s_cbranch_execz .LBB258_25
; %bb.7:
	s_load_b64 s[0:1], s[2:3], 0x0
	v_lshrrev_b32_e32 v8, 2, v10
	s_delay_alu instid0(VALU_DEP_1) | instskip(SKIP_1) | instid1(VALU_DEP_1)
	v_lshl_or_b32 v8, s15, 5, v8
	s_waitcnt lgkmcnt(0)
	v_cmp_gt_i32_e32 vcc_lo, s0, v8
	s_and_b32 exec_lo, exec_lo, vcc_lo
	s_cbranch_execz .LBB258_25
; %bb.8:
	s_load_b256 s[4:11], s[2:3], 0x18
	v_ashrrev_i32_e32 v9, 31, v8
	v_and_b32_e32 v25, 3, v10
	s_cmp_lg_u32 s1, 0
	s_delay_alu instid0(VALU_DEP_2) | instskip(SKIP_1) | instid1(VALU_DEP_1)
	v_lshlrev_b64 v[11:12], 2, v[8:9]
	s_waitcnt lgkmcnt(0)
	v_add_co_u32 v11, vcc_lo, s4, v11
	s_delay_alu instid0(VALU_DEP_2) | instskip(SKIP_4) | instid1(VALU_DEP_2)
	v_add_co_ci_u32_e32 v12, vcc_lo, s5, v12, vcc_lo
	global_load_b64 v[11:12], v[11:12], off
	s_waitcnt vmcnt(0)
	v_subrev_nc_u32_e32 v9, s12, v11
	v_subrev_nc_u32_e32 v23, s12, v12
	v_add_nc_u32_e32 v9, v9, v25
	s_delay_alu instid0(VALU_DEP_1)
	v_cmp_lt_i32_e64 s0, v9, v23
	s_cbranch_scc0 .LBB258_14
; %bb.9:
	v_mov_b32_e32 v11, 0
	v_mov_b32_e32 v12, 0
	s_delay_alu instid0(VALU_DEP_1)
	v_dual_mov_b32 v14, v12 :: v_dual_mov_b32 v13, v11
	v_dual_mov_b32 v16, v12 :: v_dual_mov_b32 v15, v11
	;; [unrolled: 1-line block ×3, first 2 shown]
	s_and_saveexec_b32 s1, s0
	s_cbranch_execz .LBB258_13
; %bb.10:
	v_dual_mov_b32 v11, 0 :: v_dual_mov_b32 v20, 0
	v_dual_mov_b32 v12, 0 :: v_dual_lshlrev_b32 v19, 4, v9
	v_mov_b32_e32 v21, v9
	s_mov_b32 s4, 0
	s_delay_alu instid0(VALU_DEP_2)
	v_dual_mov_b32 v14, v12 :: v_dual_mov_b32 v13, v11
	v_dual_mov_b32 v16, v12 :: v_dual_mov_b32 v15, v11
	;; [unrolled: 1-line block ×3, first 2 shown]
.LBB258_11:                             ; =>This Inner Loop Header: Depth=1
	v_ashrrev_i32_e32 v22, 31, v21
	s_delay_alu instid0(VALU_DEP_1) | instskip(SKIP_1) | instid1(VALU_DEP_2)
	v_lshlrev_b64 v[26:27], 2, v[21:22]
	v_add_nc_u32_e32 v21, 4, v21
	v_add_co_u32 v26, vcc_lo, s6, v26
	s_delay_alu instid0(VALU_DEP_3) | instskip(SKIP_3) | instid1(VALU_DEP_2)
	v_add_co_ci_u32_e32 v27, vcc_lo, s7, v27, vcc_lo
	global_load_b32 v10, v[26:27], off
	v_lshlrev_b64 v[26:27], 4, v[19:20]
	v_add_nc_u32_e32 v19, 64, v19
	v_add_co_u32 v90, vcc_lo, s8, v26
	s_delay_alu instid0(VALU_DEP_3) | instskip(SKIP_3) | instid1(VALU_DEP_1)
	v_add_co_ci_u32_e32 v91, vcc_lo, s9, v27, vcc_lo
	global_load_b128 v[26:29], v[90:91], off offset:16
	s_waitcnt vmcnt(1)
	v_subrev_nc_u32_e32 v10, s12, v10
	v_dual_mov_b32 v31, v20 :: v_dual_lshlrev_b32 v30, 3, v10
	s_delay_alu instid0(VALU_DEP_1) | instskip(NEXT) | instid1(VALU_DEP_1)
	v_lshlrev_b64 v[30:31], 4, v[30:31]
	v_add_co_u32 v92, vcc_lo, s10, v30
	s_delay_alu instid0(VALU_DEP_2)
	v_add_co_ci_u32_e32 v93, vcc_lo, s11, v31, vcc_lo
	v_cmp_ge_i32_e32 vcc_lo, v21, v23
	global_load_b128 v[30:33], v[90:91], off
	s_clause 0x1
	global_load_b128 v[34:37], v[92:93], off
	global_load_b128 v[38:41], v[92:93], off offset:16
	s_clause 0x3
	global_load_b128 v[42:45], v[90:91], off offset:32
	global_load_b128 v[46:49], v[90:91], off offset:48
	;; [unrolled: 1-line block ×4, first 2 shown]
	s_clause 0x1
	global_load_b128 v[58:61], v[92:93], off offset:32
	global_load_b128 v[62:65], v[92:93], off offset:48
	s_clause 0x3
	global_load_b128 v[66:69], v[90:91], off offset:96
	global_load_b128 v[70:73], v[90:91], off offset:112
	;; [unrolled: 1-line block ×4, first 2 shown]
	s_clause 0x1
	global_load_b128 v[82:85], v[92:93], off offset:64
	global_load_b128 v[86:89], v[92:93], off offset:80
	s_or_b32 s4, vcc_lo, s4
	s_waitcnt vmcnt(13)
	v_fma_f64 v[13:14], v[30:31], v[34:35], v[13:14]
	v_fma_f64 v[10:11], v[32:33], v[34:35], v[11:12]
	;; [unrolled: 1-line block ×4, first 2 shown]
	s_delay_alu instid0(VALU_DEP_4) | instskip(NEXT) | instid1(VALU_DEP_4)
	v_fma_f64 v[32:33], -v[32:33], v[36:37], v[13:14]
	v_fma_f64 v[30:31], v[30:31], v[36:37], v[10:11]
	s_delay_alu instid0(VALU_DEP_4) | instskip(NEXT) | instid1(VALU_DEP_4)
	v_fma_f64 v[28:29], -v[28:29], v[36:37], v[15:16]
	v_fma_f64 v[26:27], v[26:27], v[36:37], v[17:18]
	s_clause 0x1
	global_load_b128 v[10:13], v[90:91], off offset:160
	global_load_b128 v[14:17], v[90:91], off offset:176
	s_waitcnt vmcnt(13)
	v_fma_f64 v[32:33], v[42:43], v[38:39], v[32:33]
	v_fma_f64 v[30:31], v[44:45], v[38:39], v[30:31]
	s_waitcnt vmcnt(12)
	v_fma_f64 v[28:29], v[46:47], v[38:39], v[28:29]
	v_fma_f64 v[26:27], v[48:49], v[38:39], v[26:27]
	s_delay_alu instid0(VALU_DEP_4) | instskip(NEXT) | instid1(VALU_DEP_4)
	v_fma_f64 v[44:45], -v[44:45], v[40:41], v[32:33]
	v_fma_f64 v[42:43], v[42:43], v[40:41], v[30:31]
	s_delay_alu instid0(VALU_DEP_4) | instskip(NEXT) | instid1(VALU_DEP_4)
	v_fma_f64 v[48:49], -v[48:49], v[40:41], v[28:29]
	v_fma_f64 v[46:47], v[46:47], v[40:41], v[26:27]
	s_clause 0x1
	global_load_b128 v[26:29], v[90:91], off offset:208
	global_load_b128 v[30:33], v[90:91], off offset:192
	s_clause 0x1
	global_load_b128 v[34:37], v[92:93], off offset:96
	global_load_b128 v[38:41], v[92:93], off offset:112
	s_waitcnt vmcnt(13)
	v_fma_f64 v[44:45], v[54:55], v[58:59], v[44:45]
	v_fma_f64 v[42:43], v[56:57], v[58:59], v[42:43]
	;; [unrolled: 1-line block ×4, first 2 shown]
	s_delay_alu instid0(VALU_DEP_4) | instskip(NEXT) | instid1(VALU_DEP_4)
	v_fma_f64 v[56:57], -v[56:57], v[60:61], v[44:45]
	v_fma_f64 v[54:55], v[54:55], v[60:61], v[42:43]
	s_delay_alu instid0(VALU_DEP_4) | instskip(NEXT) | instid1(VALU_DEP_4)
	v_fma_f64 v[52:53], -v[52:53], v[60:61], v[48:49]
	v_fma_f64 v[50:51], v[50:51], v[60:61], v[46:47]
	s_clause 0x1
	global_load_b128 v[42:45], v[90:91], off offset:224
	global_load_b128 v[46:49], v[90:91], off offset:240
	s_waitcnt vmcnt(13)
	v_fma_f64 v[56:57], v[66:67], v[62:63], v[56:57]
	v_fma_f64 v[54:55], v[68:69], v[62:63], v[54:55]
	s_waitcnt vmcnt(12)
	v_fma_f64 v[52:53], v[70:71], v[62:63], v[52:53]
	v_fma_f64 v[50:51], v[72:73], v[62:63], v[50:51]
	s_delay_alu instid0(VALU_DEP_4) | instskip(NEXT) | instid1(VALU_DEP_4)
	v_fma_f64 v[56:57], -v[68:69], v[64:65], v[56:57]
	v_fma_f64 v[54:55], v[66:67], v[64:65], v[54:55]
	s_delay_alu instid0(VALU_DEP_4) | instskip(NEXT) | instid1(VALU_DEP_4)
	v_fma_f64 v[52:53], -v[72:73], v[64:65], v[52:53]
	v_fma_f64 v[50:51], v[70:71], v[64:65], v[50:51]
	s_waitcnt vmcnt(9)
	s_delay_alu instid0(VALU_DEP_4) | instskip(NEXT) | instid1(VALU_DEP_4)
	v_fma_f64 v[56:57], v[78:79], v[82:83], v[56:57]
	v_fma_f64 v[54:55], v[80:81], v[82:83], v[54:55]
	s_delay_alu instid0(VALU_DEP_4) | instskip(NEXT) | instid1(VALU_DEP_4)
	v_fma_f64 v[52:53], v[74:75], v[82:83], v[52:53]
	v_fma_f64 v[50:51], v[76:77], v[82:83], v[50:51]
	s_delay_alu instid0(VALU_DEP_4) | instskip(NEXT) | instid1(VALU_DEP_4)
	v_fma_f64 v[56:57], -v[80:81], v[84:85], v[56:57]
	v_fma_f64 v[54:55], v[78:79], v[84:85], v[54:55]
	s_delay_alu instid0(VALU_DEP_4) | instskip(NEXT) | instid1(VALU_DEP_4)
	v_fma_f64 v[52:53], -v[76:77], v[84:85], v[52:53]
	v_fma_f64 v[50:51], v[74:75], v[84:85], v[50:51]
	s_waitcnt vmcnt(7)
	s_delay_alu instid0(VALU_DEP_4) | instskip(NEXT) | instid1(VALU_DEP_4)
	v_fma_f64 v[56:57], v[10:11], v[86:87], v[56:57]
	v_fma_f64 v[54:55], v[12:13], v[86:87], v[54:55]
	s_waitcnt vmcnt(6)
	s_delay_alu instid0(VALU_DEP_4) | instskip(NEXT) | instid1(VALU_DEP_4)
	v_fma_f64 v[52:53], v[14:15], v[86:87], v[52:53]
	v_fma_f64 v[50:51], v[16:17], v[86:87], v[50:51]
	s_delay_alu instid0(VALU_DEP_4) | instskip(NEXT) | instid1(VALU_DEP_4)
	v_fma_f64 v[12:13], -v[12:13], v[88:89], v[56:57]
	v_fma_f64 v[10:11], v[10:11], v[88:89], v[54:55]
	s_delay_alu instid0(VALU_DEP_4) | instskip(NEXT) | instid1(VALU_DEP_4)
	v_fma_f64 v[16:17], -v[16:17], v[88:89], v[52:53]
	v_fma_f64 v[14:15], v[14:15], v[88:89], v[50:51]
	s_waitcnt vmcnt(3)
	s_delay_alu instid0(VALU_DEP_4) | instskip(NEXT) | instid1(VALU_DEP_4)
	v_fma_f64 v[12:13], v[30:31], v[34:35], v[12:13]
	v_fma_f64 v[10:11], v[32:33], v[34:35], v[10:11]
	s_delay_alu instid0(VALU_DEP_4) | instskip(NEXT) | instid1(VALU_DEP_4)
	v_fma_f64 v[16:17], v[26:27], v[34:35], v[16:17]
	v_fma_f64 v[14:15], v[28:29], v[34:35], v[14:15]
	s_delay_alu instid0(VALU_DEP_4) | instskip(NEXT) | instid1(VALU_DEP_4)
	v_fma_f64 v[12:13], -v[32:33], v[36:37], v[12:13]
	v_fma_f64 v[10:11], v[30:31], v[36:37], v[10:11]
	s_delay_alu instid0(VALU_DEP_4) | instskip(NEXT) | instid1(VALU_DEP_4)
	v_fma_f64 v[16:17], -v[28:29], v[36:37], v[16:17]
	v_fma_f64 v[14:15], v[26:27], v[36:37], v[14:15]
	s_waitcnt vmcnt(1)
	s_delay_alu instid0(VALU_DEP_4) | instskip(NEXT) | instid1(VALU_DEP_4)
	v_fma_f64 v[12:13], v[42:43], v[38:39], v[12:13]
	v_fma_f64 v[10:11], v[44:45], v[38:39], v[10:11]
	s_waitcnt vmcnt(0)
	s_delay_alu instid0(VALU_DEP_4) | instskip(NEXT) | instid1(VALU_DEP_4)
	v_fma_f64 v[16:17], v[46:47], v[38:39], v[16:17]
	v_fma_f64 v[26:27], v[48:49], v[38:39], v[14:15]
	s_delay_alu instid0(VALU_DEP_4) | instskip(NEXT) | instid1(VALU_DEP_4)
	v_fma_f64 v[13:14], -v[44:45], v[40:41], v[12:13]
	v_fma_f64 v[11:12], v[42:43], v[40:41], v[10:11]
	s_delay_alu instid0(VALU_DEP_4) | instskip(NEXT) | instid1(VALU_DEP_4)
	v_fma_f64 v[15:16], -v[48:49], v[40:41], v[16:17]
	v_fma_f64 v[17:18], v[46:47], v[40:41], v[26:27]
	s_and_not1_b32 exec_lo, exec_lo, s4
	s_cbranch_execnz .LBB258_11
; %bb.12:
	s_or_b32 exec_lo, exec_lo, s4
.LBB258_13:
	s_delay_alu instid0(SALU_CYCLE_1)
	s_or_b32 exec_lo, exec_lo, s1
	s_cbranch_execz .LBB258_15
	s_branch .LBB258_20
.LBB258_14:
                                        ; implicit-def: $vgpr11_vgpr12
                                        ; implicit-def: $vgpr13_vgpr14
                                        ; implicit-def: $vgpr15_vgpr16
                                        ; implicit-def: $vgpr17_vgpr18
.LBB258_15:
	v_mov_b32_e32 v11, 0
	v_mov_b32_e32 v12, 0
	s_delay_alu instid0(VALU_DEP_1)
	v_dual_mov_b32 v14, v12 :: v_dual_mov_b32 v13, v11
	v_dual_mov_b32 v16, v12 :: v_dual_mov_b32 v15, v11
	;; [unrolled: 1-line block ×3, first 2 shown]
	s_and_saveexec_b32 s1, s0
	s_cbranch_execz .LBB258_19
; %bb.16:
	v_dual_mov_b32 v11, 0 :: v_dual_mov_b32 v20, 0
	v_dual_mov_b32 v12, 0 :: v_dual_lshlrev_b32 v19, 4, v9
	s_mov_b32 s0, 0
	s_delay_alu instid0(VALU_DEP_1)
	v_dual_mov_b32 v14, v12 :: v_dual_mov_b32 v13, v11
	v_dual_mov_b32 v16, v12 :: v_dual_mov_b32 v15, v11
	;; [unrolled: 1-line block ×3, first 2 shown]
.LBB258_17:                             ; =>This Inner Loop Header: Depth=1
	v_ashrrev_i32_e32 v10, 31, v9
	s_delay_alu instid0(VALU_DEP_1) | instskip(SKIP_1) | instid1(VALU_DEP_2)
	v_lshlrev_b64 v[21:22], 2, v[9:10]
	v_add_nc_u32_e32 v9, 4, v9
	v_add_co_u32 v21, vcc_lo, s6, v21
	s_delay_alu instid0(VALU_DEP_3) | instskip(SKIP_3) | instid1(VALU_DEP_2)
	v_add_co_ci_u32_e32 v22, vcc_lo, s7, v22, vcc_lo
	global_load_b32 v10, v[21:22], off
	v_lshlrev_b64 v[21:22], 4, v[19:20]
	v_add_nc_u32_e32 v19, 64, v19
	v_add_co_u32 v21, vcc_lo, s8, v21
	s_delay_alu instid0(VALU_DEP_3) | instskip(SKIP_3) | instid1(VALU_DEP_1)
	v_add_co_ci_u32_e32 v22, vcc_lo, s9, v22, vcc_lo
	global_load_b128 v[26:29], v[21:22], off offset:128
	s_waitcnt vmcnt(1)
	v_subrev_nc_u32_e32 v10, s12, v10
	v_dual_mov_b32 v31, v20 :: v_dual_lshlrev_b32 v30, 3, v10
	s_delay_alu instid0(VALU_DEP_1) | instskip(NEXT) | instid1(VALU_DEP_1)
	v_lshlrev_b64 v[30:31], 4, v[30:31]
	v_add_co_u32 v86, vcc_lo, s10, v30
	s_delay_alu instid0(VALU_DEP_2)
	v_add_co_ci_u32_e32 v87, vcc_lo, s11, v31, vcc_lo
	v_cmp_ge_i32_e32 vcc_lo, v9, v23
	global_load_b128 v[30:33], v[21:22], off
	global_load_b128 v[34:37], v[86:87], off
	s_clause 0x1
	global_load_b128 v[38:41], v[21:22], off offset:16
	global_load_b128 v[42:45], v[21:22], off offset:144
	global_load_b128 v[46:49], v[86:87], off offset:16
	s_clause 0x1
	global_load_b128 v[50:53], v[21:22], off offset:160
	global_load_b128 v[54:57], v[21:22], off offset:32
	global_load_b128 v[58:61], v[86:87], off offset:32
	;; [unrolled: 4-line block ×4, first 2 shown]
	s_or_b32 s0, vcc_lo, s0
	s_waitcnt vmcnt(12)
	v_fma_f64 v[13:14], v[30:31], v[34:35], v[13:14]
	v_fma_f64 v[10:11], v[32:33], v[34:35], v[11:12]
	v_fma_f64 v[15:16], v[26:27], v[34:35], v[15:16]
	v_fma_f64 v[17:18], v[28:29], v[34:35], v[17:18]
	s_delay_alu instid0(VALU_DEP_4) | instskip(NEXT) | instid1(VALU_DEP_4)
	v_fma_f64 v[32:33], -v[32:33], v[36:37], v[13:14]
	v_fma_f64 v[30:31], v[30:31], v[36:37], v[10:11]
	s_delay_alu instid0(VALU_DEP_4) | instskip(NEXT) | instid1(VALU_DEP_4)
	v_fma_f64 v[34:35], -v[28:29], v[36:37], v[15:16]
	v_fma_f64 v[36:37], v[26:27], v[36:37], v[17:18]
	s_clause 0x1
	global_load_b128 v[10:13], v[21:22], off offset:80
	global_load_b128 v[14:17], v[21:22], off offset:208
	global_load_b128 v[26:29], v[86:87], off offset:80
	s_waitcnt vmcnt(12)
	v_fma_f64 v[32:33], v[38:39], v[46:47], v[32:33]
	v_fma_f64 v[30:31], v[40:41], v[46:47], v[30:31]
	v_fma_f64 v[34:35], v[42:43], v[46:47], v[34:35]
	v_fma_f64 v[36:37], v[44:45], v[46:47], v[36:37]
	s_delay_alu instid0(VALU_DEP_4) | instskip(NEXT) | instid1(VALU_DEP_4)
	v_fma_f64 v[46:47], -v[40:41], v[48:49], v[32:33]
	v_fma_f64 v[88:89], v[38:39], v[48:49], v[30:31]
	s_delay_alu instid0(VALU_DEP_4) | instskip(NEXT) | instid1(VALU_DEP_4)
	v_fma_f64 v[44:45], -v[44:45], v[48:49], v[34:35]
	v_fma_f64 v[42:43], v[42:43], v[48:49], v[36:37]
	s_clause 0x1
	global_load_b128 v[30:33], v[21:22], off offset:224
	global_load_b128 v[34:37], v[21:22], off offset:96
	global_load_b128 v[38:41], v[86:87], off offset:96
	;; [unrolled: 15-line block ×3, first 2 shown]
	s_waitcnt vmcnt(12)
	v_fma_f64 v[21:22], v[62:63], v[70:71], v[56:57]
	v_fma_f64 v[54:55], v[64:65], v[70:71], v[54:55]
	;; [unrolled: 1-line block ×4, first 2 shown]
	s_delay_alu instid0(VALU_DEP_4) | instskip(NEXT) | instid1(VALU_DEP_4)
	v_fma_f64 v[21:22], -v[64:65], v[72:73], v[21:22]
	v_fma_f64 v[54:55], v[62:63], v[72:73], v[54:55]
	s_delay_alu instid0(VALU_DEP_4) | instskip(NEXT) | instid1(VALU_DEP_4)
	v_fma_f64 v[56:57], -v[68:69], v[72:73], v[56:57]
	v_fma_f64 v[58:59], v[66:67], v[72:73], v[58:59]
	s_waitcnt vmcnt(9)
	s_delay_alu instid0(VALU_DEP_4) | instskip(NEXT) | instid1(VALU_DEP_4)
	v_fma_f64 v[21:22], v[78:79], v[82:83], v[21:22]
	v_fma_f64 v[54:55], v[80:81], v[82:83], v[54:55]
	s_delay_alu instid0(VALU_DEP_4) | instskip(NEXT) | instid1(VALU_DEP_4)
	v_fma_f64 v[56:57], v[74:75], v[82:83], v[56:57]
	v_fma_f64 v[58:59], v[76:77], v[82:83], v[58:59]
	s_delay_alu instid0(VALU_DEP_4) | instskip(NEXT) | instid1(VALU_DEP_4)
	v_fma_f64 v[21:22], -v[80:81], v[84:85], v[21:22]
	v_fma_f64 v[54:55], v[78:79], v[84:85], v[54:55]
	s_delay_alu instid0(VALU_DEP_4) | instskip(NEXT) | instid1(VALU_DEP_4)
	v_fma_f64 v[56:57], -v[76:77], v[84:85], v[56:57]
	v_fma_f64 v[58:59], v[74:75], v[84:85], v[58:59]
	s_waitcnt vmcnt(6)
	s_delay_alu instid0(VALU_DEP_4) | instskip(NEXT) | instid1(VALU_DEP_4)
	v_fma_f64 v[21:22], v[10:11], v[26:27], v[21:22]
	v_fma_f64 v[54:55], v[12:13], v[26:27], v[54:55]
	s_delay_alu instid0(VALU_DEP_4) | instskip(NEXT) | instid1(VALU_DEP_4)
	v_fma_f64 v[56:57], v[14:15], v[26:27], v[56:57]
	v_fma_f64 v[26:27], v[16:17], v[26:27], v[58:59]
	;; [unrolled: 13-line block ×4, first 2 shown]
	s_delay_alu instid0(VALU_DEP_4) | instskip(NEXT) | instid1(VALU_DEP_4)
	v_fma_f64 v[13:14], -v[44:45], v[52:53], v[12:13]
	v_fma_f64 v[11:12], v[42:43], v[52:53], v[10:11]
	s_delay_alu instid0(VALU_DEP_4) | instskip(NEXT) | instid1(VALU_DEP_4)
	v_fma_f64 v[15:16], -v[48:49], v[52:53], v[16:17]
	v_fma_f64 v[17:18], v[46:47], v[52:53], v[21:22]
	s_and_not1_b32 exec_lo, exec_lo, s0
	s_cbranch_execnz .LBB258_17
; %bb.18:
	s_or_b32 exec_lo, exec_lo, s0
.LBB258_19:
	s_delay_alu instid0(SALU_CYCLE_1)
	s_or_b32 exec_lo, exec_lo, s1
.LBB258_20:
	v_mbcnt_lo_u32_b32 v26, -1, 0
	s_delay_alu instid0(VALU_DEP_1) | instskip(NEXT) | instid1(VALU_DEP_1)
	v_xor_b32_e32 v9, 2, v26
	v_cmp_gt_i32_e32 vcc_lo, 32, v9
	v_cndmask_b32_e32 v9, v26, v9, vcc_lo
	s_delay_alu instid0(VALU_DEP_1)
	v_lshlrev_b32_e32 v24, 2, v9
	ds_bpermute_b32 v19, v24, v11
	ds_bpermute_b32 v20, v24, v12
	;; [unrolled: 1-line block ×4, first 2 shown]
	s_waitcnt lgkmcnt(2)
	v_add_f64 v[19:20], v[11:12], v[19:20]
	s_waitcnt lgkmcnt(0)
	v_add_f64 v[11:12], v[15:16], v[21:22]
	v_xor_b32_e32 v15, 1, v26
	s_delay_alu instid0(VALU_DEP_1)
	v_cmp_gt_i32_e32 vcc_lo, 32, v15
	v_cndmask_b32_e32 v15, v26, v15, vcc_lo
	ds_bpermute_b32 v9, v24, v13
	ds_bpermute_b32 v10, v24, v14
	;; [unrolled: 1-line block ×4, first 2 shown]
	v_lshlrev_b32_e32 v22, 2, v15
	v_cmp_eq_u32_e32 vcc_lo, 3, v25
	s_waitcnt lgkmcnt(2)
	v_add_f64 v[9:10], v[13:14], v[9:10]
	s_waitcnt lgkmcnt(0)
	v_add_f64 v[13:14], v[17:18], v[23:24]
	ds_bpermute_b32 v15, v22, v19
	ds_bpermute_b32 v16, v22, v20
	;; [unrolled: 1-line block ×8, first 2 shown]
	s_and_b32 exec_lo, exec_lo, vcc_lo
	s_cbranch_execz .LBB258_25
; %bb.21:
	v_cmp_eq_f64_e32 vcc_lo, 0, v[4:5]
	v_cmp_eq_f64_e64 s0, 0, v[6:7]
	s_waitcnt lgkmcnt(2)
	v_add_f64 v[9:10], v[9:10], v[23:24]
	v_add_f64 v[15:16], v[19:20], v[15:16]
	v_add_f64 v[11:12], v[11:12], v[17:18]
	s_waitcnt lgkmcnt(0)
	v_add_f64 v[13:14], v[13:14], v[21:22]
	s_load_b64 s[2:3], s[2:3], 0x48
	s_and_b32 s0, vcc_lo, s0
	s_delay_alu instid0(SALU_CYCLE_1) | instskip(NEXT) | instid1(SALU_CYCLE_1)
	s_and_saveexec_b32 s1, s0
	s_xor_b32 s0, exec_lo, s1
	s_cbranch_execz .LBB258_23
; %bb.22:
	s_delay_alu instid0(VALU_DEP_3) | instskip(SKIP_1) | instid1(VALU_DEP_3)
	v_mul_f64 v[4:5], v[15:16], -v[2:3]
	v_mul_f64 v[6:7], v[0:1], v[15:16]
	v_mul_f64 v[15:16], v[13:14], -v[2:3]
	v_mul_f64 v[13:14], v[0:1], v[13:14]
	v_lshlrev_b32_e32 v8, 1, v8
	v_fma_f64 v[4:5], v[0:1], v[9:10], v[4:5]
	v_fma_f64 v[6:7], v[2:3], v[9:10], v[6:7]
	;; [unrolled: 1-line block ×4, first 2 shown]
	v_ashrrev_i32_e32 v9, 31, v8
                                        ; implicit-def: $vgpr15_vgpr16
                                        ; implicit-def: $vgpr11_vgpr12
                                        ; implicit-def: $vgpr13_vgpr14
	s_delay_alu instid0(VALU_DEP_1) | instskip(SKIP_1) | instid1(VALU_DEP_1)
	v_lshlrev_b64 v[8:9], 4, v[8:9]
	s_waitcnt lgkmcnt(0)
	v_add_co_u32 v8, vcc_lo, s2, v8
	s_delay_alu instid0(VALU_DEP_2)
	v_add_co_ci_u32_e32 v9, vcc_lo, s3, v9, vcc_lo
	s_clause 0x1
	global_store_b128 v[8:9], v[4:7], off
	global_store_b128 v[8:9], v[0:3], off offset:16
                                        ; implicit-def: $vgpr0_vgpr1
                                        ; implicit-def: $vgpr2_vgpr3
                                        ; implicit-def: $vgpr4_vgpr5
                                        ; implicit-def: $vgpr6_vgpr7
                                        ; implicit-def: $vgpr8
                                        ; implicit-def: $vgpr9_vgpr10
.LBB258_23:
	s_and_not1_saveexec_b32 s0, s0
	s_cbranch_execz .LBB258_25
; %bb.24:
	v_lshlrev_b32_e32 v17, 1, v8
	s_delay_alu instid0(VALU_DEP_4) | instskip(SKIP_1) | instid1(VALU_DEP_4)
	v_mul_f64 v[27:28], v[15:16], -v[2:3]
	v_mul_f64 v[15:16], v[0:1], v[15:16]
	v_mul_f64 v[29:30], v[13:14], -v[2:3]
	v_mul_f64 v[13:14], v[0:1], v[13:14]
	v_ashrrev_i32_e32 v18, 31, v17
	s_delay_alu instid0(VALU_DEP_1) | instskip(SKIP_1) | instid1(VALU_DEP_1)
	v_lshlrev_b64 v[17:18], 4, v[17:18]
	s_waitcnt lgkmcnt(0)
	v_add_co_u32 v25, vcc_lo, s2, v17
	s_delay_alu instid0(VALU_DEP_2)
	v_add_co_ci_u32_e32 v26, vcc_lo, s3, v18, vcc_lo
	s_clause 0x1
	global_load_b128 v[17:20], v[25:26], off
	global_load_b128 v[21:24], v[25:26], off offset:16
	v_fma_f64 v[27:28], v[0:1], v[9:10], v[27:28]
	v_fma_f64 v[8:9], v[2:3], v[9:10], v[15:16]
	v_fma_f64 v[0:1], v[0:1], v[11:12], v[29:30]
	v_fma_f64 v[2:3], v[2:3], v[11:12], v[13:14]
	s_waitcnt vmcnt(1)
	s_delay_alu instid0(VALU_DEP_4) | instskip(NEXT) | instid1(VALU_DEP_4)
	v_fma_f64 v[10:11], v[4:5], v[17:18], v[27:28]
	v_fma_f64 v[8:9], v[6:7], v[17:18], v[8:9]
	s_waitcnt vmcnt(0)
	s_delay_alu instid0(VALU_DEP_4) | instskip(NEXT) | instid1(VALU_DEP_4)
	v_fma_f64 v[12:13], v[4:5], v[21:22], v[0:1]
	v_fma_f64 v[14:15], v[6:7], v[21:22], v[2:3]
	s_delay_alu instid0(VALU_DEP_4) | instskip(NEXT) | instid1(VALU_DEP_4)
	v_fma_f64 v[0:1], -v[6:7], v[19:20], v[10:11]
	v_fma_f64 v[2:3], v[4:5], v[19:20], v[8:9]
	s_delay_alu instid0(VALU_DEP_4) | instskip(NEXT) | instid1(VALU_DEP_4)
	v_fma_f64 v[6:7], -v[6:7], v[23:24], v[12:13]
	v_fma_f64 v[8:9], v[4:5], v[23:24], v[14:15]
	s_clause 0x1
	global_store_b128 v[25:26], v[0:3], off
	global_store_b128 v[25:26], v[6:9], off offset:16
.LBB258_25:
	s_nop 0
	s_sendmsg sendmsg(MSG_DEALLOC_VGPRS)
	s_endpgm
	.section	.rodata,"a",@progbits
	.p2align	6, 0x0
	.amdhsa_kernel _ZN9rocsparseL19gebsrmvn_2xn_kernelILj128ELj8ELj4E21rocsparse_complex_numIdEEEvi20rocsparse_direction_NS_24const_host_device_scalarIT2_EEPKiS8_PKS5_SA_S6_PS5_21rocsparse_index_base_b
		.amdhsa_group_segment_fixed_size 2048
		.amdhsa_private_segment_fixed_size 0
		.amdhsa_kernarg_size 88
		.amdhsa_user_sgpr_count 15
		.amdhsa_user_sgpr_dispatch_ptr 1
		.amdhsa_user_sgpr_queue_ptr 0
		.amdhsa_user_sgpr_kernarg_segment_ptr 1
		.amdhsa_user_sgpr_dispatch_id 0
		.amdhsa_user_sgpr_private_segment_size 0
		.amdhsa_wavefront_size32 1
		.amdhsa_uses_dynamic_stack 0
		.amdhsa_enable_private_segment 0
		.amdhsa_system_sgpr_workgroup_id_x 1
		.amdhsa_system_sgpr_workgroup_id_y 0
		.amdhsa_system_sgpr_workgroup_id_z 0
		.amdhsa_system_sgpr_workgroup_info 0
		.amdhsa_system_vgpr_workitem_id 2
		.amdhsa_next_free_vgpr 94
		.amdhsa_next_free_sgpr 18
		.amdhsa_reserve_vcc 1
		.amdhsa_float_round_mode_32 0
		.amdhsa_float_round_mode_16_64 0
		.amdhsa_float_denorm_mode_32 3
		.amdhsa_float_denorm_mode_16_64 3
		.amdhsa_dx10_clamp 1
		.amdhsa_ieee_mode 1
		.amdhsa_fp16_overflow 0
		.amdhsa_workgroup_processor_mode 1
		.amdhsa_memory_ordered 1
		.amdhsa_forward_progress 0
		.amdhsa_shared_vgpr_count 0
		.amdhsa_exception_fp_ieee_invalid_op 0
		.amdhsa_exception_fp_denorm_src 0
		.amdhsa_exception_fp_ieee_div_zero 0
		.amdhsa_exception_fp_ieee_overflow 0
		.amdhsa_exception_fp_ieee_underflow 0
		.amdhsa_exception_fp_ieee_inexact 0
		.amdhsa_exception_int_div_zero 0
	.end_amdhsa_kernel
	.section	.text._ZN9rocsparseL19gebsrmvn_2xn_kernelILj128ELj8ELj4E21rocsparse_complex_numIdEEEvi20rocsparse_direction_NS_24const_host_device_scalarIT2_EEPKiS8_PKS5_SA_S6_PS5_21rocsparse_index_base_b,"axG",@progbits,_ZN9rocsparseL19gebsrmvn_2xn_kernelILj128ELj8ELj4E21rocsparse_complex_numIdEEEvi20rocsparse_direction_NS_24const_host_device_scalarIT2_EEPKiS8_PKS5_SA_S6_PS5_21rocsparse_index_base_b,comdat
.Lfunc_end258:
	.size	_ZN9rocsparseL19gebsrmvn_2xn_kernelILj128ELj8ELj4E21rocsparse_complex_numIdEEEvi20rocsparse_direction_NS_24const_host_device_scalarIT2_EEPKiS8_PKS5_SA_S6_PS5_21rocsparse_index_base_b, .Lfunc_end258-_ZN9rocsparseL19gebsrmvn_2xn_kernelILj128ELj8ELj4E21rocsparse_complex_numIdEEEvi20rocsparse_direction_NS_24const_host_device_scalarIT2_EEPKiS8_PKS5_SA_S6_PS5_21rocsparse_index_base_b
                                        ; -- End function
	.section	.AMDGPU.csdata,"",@progbits
; Kernel info:
; codeLenInByte = 3400
; NumSgprs: 20
; NumVgprs: 94
; ScratchSize: 0
; MemoryBound: 1
; FloatMode: 240
; IeeeMode: 1
; LDSByteSize: 2048 bytes/workgroup (compile time only)
; SGPRBlocks: 2
; VGPRBlocks: 11
; NumSGPRsForWavesPerEU: 20
; NumVGPRsForWavesPerEU: 94
; Occupancy: 16
; WaveLimiterHint : 1
; COMPUTE_PGM_RSRC2:SCRATCH_EN: 0
; COMPUTE_PGM_RSRC2:USER_SGPR: 15
; COMPUTE_PGM_RSRC2:TRAP_HANDLER: 0
; COMPUTE_PGM_RSRC2:TGID_X_EN: 1
; COMPUTE_PGM_RSRC2:TGID_Y_EN: 0
; COMPUTE_PGM_RSRC2:TGID_Z_EN: 0
; COMPUTE_PGM_RSRC2:TIDIG_COMP_CNT: 2
	.section	.text._ZN9rocsparseL19gebsrmvn_2xn_kernelILj128ELj8ELj8E21rocsparse_complex_numIdEEEvi20rocsparse_direction_NS_24const_host_device_scalarIT2_EEPKiS8_PKS5_SA_S6_PS5_21rocsparse_index_base_b,"axG",@progbits,_ZN9rocsparseL19gebsrmvn_2xn_kernelILj128ELj8ELj8E21rocsparse_complex_numIdEEEvi20rocsparse_direction_NS_24const_host_device_scalarIT2_EEPKiS8_PKS5_SA_S6_PS5_21rocsparse_index_base_b,comdat
	.globl	_ZN9rocsparseL19gebsrmvn_2xn_kernelILj128ELj8ELj8E21rocsparse_complex_numIdEEEvi20rocsparse_direction_NS_24const_host_device_scalarIT2_EEPKiS8_PKS5_SA_S6_PS5_21rocsparse_index_base_b ; -- Begin function _ZN9rocsparseL19gebsrmvn_2xn_kernelILj128ELj8ELj8E21rocsparse_complex_numIdEEEvi20rocsparse_direction_NS_24const_host_device_scalarIT2_EEPKiS8_PKS5_SA_S6_PS5_21rocsparse_index_base_b
	.p2align	8
	.type	_ZN9rocsparseL19gebsrmvn_2xn_kernelILj128ELj8ELj8E21rocsparse_complex_numIdEEEvi20rocsparse_direction_NS_24const_host_device_scalarIT2_EEPKiS8_PKS5_SA_S6_PS5_21rocsparse_index_base_b,@function
_ZN9rocsparseL19gebsrmvn_2xn_kernelILj128ELj8ELj8E21rocsparse_complex_numIdEEEvi20rocsparse_direction_NS_24const_host_device_scalarIT2_EEPKiS8_PKS5_SA_S6_PS5_21rocsparse_index_base_b: ; @_ZN9rocsparseL19gebsrmvn_2xn_kernelILj128ELj8ELj8E21rocsparse_complex_numIdEEEvi20rocsparse_direction_NS_24const_host_device_scalarIT2_EEPKiS8_PKS5_SA_S6_PS5_21rocsparse_index_base_b
; %bb.0:
	s_load_b64 s[12:13], s[2:3], 0x50
	s_load_b64 s[16:17], s[0:1], 0x4
	s_load_b128 s[8:11], s[2:3], 0x8
	v_bfe_u32 v1, v0, 10, 10
	s_mov_b64 s[0:1], src_shared_base
	s_load_b128 s[4:7], s[2:3], 0x38
	v_and_b32_e32 v10, 0x3ff, v0
	v_bfe_u32 v0, v0, 20, 10
	s_waitcnt lgkmcnt(0)
	s_bitcmp1_b32 s13, 0
	v_mul_u32_u24_e32 v1, s17, v1
	s_cselect_b32 s0, -1, 0
	s_delay_alu instid0(SALU_CYCLE_1)
	s_and_b32 vcc_lo, s0, exec_lo
	s_cselect_b32 s13, s1, s9
	s_lshr_b32 s14, s16, 16
	v_dual_mov_b32 v2, s4 :: v_dual_mov_b32 v3, s5
	s_mul_i32 s14, s14, s17
	v_mov_b32_e32 v6, s13
	v_mad_u32_u24 v1, s14, v10, v1
	s_delay_alu instid0(VALU_DEP_1) | instskip(SKIP_1) | instid1(VALU_DEP_2)
	v_add_lshl_u32 v4, v1, v0, 3
	v_dual_mov_b32 v0, s8 :: v_dual_mov_b32 v1, s9
	v_add_nc_u32_e32 v5, 0x400, v4
	ds_store_2addr_stride64_b64 v4, v[2:3], v[0:1] offset1:2
	v_dual_mov_b32 v2, s10 :: v_dual_mov_b32 v3, s11
	v_cndmask_b32_e64 v5, s8, v5, s0
	s_xor_b32 s10, s0, -1
	flat_load_b64 v[0:1], v[5:6]
	s_cbranch_vccnz .LBB259_2
; %bb.1:
	v_dual_mov_b32 v2, s8 :: v_dual_mov_b32 v3, s9
	flat_load_b64 v[2:3], v[2:3] offset:8
.LBB259_2:
	s_and_b32 s8, s0, exec_lo
	s_cselect_b32 s1, s1, s5
	v_cndmask_b32_e64 v4, s4, v4, s0
	v_dual_mov_b32 v5, s1 :: v_dual_mov_b32 v6, s6
	v_mov_b32_e32 v7, s7
	s_and_not1_b32 vcc_lo, exec_lo, s10
	flat_load_b64 v[4:5], v[4:5]
	s_cbranch_vccnz .LBB259_4
; %bb.3:
	v_dual_mov_b32 v7, s5 :: v_dual_mov_b32 v6, s4
	flat_load_b64 v[6:7], v[6:7] offset:8
.LBB259_4:
	s_waitcnt vmcnt(1) lgkmcnt(1)
	v_cmp_eq_f64_e32 vcc_lo, 0, v[0:1]
	v_cmp_eq_f64_e64 s0, 0, v[2:3]
	s_delay_alu instid0(VALU_DEP_1)
	s_and_b32 s4, vcc_lo, s0
	s_mov_b32 s0, -1
	s_and_saveexec_b32 s1, s4
	s_cbranch_execz .LBB259_6
; %bb.5:
	s_waitcnt vmcnt(0) lgkmcnt(0)
	v_cmp_neq_f64_e32 vcc_lo, 1.0, v[4:5]
	v_cmp_neq_f64_e64 s0, 0, v[6:7]
	s_delay_alu instid0(VALU_DEP_1) | instskip(NEXT) | instid1(SALU_CYCLE_1)
	s_or_b32 s0, vcc_lo, s0
	s_or_not1_b32 s0, s0, exec_lo
.LBB259_6:
	s_or_b32 exec_lo, exec_lo, s1
	s_and_saveexec_b32 s1, s0
	s_cbranch_execz .LBB259_25
; %bb.7:
	s_load_b64 s[0:1], s[2:3], 0x0
	v_lshrrev_b32_e32 v8, 3, v10
	s_delay_alu instid0(VALU_DEP_1) | instskip(SKIP_1) | instid1(VALU_DEP_1)
	v_lshl_or_b32 v8, s15, 4, v8
	s_waitcnt lgkmcnt(0)
	v_cmp_gt_i32_e32 vcc_lo, s0, v8
	s_and_b32 exec_lo, exec_lo, vcc_lo
	s_cbranch_execz .LBB259_25
; %bb.8:
	s_load_b256 s[4:11], s[2:3], 0x18
	v_ashrrev_i32_e32 v9, 31, v8
	v_and_b32_e32 v25, 7, v10
	s_cmp_lg_u32 s1, 0
	s_delay_alu instid0(VALU_DEP_2) | instskip(SKIP_1) | instid1(VALU_DEP_1)
	v_lshlrev_b64 v[11:12], 2, v[8:9]
	s_waitcnt lgkmcnt(0)
	v_add_co_u32 v11, vcc_lo, s4, v11
	s_delay_alu instid0(VALU_DEP_2) | instskip(SKIP_4) | instid1(VALU_DEP_2)
	v_add_co_ci_u32_e32 v12, vcc_lo, s5, v12, vcc_lo
	global_load_b64 v[11:12], v[11:12], off
	s_waitcnt vmcnt(0)
	v_subrev_nc_u32_e32 v9, s12, v11
	v_subrev_nc_u32_e32 v23, s12, v12
	v_add_nc_u32_e32 v9, v9, v25
	s_delay_alu instid0(VALU_DEP_1)
	v_cmp_lt_i32_e64 s0, v9, v23
	s_cbranch_scc0 .LBB259_14
; %bb.9:
	v_mov_b32_e32 v11, 0
	v_mov_b32_e32 v12, 0
	s_delay_alu instid0(VALU_DEP_1)
	v_dual_mov_b32 v14, v12 :: v_dual_mov_b32 v13, v11
	v_dual_mov_b32 v16, v12 :: v_dual_mov_b32 v15, v11
	v_dual_mov_b32 v18, v12 :: v_dual_mov_b32 v17, v11
	s_and_saveexec_b32 s1, s0
	s_cbranch_execz .LBB259_13
; %bb.10:
	v_dual_mov_b32 v11, 0 :: v_dual_mov_b32 v20, 0
	v_dual_mov_b32 v12, 0 :: v_dual_lshlrev_b32 v19, 4, v9
	v_mov_b32_e32 v21, v9
	s_mov_b32 s4, 0
	s_delay_alu instid0(VALU_DEP_2)
	v_dual_mov_b32 v14, v12 :: v_dual_mov_b32 v13, v11
	v_dual_mov_b32 v16, v12 :: v_dual_mov_b32 v15, v11
	;; [unrolled: 1-line block ×3, first 2 shown]
.LBB259_11:                             ; =>This Inner Loop Header: Depth=1
	v_ashrrev_i32_e32 v22, 31, v21
	s_delay_alu instid0(VALU_DEP_1) | instskip(SKIP_1) | instid1(VALU_DEP_2)
	v_lshlrev_b64 v[26:27], 2, v[21:22]
	v_add_nc_u32_e32 v21, 8, v21
	v_add_co_u32 v26, vcc_lo, s6, v26
	s_delay_alu instid0(VALU_DEP_3) | instskip(SKIP_3) | instid1(VALU_DEP_2)
	v_add_co_ci_u32_e32 v27, vcc_lo, s7, v27, vcc_lo
	global_load_b32 v10, v[26:27], off
	v_lshlrev_b64 v[26:27], 4, v[19:20]
	v_add_nc_u32_e32 v19, 0x80, v19
	v_add_co_u32 v90, vcc_lo, s8, v26
	s_delay_alu instid0(VALU_DEP_3) | instskip(SKIP_3) | instid1(VALU_DEP_1)
	v_add_co_ci_u32_e32 v91, vcc_lo, s9, v27, vcc_lo
	global_load_b128 v[26:29], v[90:91], off offset:16
	s_waitcnt vmcnt(1)
	v_subrev_nc_u32_e32 v10, s12, v10
	v_dual_mov_b32 v31, v20 :: v_dual_lshlrev_b32 v30, 3, v10
	s_delay_alu instid0(VALU_DEP_1) | instskip(NEXT) | instid1(VALU_DEP_1)
	v_lshlrev_b64 v[30:31], 4, v[30:31]
	v_add_co_u32 v92, vcc_lo, s10, v30
	s_delay_alu instid0(VALU_DEP_2)
	v_add_co_ci_u32_e32 v93, vcc_lo, s11, v31, vcc_lo
	v_cmp_ge_i32_e32 vcc_lo, v21, v23
	global_load_b128 v[30:33], v[90:91], off
	s_clause 0x1
	global_load_b128 v[34:37], v[92:93], off
	global_load_b128 v[38:41], v[92:93], off offset:16
	s_clause 0x3
	global_load_b128 v[42:45], v[90:91], off offset:32
	global_load_b128 v[46:49], v[90:91], off offset:48
	;; [unrolled: 1-line block ×4, first 2 shown]
	s_clause 0x1
	global_load_b128 v[58:61], v[92:93], off offset:32
	global_load_b128 v[62:65], v[92:93], off offset:48
	s_clause 0x3
	global_load_b128 v[66:69], v[90:91], off offset:96
	global_load_b128 v[70:73], v[90:91], off offset:112
	;; [unrolled: 1-line block ×4, first 2 shown]
	s_clause 0x1
	global_load_b128 v[82:85], v[92:93], off offset:64
	global_load_b128 v[86:89], v[92:93], off offset:80
	s_or_b32 s4, vcc_lo, s4
	s_waitcnt vmcnt(13)
	v_fma_f64 v[13:14], v[30:31], v[34:35], v[13:14]
	v_fma_f64 v[10:11], v[32:33], v[34:35], v[11:12]
	;; [unrolled: 1-line block ×4, first 2 shown]
	s_delay_alu instid0(VALU_DEP_4) | instskip(NEXT) | instid1(VALU_DEP_4)
	v_fma_f64 v[32:33], -v[32:33], v[36:37], v[13:14]
	v_fma_f64 v[30:31], v[30:31], v[36:37], v[10:11]
	s_delay_alu instid0(VALU_DEP_4) | instskip(NEXT) | instid1(VALU_DEP_4)
	v_fma_f64 v[28:29], -v[28:29], v[36:37], v[15:16]
	v_fma_f64 v[26:27], v[26:27], v[36:37], v[17:18]
	s_clause 0x1
	global_load_b128 v[10:13], v[90:91], off offset:160
	global_load_b128 v[14:17], v[90:91], off offset:176
	s_waitcnt vmcnt(13)
	v_fma_f64 v[32:33], v[42:43], v[38:39], v[32:33]
	v_fma_f64 v[30:31], v[44:45], v[38:39], v[30:31]
	s_waitcnt vmcnt(12)
	v_fma_f64 v[28:29], v[46:47], v[38:39], v[28:29]
	v_fma_f64 v[26:27], v[48:49], v[38:39], v[26:27]
	s_delay_alu instid0(VALU_DEP_4) | instskip(NEXT) | instid1(VALU_DEP_4)
	v_fma_f64 v[44:45], -v[44:45], v[40:41], v[32:33]
	v_fma_f64 v[42:43], v[42:43], v[40:41], v[30:31]
	s_delay_alu instid0(VALU_DEP_4) | instskip(NEXT) | instid1(VALU_DEP_4)
	v_fma_f64 v[48:49], -v[48:49], v[40:41], v[28:29]
	v_fma_f64 v[46:47], v[46:47], v[40:41], v[26:27]
	s_clause 0x1
	global_load_b128 v[26:29], v[90:91], off offset:208
	global_load_b128 v[30:33], v[90:91], off offset:192
	s_clause 0x1
	global_load_b128 v[34:37], v[92:93], off offset:96
	global_load_b128 v[38:41], v[92:93], off offset:112
	s_waitcnt vmcnt(13)
	v_fma_f64 v[44:45], v[54:55], v[58:59], v[44:45]
	v_fma_f64 v[42:43], v[56:57], v[58:59], v[42:43]
	;; [unrolled: 1-line block ×4, first 2 shown]
	s_delay_alu instid0(VALU_DEP_4) | instskip(NEXT) | instid1(VALU_DEP_4)
	v_fma_f64 v[56:57], -v[56:57], v[60:61], v[44:45]
	v_fma_f64 v[54:55], v[54:55], v[60:61], v[42:43]
	s_delay_alu instid0(VALU_DEP_4) | instskip(NEXT) | instid1(VALU_DEP_4)
	v_fma_f64 v[52:53], -v[52:53], v[60:61], v[48:49]
	v_fma_f64 v[50:51], v[50:51], v[60:61], v[46:47]
	s_clause 0x1
	global_load_b128 v[42:45], v[90:91], off offset:224
	global_load_b128 v[46:49], v[90:91], off offset:240
	s_waitcnt vmcnt(13)
	v_fma_f64 v[56:57], v[66:67], v[62:63], v[56:57]
	v_fma_f64 v[54:55], v[68:69], v[62:63], v[54:55]
	s_waitcnt vmcnt(12)
	v_fma_f64 v[52:53], v[70:71], v[62:63], v[52:53]
	v_fma_f64 v[50:51], v[72:73], v[62:63], v[50:51]
	s_delay_alu instid0(VALU_DEP_4) | instskip(NEXT) | instid1(VALU_DEP_4)
	v_fma_f64 v[56:57], -v[68:69], v[64:65], v[56:57]
	v_fma_f64 v[54:55], v[66:67], v[64:65], v[54:55]
	s_delay_alu instid0(VALU_DEP_4) | instskip(NEXT) | instid1(VALU_DEP_4)
	v_fma_f64 v[52:53], -v[72:73], v[64:65], v[52:53]
	v_fma_f64 v[50:51], v[70:71], v[64:65], v[50:51]
	s_waitcnt vmcnt(9)
	s_delay_alu instid0(VALU_DEP_4) | instskip(NEXT) | instid1(VALU_DEP_4)
	v_fma_f64 v[56:57], v[78:79], v[82:83], v[56:57]
	v_fma_f64 v[54:55], v[80:81], v[82:83], v[54:55]
	s_delay_alu instid0(VALU_DEP_4) | instskip(NEXT) | instid1(VALU_DEP_4)
	v_fma_f64 v[52:53], v[74:75], v[82:83], v[52:53]
	v_fma_f64 v[50:51], v[76:77], v[82:83], v[50:51]
	s_delay_alu instid0(VALU_DEP_4) | instskip(NEXT) | instid1(VALU_DEP_4)
	v_fma_f64 v[56:57], -v[80:81], v[84:85], v[56:57]
	v_fma_f64 v[54:55], v[78:79], v[84:85], v[54:55]
	s_delay_alu instid0(VALU_DEP_4) | instskip(NEXT) | instid1(VALU_DEP_4)
	v_fma_f64 v[52:53], -v[76:77], v[84:85], v[52:53]
	v_fma_f64 v[50:51], v[74:75], v[84:85], v[50:51]
	s_waitcnt vmcnt(7)
	s_delay_alu instid0(VALU_DEP_4) | instskip(NEXT) | instid1(VALU_DEP_4)
	v_fma_f64 v[56:57], v[10:11], v[86:87], v[56:57]
	v_fma_f64 v[54:55], v[12:13], v[86:87], v[54:55]
	s_waitcnt vmcnt(6)
	s_delay_alu instid0(VALU_DEP_4) | instskip(NEXT) | instid1(VALU_DEP_4)
	v_fma_f64 v[52:53], v[14:15], v[86:87], v[52:53]
	v_fma_f64 v[50:51], v[16:17], v[86:87], v[50:51]
	s_delay_alu instid0(VALU_DEP_4) | instskip(NEXT) | instid1(VALU_DEP_4)
	v_fma_f64 v[12:13], -v[12:13], v[88:89], v[56:57]
	v_fma_f64 v[10:11], v[10:11], v[88:89], v[54:55]
	s_delay_alu instid0(VALU_DEP_4) | instskip(NEXT) | instid1(VALU_DEP_4)
	v_fma_f64 v[16:17], -v[16:17], v[88:89], v[52:53]
	v_fma_f64 v[14:15], v[14:15], v[88:89], v[50:51]
	s_waitcnt vmcnt(3)
	s_delay_alu instid0(VALU_DEP_4) | instskip(NEXT) | instid1(VALU_DEP_4)
	v_fma_f64 v[12:13], v[30:31], v[34:35], v[12:13]
	v_fma_f64 v[10:11], v[32:33], v[34:35], v[10:11]
	s_delay_alu instid0(VALU_DEP_4) | instskip(NEXT) | instid1(VALU_DEP_4)
	v_fma_f64 v[16:17], v[26:27], v[34:35], v[16:17]
	v_fma_f64 v[14:15], v[28:29], v[34:35], v[14:15]
	s_delay_alu instid0(VALU_DEP_4) | instskip(NEXT) | instid1(VALU_DEP_4)
	v_fma_f64 v[12:13], -v[32:33], v[36:37], v[12:13]
	v_fma_f64 v[10:11], v[30:31], v[36:37], v[10:11]
	s_delay_alu instid0(VALU_DEP_4) | instskip(NEXT) | instid1(VALU_DEP_4)
	v_fma_f64 v[16:17], -v[28:29], v[36:37], v[16:17]
	v_fma_f64 v[14:15], v[26:27], v[36:37], v[14:15]
	s_waitcnt vmcnt(1)
	s_delay_alu instid0(VALU_DEP_4) | instskip(NEXT) | instid1(VALU_DEP_4)
	v_fma_f64 v[12:13], v[42:43], v[38:39], v[12:13]
	v_fma_f64 v[10:11], v[44:45], v[38:39], v[10:11]
	s_waitcnt vmcnt(0)
	s_delay_alu instid0(VALU_DEP_4) | instskip(NEXT) | instid1(VALU_DEP_4)
	v_fma_f64 v[16:17], v[46:47], v[38:39], v[16:17]
	v_fma_f64 v[26:27], v[48:49], v[38:39], v[14:15]
	s_delay_alu instid0(VALU_DEP_4) | instskip(NEXT) | instid1(VALU_DEP_4)
	v_fma_f64 v[13:14], -v[44:45], v[40:41], v[12:13]
	v_fma_f64 v[11:12], v[42:43], v[40:41], v[10:11]
	s_delay_alu instid0(VALU_DEP_4) | instskip(NEXT) | instid1(VALU_DEP_4)
	v_fma_f64 v[15:16], -v[48:49], v[40:41], v[16:17]
	v_fma_f64 v[17:18], v[46:47], v[40:41], v[26:27]
	s_and_not1_b32 exec_lo, exec_lo, s4
	s_cbranch_execnz .LBB259_11
; %bb.12:
	s_or_b32 exec_lo, exec_lo, s4
.LBB259_13:
	s_delay_alu instid0(SALU_CYCLE_1)
	s_or_b32 exec_lo, exec_lo, s1
	s_cbranch_execz .LBB259_15
	s_branch .LBB259_20
.LBB259_14:
                                        ; implicit-def: $vgpr11_vgpr12
                                        ; implicit-def: $vgpr13_vgpr14
                                        ; implicit-def: $vgpr15_vgpr16
                                        ; implicit-def: $vgpr17_vgpr18
.LBB259_15:
	v_mov_b32_e32 v11, 0
	v_mov_b32_e32 v12, 0
	s_delay_alu instid0(VALU_DEP_1)
	v_dual_mov_b32 v14, v12 :: v_dual_mov_b32 v13, v11
	v_dual_mov_b32 v16, v12 :: v_dual_mov_b32 v15, v11
	;; [unrolled: 1-line block ×3, first 2 shown]
	s_and_saveexec_b32 s1, s0
	s_cbranch_execz .LBB259_19
; %bb.16:
	v_dual_mov_b32 v11, 0 :: v_dual_mov_b32 v20, 0
	v_dual_mov_b32 v12, 0 :: v_dual_lshlrev_b32 v19, 4, v9
	s_mov_b32 s0, 0
	s_delay_alu instid0(VALU_DEP_1)
	v_dual_mov_b32 v14, v12 :: v_dual_mov_b32 v13, v11
	v_dual_mov_b32 v16, v12 :: v_dual_mov_b32 v15, v11
	;; [unrolled: 1-line block ×3, first 2 shown]
.LBB259_17:                             ; =>This Inner Loop Header: Depth=1
	v_ashrrev_i32_e32 v10, 31, v9
	s_delay_alu instid0(VALU_DEP_1) | instskip(SKIP_1) | instid1(VALU_DEP_2)
	v_lshlrev_b64 v[21:22], 2, v[9:10]
	v_add_nc_u32_e32 v9, 8, v9
	v_add_co_u32 v21, vcc_lo, s6, v21
	s_delay_alu instid0(VALU_DEP_3) | instskip(SKIP_3) | instid1(VALU_DEP_2)
	v_add_co_ci_u32_e32 v22, vcc_lo, s7, v22, vcc_lo
	global_load_b32 v10, v[21:22], off
	v_lshlrev_b64 v[21:22], 4, v[19:20]
	v_add_nc_u32_e32 v19, 0x80, v19
	v_add_co_u32 v21, vcc_lo, s8, v21
	s_delay_alu instid0(VALU_DEP_3) | instskip(SKIP_3) | instid1(VALU_DEP_1)
	v_add_co_ci_u32_e32 v22, vcc_lo, s9, v22, vcc_lo
	global_load_b128 v[26:29], v[21:22], off offset:128
	s_waitcnt vmcnt(1)
	v_subrev_nc_u32_e32 v10, s12, v10
	v_dual_mov_b32 v31, v20 :: v_dual_lshlrev_b32 v30, 3, v10
	s_delay_alu instid0(VALU_DEP_1) | instskip(NEXT) | instid1(VALU_DEP_1)
	v_lshlrev_b64 v[30:31], 4, v[30:31]
	v_add_co_u32 v86, vcc_lo, s10, v30
	s_delay_alu instid0(VALU_DEP_2)
	v_add_co_ci_u32_e32 v87, vcc_lo, s11, v31, vcc_lo
	v_cmp_ge_i32_e32 vcc_lo, v9, v23
	global_load_b128 v[30:33], v[21:22], off
	global_load_b128 v[34:37], v[86:87], off
	s_clause 0x1
	global_load_b128 v[38:41], v[21:22], off offset:16
	global_load_b128 v[42:45], v[21:22], off offset:144
	global_load_b128 v[46:49], v[86:87], off offset:16
	s_clause 0x1
	global_load_b128 v[50:53], v[21:22], off offset:160
	global_load_b128 v[54:57], v[21:22], off offset:32
	global_load_b128 v[58:61], v[86:87], off offset:32
	;; [unrolled: 4-line block ×4, first 2 shown]
	s_or_b32 s0, vcc_lo, s0
	s_waitcnt vmcnt(12)
	v_fma_f64 v[13:14], v[30:31], v[34:35], v[13:14]
	v_fma_f64 v[10:11], v[32:33], v[34:35], v[11:12]
	v_fma_f64 v[15:16], v[26:27], v[34:35], v[15:16]
	v_fma_f64 v[17:18], v[28:29], v[34:35], v[17:18]
	s_delay_alu instid0(VALU_DEP_4) | instskip(NEXT) | instid1(VALU_DEP_4)
	v_fma_f64 v[32:33], -v[32:33], v[36:37], v[13:14]
	v_fma_f64 v[30:31], v[30:31], v[36:37], v[10:11]
	s_delay_alu instid0(VALU_DEP_4) | instskip(NEXT) | instid1(VALU_DEP_4)
	v_fma_f64 v[34:35], -v[28:29], v[36:37], v[15:16]
	v_fma_f64 v[36:37], v[26:27], v[36:37], v[17:18]
	s_clause 0x1
	global_load_b128 v[10:13], v[21:22], off offset:80
	global_load_b128 v[14:17], v[21:22], off offset:208
	global_load_b128 v[26:29], v[86:87], off offset:80
	s_waitcnt vmcnt(12)
	v_fma_f64 v[32:33], v[38:39], v[46:47], v[32:33]
	v_fma_f64 v[30:31], v[40:41], v[46:47], v[30:31]
	v_fma_f64 v[34:35], v[42:43], v[46:47], v[34:35]
	v_fma_f64 v[36:37], v[44:45], v[46:47], v[36:37]
	s_delay_alu instid0(VALU_DEP_4) | instskip(NEXT) | instid1(VALU_DEP_4)
	v_fma_f64 v[46:47], -v[40:41], v[48:49], v[32:33]
	v_fma_f64 v[88:89], v[38:39], v[48:49], v[30:31]
	s_delay_alu instid0(VALU_DEP_4) | instskip(NEXT) | instid1(VALU_DEP_4)
	v_fma_f64 v[44:45], -v[44:45], v[48:49], v[34:35]
	v_fma_f64 v[42:43], v[42:43], v[48:49], v[36:37]
	s_clause 0x1
	global_load_b128 v[30:33], v[21:22], off offset:224
	global_load_b128 v[34:37], v[21:22], off offset:96
	global_load_b128 v[38:41], v[86:87], off offset:96
	;; [unrolled: 15-line block ×3, first 2 shown]
	s_waitcnt vmcnt(12)
	v_fma_f64 v[21:22], v[62:63], v[70:71], v[56:57]
	v_fma_f64 v[54:55], v[64:65], v[70:71], v[54:55]
	;; [unrolled: 1-line block ×4, first 2 shown]
	s_delay_alu instid0(VALU_DEP_4) | instskip(NEXT) | instid1(VALU_DEP_4)
	v_fma_f64 v[21:22], -v[64:65], v[72:73], v[21:22]
	v_fma_f64 v[54:55], v[62:63], v[72:73], v[54:55]
	s_delay_alu instid0(VALU_DEP_4) | instskip(NEXT) | instid1(VALU_DEP_4)
	v_fma_f64 v[56:57], -v[68:69], v[72:73], v[56:57]
	v_fma_f64 v[58:59], v[66:67], v[72:73], v[58:59]
	s_waitcnt vmcnt(9)
	s_delay_alu instid0(VALU_DEP_4) | instskip(NEXT) | instid1(VALU_DEP_4)
	v_fma_f64 v[21:22], v[78:79], v[82:83], v[21:22]
	v_fma_f64 v[54:55], v[80:81], v[82:83], v[54:55]
	s_delay_alu instid0(VALU_DEP_4) | instskip(NEXT) | instid1(VALU_DEP_4)
	v_fma_f64 v[56:57], v[74:75], v[82:83], v[56:57]
	v_fma_f64 v[58:59], v[76:77], v[82:83], v[58:59]
	s_delay_alu instid0(VALU_DEP_4) | instskip(NEXT) | instid1(VALU_DEP_4)
	v_fma_f64 v[21:22], -v[80:81], v[84:85], v[21:22]
	v_fma_f64 v[54:55], v[78:79], v[84:85], v[54:55]
	s_delay_alu instid0(VALU_DEP_4) | instskip(NEXT) | instid1(VALU_DEP_4)
	v_fma_f64 v[56:57], -v[76:77], v[84:85], v[56:57]
	v_fma_f64 v[58:59], v[74:75], v[84:85], v[58:59]
	s_waitcnt vmcnt(6)
	s_delay_alu instid0(VALU_DEP_4) | instskip(NEXT) | instid1(VALU_DEP_4)
	v_fma_f64 v[21:22], v[10:11], v[26:27], v[21:22]
	v_fma_f64 v[54:55], v[12:13], v[26:27], v[54:55]
	s_delay_alu instid0(VALU_DEP_4) | instskip(NEXT) | instid1(VALU_DEP_4)
	v_fma_f64 v[56:57], v[14:15], v[26:27], v[56:57]
	v_fma_f64 v[26:27], v[16:17], v[26:27], v[58:59]
	;; [unrolled: 13-line block ×4, first 2 shown]
	s_delay_alu instid0(VALU_DEP_4) | instskip(NEXT) | instid1(VALU_DEP_4)
	v_fma_f64 v[13:14], -v[44:45], v[52:53], v[12:13]
	v_fma_f64 v[11:12], v[42:43], v[52:53], v[10:11]
	s_delay_alu instid0(VALU_DEP_4) | instskip(NEXT) | instid1(VALU_DEP_4)
	v_fma_f64 v[15:16], -v[48:49], v[52:53], v[16:17]
	v_fma_f64 v[17:18], v[46:47], v[52:53], v[21:22]
	s_and_not1_b32 exec_lo, exec_lo, s0
	s_cbranch_execnz .LBB259_17
; %bb.18:
	s_or_b32 exec_lo, exec_lo, s0
.LBB259_19:
	s_delay_alu instid0(SALU_CYCLE_1)
	s_or_b32 exec_lo, exec_lo, s1
.LBB259_20:
	v_mbcnt_lo_u32_b32 v26, -1, 0
	s_delay_alu instid0(VALU_DEP_1) | instskip(NEXT) | instid1(VALU_DEP_1)
	v_xor_b32_e32 v9, 4, v26
	v_cmp_gt_i32_e32 vcc_lo, 32, v9
	v_cndmask_b32_e32 v9, v26, v9, vcc_lo
	s_delay_alu instid0(VALU_DEP_1)
	v_lshlrev_b32_e32 v24, 2, v9
	ds_bpermute_b32 v9, v24, v13
	ds_bpermute_b32 v10, v24, v14
	;; [unrolled: 1-line block ×4, first 2 shown]
	s_waitcnt lgkmcnt(2)
	v_add_f64 v[9:10], v[13:14], v[9:10]
	s_waitcnt lgkmcnt(0)
	v_add_f64 v[13:14], v[15:16], v[21:22]
	v_xor_b32_e32 v15, 2, v26
	s_delay_alu instid0(VALU_DEP_1)
	v_cmp_gt_i32_e32 vcc_lo, 32, v15
	v_cndmask_b32_e32 v15, v26, v15, vcc_lo
	ds_bpermute_b32 v19, v24, v11
	ds_bpermute_b32 v20, v24, v12
	ds_bpermute_b32 v23, v24, v17
	ds_bpermute_b32 v24, v24, v18
	s_waitcnt lgkmcnt(2)
	v_add_f64 v[11:12], v[11:12], v[19:20]
	s_waitcnt lgkmcnt(0)
	v_add_f64 v[17:18], v[17:18], v[23:24]
	v_lshlrev_b32_e32 v24, 2, v15
	ds_bpermute_b32 v15, v24, v9
	ds_bpermute_b32 v16, v24, v10
	;; [unrolled: 1-line block ×4, first 2 shown]
	s_waitcnt lgkmcnt(2)
	v_add_f64 v[9:10], v[9:10], v[15:16]
	ds_bpermute_b32 v19, v24, v11
	ds_bpermute_b32 v20, v24, v12
	;; [unrolled: 1-line block ×4, first 2 shown]
	s_waitcnt lgkmcnt(2)
	v_add_f64 v[15:16], v[11:12], v[19:20]
	v_add_f64 v[11:12], v[13:14], v[21:22]
	s_waitcnt lgkmcnt(0)
	v_add_f64 v[13:14], v[17:18], v[23:24]
	v_xor_b32_e32 v17, 1, v26
	s_delay_alu instid0(VALU_DEP_1) | instskip(SKIP_2) | instid1(VALU_DEP_2)
	v_cmp_gt_i32_e32 vcc_lo, 32, v17
	v_cndmask_b32_e32 v17, v26, v17, vcc_lo
	v_cmp_eq_u32_e32 vcc_lo, 7, v25
	v_lshlrev_b32_e32 v20, 2, v17
	ds_bpermute_b32 v23, v20, v9
	ds_bpermute_b32 v24, v20, v10
	;; [unrolled: 1-line block ×8, first 2 shown]
	s_and_b32 exec_lo, exec_lo, vcc_lo
	s_cbranch_execz .LBB259_25
; %bb.21:
	v_cmp_eq_f64_e32 vcc_lo, 0, v[4:5]
	v_cmp_eq_f64_e64 s0, 0, v[6:7]
	s_waitcnt lgkmcnt(6)
	v_add_f64 v[9:10], v[9:10], v[23:24]
	s_waitcnt lgkmcnt(4)
	v_add_f64 v[15:16], v[15:16], v[21:22]
	s_waitcnt lgkmcnt(2)
	v_add_f64 v[11:12], v[11:12], v[17:18]
	s_waitcnt lgkmcnt(0)
	v_add_f64 v[13:14], v[13:14], v[19:20]
	s_load_b64 s[2:3], s[2:3], 0x48
	s_and_b32 s0, vcc_lo, s0
	s_delay_alu instid0(SALU_CYCLE_1) | instskip(NEXT) | instid1(SALU_CYCLE_1)
	s_and_saveexec_b32 s1, s0
	s_xor_b32 s0, exec_lo, s1
	s_cbranch_execz .LBB259_23
; %bb.22:
	s_delay_alu instid0(VALU_DEP_3) | instskip(SKIP_1) | instid1(VALU_DEP_3)
	v_mul_f64 v[4:5], v[15:16], -v[2:3]
	v_mul_f64 v[6:7], v[0:1], v[15:16]
	v_mul_f64 v[15:16], v[13:14], -v[2:3]
	v_mul_f64 v[13:14], v[0:1], v[13:14]
	v_lshlrev_b32_e32 v8, 1, v8
	v_fma_f64 v[4:5], v[0:1], v[9:10], v[4:5]
	v_fma_f64 v[6:7], v[2:3], v[9:10], v[6:7]
	;; [unrolled: 1-line block ×4, first 2 shown]
	v_ashrrev_i32_e32 v9, 31, v8
                                        ; implicit-def: $vgpr15_vgpr16
                                        ; implicit-def: $vgpr11_vgpr12
                                        ; implicit-def: $vgpr13_vgpr14
	s_delay_alu instid0(VALU_DEP_1) | instskip(SKIP_1) | instid1(VALU_DEP_1)
	v_lshlrev_b64 v[8:9], 4, v[8:9]
	s_waitcnt lgkmcnt(0)
	v_add_co_u32 v8, vcc_lo, s2, v8
	s_delay_alu instid0(VALU_DEP_2)
	v_add_co_ci_u32_e32 v9, vcc_lo, s3, v9, vcc_lo
	s_clause 0x1
	global_store_b128 v[8:9], v[4:7], off
	global_store_b128 v[8:9], v[0:3], off offset:16
                                        ; implicit-def: $vgpr0_vgpr1
                                        ; implicit-def: $vgpr2_vgpr3
                                        ; implicit-def: $vgpr4_vgpr5
                                        ; implicit-def: $vgpr6_vgpr7
                                        ; implicit-def: $vgpr8
                                        ; implicit-def: $vgpr9_vgpr10
.LBB259_23:
	s_and_not1_saveexec_b32 s0, s0
	s_cbranch_execz .LBB259_25
; %bb.24:
	v_lshlrev_b32_e32 v17, 1, v8
	s_delay_alu instid0(VALU_DEP_4) | instskip(SKIP_1) | instid1(VALU_DEP_4)
	v_mul_f64 v[27:28], v[15:16], -v[2:3]
	v_mul_f64 v[15:16], v[0:1], v[15:16]
	v_mul_f64 v[29:30], v[13:14], -v[2:3]
	v_mul_f64 v[13:14], v[0:1], v[13:14]
	v_ashrrev_i32_e32 v18, 31, v17
	s_delay_alu instid0(VALU_DEP_1) | instskip(SKIP_1) | instid1(VALU_DEP_1)
	v_lshlrev_b64 v[17:18], 4, v[17:18]
	s_waitcnt lgkmcnt(0)
	v_add_co_u32 v25, vcc_lo, s2, v17
	s_delay_alu instid0(VALU_DEP_2)
	v_add_co_ci_u32_e32 v26, vcc_lo, s3, v18, vcc_lo
	s_clause 0x1
	global_load_b128 v[17:20], v[25:26], off
	global_load_b128 v[21:24], v[25:26], off offset:16
	v_fma_f64 v[27:28], v[0:1], v[9:10], v[27:28]
	v_fma_f64 v[8:9], v[2:3], v[9:10], v[15:16]
	;; [unrolled: 1-line block ×4, first 2 shown]
	s_waitcnt vmcnt(1)
	s_delay_alu instid0(VALU_DEP_4) | instskip(NEXT) | instid1(VALU_DEP_4)
	v_fma_f64 v[10:11], v[4:5], v[17:18], v[27:28]
	v_fma_f64 v[8:9], v[6:7], v[17:18], v[8:9]
	s_waitcnt vmcnt(0)
	s_delay_alu instid0(VALU_DEP_4) | instskip(NEXT) | instid1(VALU_DEP_4)
	v_fma_f64 v[12:13], v[4:5], v[21:22], v[0:1]
	v_fma_f64 v[14:15], v[6:7], v[21:22], v[2:3]
	s_delay_alu instid0(VALU_DEP_4) | instskip(NEXT) | instid1(VALU_DEP_4)
	v_fma_f64 v[0:1], -v[6:7], v[19:20], v[10:11]
	v_fma_f64 v[2:3], v[4:5], v[19:20], v[8:9]
	s_delay_alu instid0(VALU_DEP_4) | instskip(NEXT) | instid1(VALU_DEP_4)
	v_fma_f64 v[6:7], -v[6:7], v[23:24], v[12:13]
	v_fma_f64 v[8:9], v[4:5], v[23:24], v[14:15]
	s_clause 0x1
	global_store_b128 v[25:26], v[0:3], off
	global_store_b128 v[25:26], v[6:9], off offset:16
.LBB259_25:
	s_nop 0
	s_sendmsg sendmsg(MSG_DEALLOC_VGPRS)
	s_endpgm
	.section	.rodata,"a",@progbits
	.p2align	6, 0x0
	.amdhsa_kernel _ZN9rocsparseL19gebsrmvn_2xn_kernelILj128ELj8ELj8E21rocsparse_complex_numIdEEEvi20rocsparse_direction_NS_24const_host_device_scalarIT2_EEPKiS8_PKS5_SA_S6_PS5_21rocsparse_index_base_b
		.amdhsa_group_segment_fixed_size 2048
		.amdhsa_private_segment_fixed_size 0
		.amdhsa_kernarg_size 88
		.amdhsa_user_sgpr_count 15
		.amdhsa_user_sgpr_dispatch_ptr 1
		.amdhsa_user_sgpr_queue_ptr 0
		.amdhsa_user_sgpr_kernarg_segment_ptr 1
		.amdhsa_user_sgpr_dispatch_id 0
		.amdhsa_user_sgpr_private_segment_size 0
		.amdhsa_wavefront_size32 1
		.amdhsa_uses_dynamic_stack 0
		.amdhsa_enable_private_segment 0
		.amdhsa_system_sgpr_workgroup_id_x 1
		.amdhsa_system_sgpr_workgroup_id_y 0
		.amdhsa_system_sgpr_workgroup_id_z 0
		.amdhsa_system_sgpr_workgroup_info 0
		.amdhsa_system_vgpr_workitem_id 2
		.amdhsa_next_free_vgpr 94
		.amdhsa_next_free_sgpr 18
		.amdhsa_reserve_vcc 1
		.amdhsa_float_round_mode_32 0
		.amdhsa_float_round_mode_16_64 0
		.amdhsa_float_denorm_mode_32 3
		.amdhsa_float_denorm_mode_16_64 3
		.amdhsa_dx10_clamp 1
		.amdhsa_ieee_mode 1
		.amdhsa_fp16_overflow 0
		.amdhsa_workgroup_processor_mode 1
		.amdhsa_memory_ordered 1
		.amdhsa_forward_progress 0
		.amdhsa_shared_vgpr_count 0
		.amdhsa_exception_fp_ieee_invalid_op 0
		.amdhsa_exception_fp_denorm_src 0
		.amdhsa_exception_fp_ieee_div_zero 0
		.amdhsa_exception_fp_ieee_overflow 0
		.amdhsa_exception_fp_ieee_underflow 0
		.amdhsa_exception_fp_ieee_inexact 0
		.amdhsa_exception_int_div_zero 0
	.end_amdhsa_kernel
	.section	.text._ZN9rocsparseL19gebsrmvn_2xn_kernelILj128ELj8ELj8E21rocsparse_complex_numIdEEEvi20rocsparse_direction_NS_24const_host_device_scalarIT2_EEPKiS8_PKS5_SA_S6_PS5_21rocsparse_index_base_b,"axG",@progbits,_ZN9rocsparseL19gebsrmvn_2xn_kernelILj128ELj8ELj8E21rocsparse_complex_numIdEEEvi20rocsparse_direction_NS_24const_host_device_scalarIT2_EEPKiS8_PKS5_SA_S6_PS5_21rocsparse_index_base_b,comdat
.Lfunc_end259:
	.size	_ZN9rocsparseL19gebsrmvn_2xn_kernelILj128ELj8ELj8E21rocsparse_complex_numIdEEEvi20rocsparse_direction_NS_24const_host_device_scalarIT2_EEPKiS8_PKS5_SA_S6_PS5_21rocsparse_index_base_b, .Lfunc_end259-_ZN9rocsparseL19gebsrmvn_2xn_kernelILj128ELj8ELj8E21rocsparse_complex_numIdEEEvi20rocsparse_direction_NS_24const_host_device_scalarIT2_EEPKiS8_PKS5_SA_S6_PS5_21rocsparse_index_base_b
                                        ; -- End function
	.section	.AMDGPU.csdata,"",@progbits
; Kernel info:
; codeLenInByte = 3544
; NumSgprs: 20
; NumVgprs: 94
; ScratchSize: 0
; MemoryBound: 1
; FloatMode: 240
; IeeeMode: 1
; LDSByteSize: 2048 bytes/workgroup (compile time only)
; SGPRBlocks: 2
; VGPRBlocks: 11
; NumSGPRsForWavesPerEU: 20
; NumVGPRsForWavesPerEU: 94
; Occupancy: 16
; WaveLimiterHint : 1
; COMPUTE_PGM_RSRC2:SCRATCH_EN: 0
; COMPUTE_PGM_RSRC2:USER_SGPR: 15
; COMPUTE_PGM_RSRC2:TRAP_HANDLER: 0
; COMPUTE_PGM_RSRC2:TGID_X_EN: 1
; COMPUTE_PGM_RSRC2:TGID_Y_EN: 0
; COMPUTE_PGM_RSRC2:TGID_Z_EN: 0
; COMPUTE_PGM_RSRC2:TIDIG_COMP_CNT: 2
	.section	.text._ZN9rocsparseL19gebsrmvn_2xn_kernelILj128ELj8ELj16E21rocsparse_complex_numIdEEEvi20rocsparse_direction_NS_24const_host_device_scalarIT2_EEPKiS8_PKS5_SA_S6_PS5_21rocsparse_index_base_b,"axG",@progbits,_ZN9rocsparseL19gebsrmvn_2xn_kernelILj128ELj8ELj16E21rocsparse_complex_numIdEEEvi20rocsparse_direction_NS_24const_host_device_scalarIT2_EEPKiS8_PKS5_SA_S6_PS5_21rocsparse_index_base_b,comdat
	.globl	_ZN9rocsparseL19gebsrmvn_2xn_kernelILj128ELj8ELj16E21rocsparse_complex_numIdEEEvi20rocsparse_direction_NS_24const_host_device_scalarIT2_EEPKiS8_PKS5_SA_S6_PS5_21rocsparse_index_base_b ; -- Begin function _ZN9rocsparseL19gebsrmvn_2xn_kernelILj128ELj8ELj16E21rocsparse_complex_numIdEEEvi20rocsparse_direction_NS_24const_host_device_scalarIT2_EEPKiS8_PKS5_SA_S6_PS5_21rocsparse_index_base_b
	.p2align	8
	.type	_ZN9rocsparseL19gebsrmvn_2xn_kernelILj128ELj8ELj16E21rocsparse_complex_numIdEEEvi20rocsparse_direction_NS_24const_host_device_scalarIT2_EEPKiS8_PKS5_SA_S6_PS5_21rocsparse_index_base_b,@function
_ZN9rocsparseL19gebsrmvn_2xn_kernelILj128ELj8ELj16E21rocsparse_complex_numIdEEEvi20rocsparse_direction_NS_24const_host_device_scalarIT2_EEPKiS8_PKS5_SA_S6_PS5_21rocsparse_index_base_b: ; @_ZN9rocsparseL19gebsrmvn_2xn_kernelILj128ELj8ELj16E21rocsparse_complex_numIdEEEvi20rocsparse_direction_NS_24const_host_device_scalarIT2_EEPKiS8_PKS5_SA_S6_PS5_21rocsparse_index_base_b
; %bb.0:
	s_load_b64 s[12:13], s[2:3], 0x50
	s_load_b64 s[16:17], s[0:1], 0x4
	s_load_b128 s[8:11], s[2:3], 0x8
	v_bfe_u32 v1, v0, 10, 10
	s_mov_b64 s[0:1], src_shared_base
	s_load_b128 s[4:7], s[2:3], 0x38
	v_and_b32_e32 v10, 0x3ff, v0
	v_bfe_u32 v0, v0, 20, 10
	s_waitcnt lgkmcnt(0)
	s_bitcmp1_b32 s13, 0
	v_mul_u32_u24_e32 v1, s17, v1
	s_cselect_b32 s0, -1, 0
	s_delay_alu instid0(SALU_CYCLE_1)
	s_and_b32 vcc_lo, s0, exec_lo
	s_cselect_b32 s13, s1, s9
	s_lshr_b32 s14, s16, 16
	v_dual_mov_b32 v2, s4 :: v_dual_mov_b32 v3, s5
	s_mul_i32 s14, s14, s17
	v_mov_b32_e32 v6, s13
	v_mad_u32_u24 v1, s14, v10, v1
	s_delay_alu instid0(VALU_DEP_1) | instskip(SKIP_1) | instid1(VALU_DEP_2)
	v_add_lshl_u32 v4, v1, v0, 3
	v_dual_mov_b32 v0, s8 :: v_dual_mov_b32 v1, s9
	v_add_nc_u32_e32 v5, 0x400, v4
	ds_store_2addr_stride64_b64 v4, v[2:3], v[0:1] offset1:2
	v_dual_mov_b32 v2, s10 :: v_dual_mov_b32 v3, s11
	v_cndmask_b32_e64 v5, s8, v5, s0
	s_xor_b32 s10, s0, -1
	flat_load_b64 v[0:1], v[5:6]
	s_cbranch_vccnz .LBB260_2
; %bb.1:
	v_dual_mov_b32 v2, s8 :: v_dual_mov_b32 v3, s9
	flat_load_b64 v[2:3], v[2:3] offset:8
.LBB260_2:
	s_and_b32 s8, s0, exec_lo
	s_cselect_b32 s1, s1, s5
	v_cndmask_b32_e64 v4, s4, v4, s0
	v_dual_mov_b32 v5, s1 :: v_dual_mov_b32 v6, s6
	v_mov_b32_e32 v7, s7
	s_and_not1_b32 vcc_lo, exec_lo, s10
	flat_load_b64 v[4:5], v[4:5]
	s_cbranch_vccnz .LBB260_4
; %bb.3:
	v_dual_mov_b32 v7, s5 :: v_dual_mov_b32 v6, s4
	flat_load_b64 v[6:7], v[6:7] offset:8
.LBB260_4:
	s_waitcnt vmcnt(1) lgkmcnt(1)
	v_cmp_eq_f64_e32 vcc_lo, 0, v[0:1]
	v_cmp_eq_f64_e64 s0, 0, v[2:3]
	s_delay_alu instid0(VALU_DEP_1)
	s_and_b32 s4, vcc_lo, s0
	s_mov_b32 s0, -1
	s_and_saveexec_b32 s1, s4
	s_cbranch_execz .LBB260_6
; %bb.5:
	s_waitcnt vmcnt(0) lgkmcnt(0)
	v_cmp_neq_f64_e32 vcc_lo, 1.0, v[4:5]
	v_cmp_neq_f64_e64 s0, 0, v[6:7]
	s_delay_alu instid0(VALU_DEP_1) | instskip(NEXT) | instid1(SALU_CYCLE_1)
	s_or_b32 s0, vcc_lo, s0
	s_or_not1_b32 s0, s0, exec_lo
.LBB260_6:
	s_or_b32 exec_lo, exec_lo, s1
	s_and_saveexec_b32 s1, s0
	s_cbranch_execz .LBB260_25
; %bb.7:
	s_load_b64 s[0:1], s[2:3], 0x0
	v_lshrrev_b32_e32 v8, 4, v10
	s_delay_alu instid0(VALU_DEP_1) | instskip(SKIP_1) | instid1(VALU_DEP_1)
	v_lshl_or_b32 v8, s15, 3, v8
	s_waitcnt lgkmcnt(0)
	v_cmp_gt_i32_e32 vcc_lo, s0, v8
	s_and_b32 exec_lo, exec_lo, vcc_lo
	s_cbranch_execz .LBB260_25
; %bb.8:
	s_load_b256 s[4:11], s[2:3], 0x18
	v_ashrrev_i32_e32 v9, 31, v8
	v_and_b32_e32 v25, 15, v10
	s_cmp_lg_u32 s1, 0
	s_delay_alu instid0(VALU_DEP_2) | instskip(SKIP_1) | instid1(VALU_DEP_1)
	v_lshlrev_b64 v[11:12], 2, v[8:9]
	s_waitcnt lgkmcnt(0)
	v_add_co_u32 v11, vcc_lo, s4, v11
	s_delay_alu instid0(VALU_DEP_2) | instskip(SKIP_4) | instid1(VALU_DEP_2)
	v_add_co_ci_u32_e32 v12, vcc_lo, s5, v12, vcc_lo
	global_load_b64 v[11:12], v[11:12], off
	s_waitcnt vmcnt(0)
	v_subrev_nc_u32_e32 v9, s12, v11
	v_subrev_nc_u32_e32 v23, s12, v12
	v_add_nc_u32_e32 v9, v9, v25
	s_delay_alu instid0(VALU_DEP_1)
	v_cmp_lt_i32_e64 s0, v9, v23
	s_cbranch_scc0 .LBB260_14
; %bb.9:
	v_mov_b32_e32 v11, 0
	v_mov_b32_e32 v12, 0
	s_delay_alu instid0(VALU_DEP_1)
	v_dual_mov_b32 v14, v12 :: v_dual_mov_b32 v13, v11
	v_dual_mov_b32 v16, v12 :: v_dual_mov_b32 v15, v11
	;; [unrolled: 1-line block ×3, first 2 shown]
	s_and_saveexec_b32 s1, s0
	s_cbranch_execz .LBB260_13
; %bb.10:
	v_dual_mov_b32 v11, 0 :: v_dual_mov_b32 v20, 0
	v_dual_mov_b32 v12, 0 :: v_dual_lshlrev_b32 v19, 4, v9
	v_mov_b32_e32 v21, v9
	s_mov_b32 s4, 0
	s_delay_alu instid0(VALU_DEP_2)
	v_dual_mov_b32 v14, v12 :: v_dual_mov_b32 v13, v11
	v_dual_mov_b32 v16, v12 :: v_dual_mov_b32 v15, v11
	;; [unrolled: 1-line block ×3, first 2 shown]
.LBB260_11:                             ; =>This Inner Loop Header: Depth=1
	v_ashrrev_i32_e32 v22, 31, v21
	s_delay_alu instid0(VALU_DEP_1) | instskip(SKIP_1) | instid1(VALU_DEP_2)
	v_lshlrev_b64 v[26:27], 2, v[21:22]
	v_add_nc_u32_e32 v21, 16, v21
	v_add_co_u32 v26, vcc_lo, s6, v26
	s_delay_alu instid0(VALU_DEP_3) | instskip(SKIP_3) | instid1(VALU_DEP_2)
	v_add_co_ci_u32_e32 v27, vcc_lo, s7, v27, vcc_lo
	global_load_b32 v10, v[26:27], off
	v_lshlrev_b64 v[26:27], 4, v[19:20]
	v_add_nc_u32_e32 v19, 0x100, v19
	v_add_co_u32 v90, vcc_lo, s8, v26
	s_delay_alu instid0(VALU_DEP_3) | instskip(SKIP_3) | instid1(VALU_DEP_1)
	v_add_co_ci_u32_e32 v91, vcc_lo, s9, v27, vcc_lo
	global_load_b128 v[26:29], v[90:91], off offset:16
	s_waitcnt vmcnt(1)
	v_subrev_nc_u32_e32 v10, s12, v10
	v_dual_mov_b32 v31, v20 :: v_dual_lshlrev_b32 v30, 3, v10
	s_delay_alu instid0(VALU_DEP_1) | instskip(NEXT) | instid1(VALU_DEP_1)
	v_lshlrev_b64 v[30:31], 4, v[30:31]
	v_add_co_u32 v92, vcc_lo, s10, v30
	s_delay_alu instid0(VALU_DEP_2)
	v_add_co_ci_u32_e32 v93, vcc_lo, s11, v31, vcc_lo
	v_cmp_ge_i32_e32 vcc_lo, v21, v23
	global_load_b128 v[30:33], v[90:91], off
	s_clause 0x1
	global_load_b128 v[34:37], v[92:93], off
	global_load_b128 v[38:41], v[92:93], off offset:16
	s_clause 0x3
	global_load_b128 v[42:45], v[90:91], off offset:32
	global_load_b128 v[46:49], v[90:91], off offset:48
	;; [unrolled: 1-line block ×4, first 2 shown]
	s_clause 0x1
	global_load_b128 v[58:61], v[92:93], off offset:32
	global_load_b128 v[62:65], v[92:93], off offset:48
	s_clause 0x3
	global_load_b128 v[66:69], v[90:91], off offset:96
	global_load_b128 v[70:73], v[90:91], off offset:112
	;; [unrolled: 1-line block ×4, first 2 shown]
	s_clause 0x1
	global_load_b128 v[82:85], v[92:93], off offset:64
	global_load_b128 v[86:89], v[92:93], off offset:80
	s_or_b32 s4, vcc_lo, s4
	s_waitcnt vmcnt(13)
	v_fma_f64 v[13:14], v[30:31], v[34:35], v[13:14]
	v_fma_f64 v[10:11], v[32:33], v[34:35], v[11:12]
	;; [unrolled: 1-line block ×4, first 2 shown]
	s_delay_alu instid0(VALU_DEP_4) | instskip(NEXT) | instid1(VALU_DEP_4)
	v_fma_f64 v[32:33], -v[32:33], v[36:37], v[13:14]
	v_fma_f64 v[30:31], v[30:31], v[36:37], v[10:11]
	s_delay_alu instid0(VALU_DEP_4) | instskip(NEXT) | instid1(VALU_DEP_4)
	v_fma_f64 v[28:29], -v[28:29], v[36:37], v[15:16]
	v_fma_f64 v[26:27], v[26:27], v[36:37], v[17:18]
	s_clause 0x1
	global_load_b128 v[10:13], v[90:91], off offset:160
	global_load_b128 v[14:17], v[90:91], off offset:176
	s_waitcnt vmcnt(13)
	v_fma_f64 v[32:33], v[42:43], v[38:39], v[32:33]
	v_fma_f64 v[30:31], v[44:45], v[38:39], v[30:31]
	s_waitcnt vmcnt(12)
	v_fma_f64 v[28:29], v[46:47], v[38:39], v[28:29]
	v_fma_f64 v[26:27], v[48:49], v[38:39], v[26:27]
	s_delay_alu instid0(VALU_DEP_4) | instskip(NEXT) | instid1(VALU_DEP_4)
	v_fma_f64 v[44:45], -v[44:45], v[40:41], v[32:33]
	v_fma_f64 v[42:43], v[42:43], v[40:41], v[30:31]
	s_delay_alu instid0(VALU_DEP_4) | instskip(NEXT) | instid1(VALU_DEP_4)
	v_fma_f64 v[48:49], -v[48:49], v[40:41], v[28:29]
	v_fma_f64 v[46:47], v[46:47], v[40:41], v[26:27]
	s_clause 0x1
	global_load_b128 v[26:29], v[90:91], off offset:208
	global_load_b128 v[30:33], v[90:91], off offset:192
	s_clause 0x1
	global_load_b128 v[34:37], v[92:93], off offset:96
	global_load_b128 v[38:41], v[92:93], off offset:112
	s_waitcnt vmcnt(13)
	v_fma_f64 v[44:45], v[54:55], v[58:59], v[44:45]
	v_fma_f64 v[42:43], v[56:57], v[58:59], v[42:43]
	;; [unrolled: 1-line block ×4, first 2 shown]
	s_delay_alu instid0(VALU_DEP_4) | instskip(NEXT) | instid1(VALU_DEP_4)
	v_fma_f64 v[56:57], -v[56:57], v[60:61], v[44:45]
	v_fma_f64 v[54:55], v[54:55], v[60:61], v[42:43]
	s_delay_alu instid0(VALU_DEP_4) | instskip(NEXT) | instid1(VALU_DEP_4)
	v_fma_f64 v[52:53], -v[52:53], v[60:61], v[48:49]
	v_fma_f64 v[50:51], v[50:51], v[60:61], v[46:47]
	s_clause 0x1
	global_load_b128 v[42:45], v[90:91], off offset:224
	global_load_b128 v[46:49], v[90:91], off offset:240
	s_waitcnt vmcnt(13)
	v_fma_f64 v[56:57], v[66:67], v[62:63], v[56:57]
	v_fma_f64 v[54:55], v[68:69], v[62:63], v[54:55]
	s_waitcnt vmcnt(12)
	v_fma_f64 v[52:53], v[70:71], v[62:63], v[52:53]
	v_fma_f64 v[50:51], v[72:73], v[62:63], v[50:51]
	s_delay_alu instid0(VALU_DEP_4) | instskip(NEXT) | instid1(VALU_DEP_4)
	v_fma_f64 v[56:57], -v[68:69], v[64:65], v[56:57]
	v_fma_f64 v[54:55], v[66:67], v[64:65], v[54:55]
	s_delay_alu instid0(VALU_DEP_4) | instskip(NEXT) | instid1(VALU_DEP_4)
	v_fma_f64 v[52:53], -v[72:73], v[64:65], v[52:53]
	v_fma_f64 v[50:51], v[70:71], v[64:65], v[50:51]
	s_waitcnt vmcnt(9)
	s_delay_alu instid0(VALU_DEP_4) | instskip(NEXT) | instid1(VALU_DEP_4)
	v_fma_f64 v[56:57], v[78:79], v[82:83], v[56:57]
	v_fma_f64 v[54:55], v[80:81], v[82:83], v[54:55]
	s_delay_alu instid0(VALU_DEP_4) | instskip(NEXT) | instid1(VALU_DEP_4)
	v_fma_f64 v[52:53], v[74:75], v[82:83], v[52:53]
	v_fma_f64 v[50:51], v[76:77], v[82:83], v[50:51]
	s_delay_alu instid0(VALU_DEP_4) | instskip(NEXT) | instid1(VALU_DEP_4)
	v_fma_f64 v[56:57], -v[80:81], v[84:85], v[56:57]
	v_fma_f64 v[54:55], v[78:79], v[84:85], v[54:55]
	s_delay_alu instid0(VALU_DEP_4) | instskip(NEXT) | instid1(VALU_DEP_4)
	v_fma_f64 v[52:53], -v[76:77], v[84:85], v[52:53]
	v_fma_f64 v[50:51], v[74:75], v[84:85], v[50:51]
	s_waitcnt vmcnt(7)
	s_delay_alu instid0(VALU_DEP_4) | instskip(NEXT) | instid1(VALU_DEP_4)
	v_fma_f64 v[56:57], v[10:11], v[86:87], v[56:57]
	v_fma_f64 v[54:55], v[12:13], v[86:87], v[54:55]
	s_waitcnt vmcnt(6)
	s_delay_alu instid0(VALU_DEP_4) | instskip(NEXT) | instid1(VALU_DEP_4)
	v_fma_f64 v[52:53], v[14:15], v[86:87], v[52:53]
	v_fma_f64 v[50:51], v[16:17], v[86:87], v[50:51]
	s_delay_alu instid0(VALU_DEP_4) | instskip(NEXT) | instid1(VALU_DEP_4)
	v_fma_f64 v[12:13], -v[12:13], v[88:89], v[56:57]
	v_fma_f64 v[10:11], v[10:11], v[88:89], v[54:55]
	s_delay_alu instid0(VALU_DEP_4) | instskip(NEXT) | instid1(VALU_DEP_4)
	v_fma_f64 v[16:17], -v[16:17], v[88:89], v[52:53]
	v_fma_f64 v[14:15], v[14:15], v[88:89], v[50:51]
	s_waitcnt vmcnt(3)
	s_delay_alu instid0(VALU_DEP_4) | instskip(NEXT) | instid1(VALU_DEP_4)
	v_fma_f64 v[12:13], v[30:31], v[34:35], v[12:13]
	v_fma_f64 v[10:11], v[32:33], v[34:35], v[10:11]
	s_delay_alu instid0(VALU_DEP_4) | instskip(NEXT) | instid1(VALU_DEP_4)
	v_fma_f64 v[16:17], v[26:27], v[34:35], v[16:17]
	v_fma_f64 v[14:15], v[28:29], v[34:35], v[14:15]
	s_delay_alu instid0(VALU_DEP_4) | instskip(NEXT) | instid1(VALU_DEP_4)
	v_fma_f64 v[12:13], -v[32:33], v[36:37], v[12:13]
	v_fma_f64 v[10:11], v[30:31], v[36:37], v[10:11]
	s_delay_alu instid0(VALU_DEP_4) | instskip(NEXT) | instid1(VALU_DEP_4)
	v_fma_f64 v[16:17], -v[28:29], v[36:37], v[16:17]
	v_fma_f64 v[14:15], v[26:27], v[36:37], v[14:15]
	s_waitcnt vmcnt(1)
	s_delay_alu instid0(VALU_DEP_4) | instskip(NEXT) | instid1(VALU_DEP_4)
	v_fma_f64 v[12:13], v[42:43], v[38:39], v[12:13]
	v_fma_f64 v[10:11], v[44:45], v[38:39], v[10:11]
	s_waitcnt vmcnt(0)
	s_delay_alu instid0(VALU_DEP_4) | instskip(NEXT) | instid1(VALU_DEP_4)
	v_fma_f64 v[16:17], v[46:47], v[38:39], v[16:17]
	v_fma_f64 v[26:27], v[48:49], v[38:39], v[14:15]
	s_delay_alu instid0(VALU_DEP_4) | instskip(NEXT) | instid1(VALU_DEP_4)
	v_fma_f64 v[13:14], -v[44:45], v[40:41], v[12:13]
	v_fma_f64 v[11:12], v[42:43], v[40:41], v[10:11]
	s_delay_alu instid0(VALU_DEP_4) | instskip(NEXT) | instid1(VALU_DEP_4)
	v_fma_f64 v[15:16], -v[48:49], v[40:41], v[16:17]
	v_fma_f64 v[17:18], v[46:47], v[40:41], v[26:27]
	s_and_not1_b32 exec_lo, exec_lo, s4
	s_cbranch_execnz .LBB260_11
; %bb.12:
	s_or_b32 exec_lo, exec_lo, s4
.LBB260_13:
	s_delay_alu instid0(SALU_CYCLE_1)
	s_or_b32 exec_lo, exec_lo, s1
	s_cbranch_execz .LBB260_15
	s_branch .LBB260_20
.LBB260_14:
                                        ; implicit-def: $vgpr11_vgpr12
                                        ; implicit-def: $vgpr13_vgpr14
                                        ; implicit-def: $vgpr15_vgpr16
                                        ; implicit-def: $vgpr17_vgpr18
.LBB260_15:
	v_mov_b32_e32 v11, 0
	v_mov_b32_e32 v12, 0
	s_delay_alu instid0(VALU_DEP_1)
	v_dual_mov_b32 v14, v12 :: v_dual_mov_b32 v13, v11
	v_dual_mov_b32 v16, v12 :: v_dual_mov_b32 v15, v11
	v_dual_mov_b32 v18, v12 :: v_dual_mov_b32 v17, v11
	s_and_saveexec_b32 s1, s0
	s_cbranch_execz .LBB260_19
; %bb.16:
	v_dual_mov_b32 v11, 0 :: v_dual_mov_b32 v20, 0
	v_dual_mov_b32 v12, 0 :: v_dual_lshlrev_b32 v19, 4, v9
	s_mov_b32 s0, 0
	s_delay_alu instid0(VALU_DEP_1)
	v_dual_mov_b32 v14, v12 :: v_dual_mov_b32 v13, v11
	v_dual_mov_b32 v16, v12 :: v_dual_mov_b32 v15, v11
	;; [unrolled: 1-line block ×3, first 2 shown]
.LBB260_17:                             ; =>This Inner Loop Header: Depth=1
	v_ashrrev_i32_e32 v10, 31, v9
	s_delay_alu instid0(VALU_DEP_1) | instskip(SKIP_1) | instid1(VALU_DEP_2)
	v_lshlrev_b64 v[21:22], 2, v[9:10]
	v_add_nc_u32_e32 v9, 16, v9
	v_add_co_u32 v21, vcc_lo, s6, v21
	s_delay_alu instid0(VALU_DEP_3) | instskip(SKIP_3) | instid1(VALU_DEP_2)
	v_add_co_ci_u32_e32 v22, vcc_lo, s7, v22, vcc_lo
	global_load_b32 v10, v[21:22], off
	v_lshlrev_b64 v[21:22], 4, v[19:20]
	v_add_nc_u32_e32 v19, 0x100, v19
	v_add_co_u32 v21, vcc_lo, s8, v21
	s_delay_alu instid0(VALU_DEP_3) | instskip(SKIP_3) | instid1(VALU_DEP_1)
	v_add_co_ci_u32_e32 v22, vcc_lo, s9, v22, vcc_lo
	global_load_b128 v[26:29], v[21:22], off offset:128
	s_waitcnt vmcnt(1)
	v_subrev_nc_u32_e32 v10, s12, v10
	v_dual_mov_b32 v31, v20 :: v_dual_lshlrev_b32 v30, 3, v10
	s_delay_alu instid0(VALU_DEP_1) | instskip(NEXT) | instid1(VALU_DEP_1)
	v_lshlrev_b64 v[30:31], 4, v[30:31]
	v_add_co_u32 v86, vcc_lo, s10, v30
	s_delay_alu instid0(VALU_DEP_2)
	v_add_co_ci_u32_e32 v87, vcc_lo, s11, v31, vcc_lo
	v_cmp_ge_i32_e32 vcc_lo, v9, v23
	global_load_b128 v[30:33], v[21:22], off
	global_load_b128 v[34:37], v[86:87], off
	s_clause 0x1
	global_load_b128 v[38:41], v[21:22], off offset:16
	global_load_b128 v[42:45], v[21:22], off offset:144
	global_load_b128 v[46:49], v[86:87], off offset:16
	s_clause 0x1
	global_load_b128 v[50:53], v[21:22], off offset:160
	global_load_b128 v[54:57], v[21:22], off offset:32
	global_load_b128 v[58:61], v[86:87], off offset:32
	s_clause 0x1
	global_load_b128 v[62:65], v[21:22], off offset:48
	global_load_b128 v[66:69], v[21:22], off offset:176
	global_load_b128 v[70:73], v[86:87], off offset:48
	s_clause 0x1
	global_load_b128 v[74:77], v[21:22], off offset:192
	global_load_b128 v[78:81], v[21:22], off offset:64
	global_load_b128 v[82:85], v[86:87], off offset:64
	s_or_b32 s0, vcc_lo, s0
	s_waitcnt vmcnt(12)
	v_fma_f64 v[13:14], v[30:31], v[34:35], v[13:14]
	v_fma_f64 v[10:11], v[32:33], v[34:35], v[11:12]
	v_fma_f64 v[15:16], v[26:27], v[34:35], v[15:16]
	v_fma_f64 v[17:18], v[28:29], v[34:35], v[17:18]
	s_delay_alu instid0(VALU_DEP_4) | instskip(NEXT) | instid1(VALU_DEP_4)
	v_fma_f64 v[32:33], -v[32:33], v[36:37], v[13:14]
	v_fma_f64 v[30:31], v[30:31], v[36:37], v[10:11]
	s_delay_alu instid0(VALU_DEP_4) | instskip(NEXT) | instid1(VALU_DEP_4)
	v_fma_f64 v[34:35], -v[28:29], v[36:37], v[15:16]
	v_fma_f64 v[36:37], v[26:27], v[36:37], v[17:18]
	s_clause 0x1
	global_load_b128 v[10:13], v[21:22], off offset:80
	global_load_b128 v[14:17], v[21:22], off offset:208
	global_load_b128 v[26:29], v[86:87], off offset:80
	s_waitcnt vmcnt(12)
	v_fma_f64 v[32:33], v[38:39], v[46:47], v[32:33]
	v_fma_f64 v[30:31], v[40:41], v[46:47], v[30:31]
	v_fma_f64 v[34:35], v[42:43], v[46:47], v[34:35]
	v_fma_f64 v[36:37], v[44:45], v[46:47], v[36:37]
	s_delay_alu instid0(VALU_DEP_4) | instskip(NEXT) | instid1(VALU_DEP_4)
	v_fma_f64 v[46:47], -v[40:41], v[48:49], v[32:33]
	v_fma_f64 v[88:89], v[38:39], v[48:49], v[30:31]
	s_delay_alu instid0(VALU_DEP_4) | instskip(NEXT) | instid1(VALU_DEP_4)
	v_fma_f64 v[44:45], -v[44:45], v[48:49], v[34:35]
	v_fma_f64 v[42:43], v[42:43], v[48:49], v[36:37]
	s_clause 0x1
	global_load_b128 v[30:33], v[21:22], off offset:224
	global_load_b128 v[34:37], v[21:22], off offset:96
	global_load_b128 v[38:41], v[86:87], off offset:96
	;; [unrolled: 15-line block ×3, first 2 shown]
	s_waitcnt vmcnt(12)
	v_fma_f64 v[21:22], v[62:63], v[70:71], v[56:57]
	v_fma_f64 v[54:55], v[64:65], v[70:71], v[54:55]
	;; [unrolled: 1-line block ×4, first 2 shown]
	s_delay_alu instid0(VALU_DEP_4) | instskip(NEXT) | instid1(VALU_DEP_4)
	v_fma_f64 v[21:22], -v[64:65], v[72:73], v[21:22]
	v_fma_f64 v[54:55], v[62:63], v[72:73], v[54:55]
	s_delay_alu instid0(VALU_DEP_4) | instskip(NEXT) | instid1(VALU_DEP_4)
	v_fma_f64 v[56:57], -v[68:69], v[72:73], v[56:57]
	v_fma_f64 v[58:59], v[66:67], v[72:73], v[58:59]
	s_waitcnt vmcnt(9)
	s_delay_alu instid0(VALU_DEP_4) | instskip(NEXT) | instid1(VALU_DEP_4)
	v_fma_f64 v[21:22], v[78:79], v[82:83], v[21:22]
	v_fma_f64 v[54:55], v[80:81], v[82:83], v[54:55]
	s_delay_alu instid0(VALU_DEP_4) | instskip(NEXT) | instid1(VALU_DEP_4)
	v_fma_f64 v[56:57], v[74:75], v[82:83], v[56:57]
	v_fma_f64 v[58:59], v[76:77], v[82:83], v[58:59]
	s_delay_alu instid0(VALU_DEP_4) | instskip(NEXT) | instid1(VALU_DEP_4)
	v_fma_f64 v[21:22], -v[80:81], v[84:85], v[21:22]
	v_fma_f64 v[54:55], v[78:79], v[84:85], v[54:55]
	s_delay_alu instid0(VALU_DEP_4) | instskip(NEXT) | instid1(VALU_DEP_4)
	v_fma_f64 v[56:57], -v[76:77], v[84:85], v[56:57]
	v_fma_f64 v[58:59], v[74:75], v[84:85], v[58:59]
	s_waitcnt vmcnt(6)
	s_delay_alu instid0(VALU_DEP_4) | instskip(NEXT) | instid1(VALU_DEP_4)
	v_fma_f64 v[21:22], v[10:11], v[26:27], v[21:22]
	v_fma_f64 v[54:55], v[12:13], v[26:27], v[54:55]
	s_delay_alu instid0(VALU_DEP_4) | instskip(NEXT) | instid1(VALU_DEP_4)
	v_fma_f64 v[56:57], v[14:15], v[26:27], v[56:57]
	v_fma_f64 v[26:27], v[16:17], v[26:27], v[58:59]
	;; [unrolled: 13-line block ×4, first 2 shown]
	s_delay_alu instid0(VALU_DEP_4) | instskip(NEXT) | instid1(VALU_DEP_4)
	v_fma_f64 v[13:14], -v[44:45], v[52:53], v[12:13]
	v_fma_f64 v[11:12], v[42:43], v[52:53], v[10:11]
	s_delay_alu instid0(VALU_DEP_4) | instskip(NEXT) | instid1(VALU_DEP_4)
	v_fma_f64 v[15:16], -v[48:49], v[52:53], v[16:17]
	v_fma_f64 v[17:18], v[46:47], v[52:53], v[21:22]
	s_and_not1_b32 exec_lo, exec_lo, s0
	s_cbranch_execnz .LBB260_17
; %bb.18:
	s_or_b32 exec_lo, exec_lo, s0
.LBB260_19:
	s_delay_alu instid0(SALU_CYCLE_1)
	s_or_b32 exec_lo, exec_lo, s1
.LBB260_20:
	v_mbcnt_lo_u32_b32 v26, -1, 0
	s_delay_alu instid0(VALU_DEP_1) | instskip(NEXT) | instid1(VALU_DEP_1)
	v_xor_b32_e32 v9, 8, v26
	v_cmp_gt_i32_e32 vcc_lo, 32, v9
	v_cndmask_b32_e32 v9, v26, v9, vcc_lo
	s_delay_alu instid0(VALU_DEP_1)
	v_lshlrev_b32_e32 v24, 2, v9
	ds_bpermute_b32 v9, v24, v13
	ds_bpermute_b32 v10, v24, v14
	;; [unrolled: 1-line block ×8, first 2 shown]
	s_waitcnt lgkmcnt(6)
	v_add_f64 v[9:10], v[13:14], v[9:10]
	s_waitcnt lgkmcnt(4)
	v_add_f64 v[11:12], v[11:12], v[19:20]
	;; [unrolled: 2-line block ×4, first 2 shown]
	v_xor_b32_e32 v17, 4, v26
	s_delay_alu instid0(VALU_DEP_1) | instskip(SKIP_1) | instid1(VALU_DEP_1)
	v_cmp_gt_i32_e32 vcc_lo, 32, v17
	v_cndmask_b32_e32 v17, v26, v17, vcc_lo
	v_lshlrev_b32_e32 v24, 2, v17
	ds_bpermute_b32 v17, v24, v9
	ds_bpermute_b32 v18, v24, v10
	;; [unrolled: 1-line block ×8, first 2 shown]
	s_waitcnt lgkmcnt(6)
	v_add_f64 v[9:10], v[9:10], v[17:18]
	s_waitcnt lgkmcnt(4)
	v_add_f64 v[11:12], v[11:12], v[19:20]
	;; [unrolled: 2-line block ×4, first 2 shown]
	v_xor_b32_e32 v15, 2, v26
	s_delay_alu instid0(VALU_DEP_1) | instskip(SKIP_1) | instid1(VALU_DEP_1)
	v_cmp_gt_i32_e32 vcc_lo, 32, v15
	v_cndmask_b32_e32 v15, v26, v15, vcc_lo
	v_lshlrev_b32_e32 v24, 2, v15
	ds_bpermute_b32 v15, v24, v9
	ds_bpermute_b32 v16, v24, v10
	ds_bpermute_b32 v19, v24, v11
	ds_bpermute_b32 v20, v24, v12
	ds_bpermute_b32 v21, v24, v13
	ds_bpermute_b32 v22, v24, v14
	ds_bpermute_b32 v23, v24, v17
	ds_bpermute_b32 v24, v24, v18
	s_waitcnt lgkmcnt(6)
	v_add_f64 v[9:10], v[9:10], v[15:16]
	s_waitcnt lgkmcnt(4)
	v_add_f64 v[15:16], v[11:12], v[19:20]
	;; [unrolled: 2-line block ×4, first 2 shown]
	v_xor_b32_e32 v17, 1, v26
	s_delay_alu instid0(VALU_DEP_1) | instskip(SKIP_2) | instid1(VALU_DEP_2)
	v_cmp_gt_i32_e32 vcc_lo, 32, v17
	v_cndmask_b32_e32 v17, v26, v17, vcc_lo
	v_cmp_eq_u32_e32 vcc_lo, 15, v25
	v_lshlrev_b32_e32 v20, 2, v17
	ds_bpermute_b32 v23, v20, v9
	ds_bpermute_b32 v24, v20, v10
	;; [unrolled: 1-line block ×8, first 2 shown]
	s_and_b32 exec_lo, exec_lo, vcc_lo
	s_cbranch_execz .LBB260_25
; %bb.21:
	v_cmp_eq_f64_e32 vcc_lo, 0, v[4:5]
	v_cmp_eq_f64_e64 s0, 0, v[6:7]
	s_waitcnt lgkmcnt(6)
	v_add_f64 v[9:10], v[9:10], v[23:24]
	s_waitcnt lgkmcnt(4)
	v_add_f64 v[15:16], v[15:16], v[21:22]
	;; [unrolled: 2-line block ×4, first 2 shown]
	s_load_b64 s[2:3], s[2:3], 0x48
	s_and_b32 s0, vcc_lo, s0
	s_delay_alu instid0(SALU_CYCLE_1) | instskip(NEXT) | instid1(SALU_CYCLE_1)
	s_and_saveexec_b32 s1, s0
	s_xor_b32 s0, exec_lo, s1
	s_cbranch_execz .LBB260_23
; %bb.22:
	s_delay_alu instid0(VALU_DEP_3) | instskip(SKIP_1) | instid1(VALU_DEP_3)
	v_mul_f64 v[4:5], v[15:16], -v[2:3]
	v_mul_f64 v[6:7], v[0:1], v[15:16]
	v_mul_f64 v[15:16], v[13:14], -v[2:3]
	v_mul_f64 v[13:14], v[0:1], v[13:14]
	v_lshlrev_b32_e32 v8, 1, v8
	v_fma_f64 v[4:5], v[0:1], v[9:10], v[4:5]
	v_fma_f64 v[6:7], v[2:3], v[9:10], v[6:7]
	;; [unrolled: 1-line block ×4, first 2 shown]
	v_ashrrev_i32_e32 v9, 31, v8
                                        ; implicit-def: $vgpr15_vgpr16
                                        ; implicit-def: $vgpr11_vgpr12
                                        ; implicit-def: $vgpr13_vgpr14
	s_delay_alu instid0(VALU_DEP_1) | instskip(SKIP_1) | instid1(VALU_DEP_1)
	v_lshlrev_b64 v[8:9], 4, v[8:9]
	s_waitcnt lgkmcnt(0)
	v_add_co_u32 v8, vcc_lo, s2, v8
	s_delay_alu instid0(VALU_DEP_2)
	v_add_co_ci_u32_e32 v9, vcc_lo, s3, v9, vcc_lo
	s_clause 0x1
	global_store_b128 v[8:9], v[4:7], off
	global_store_b128 v[8:9], v[0:3], off offset:16
                                        ; implicit-def: $vgpr0_vgpr1
                                        ; implicit-def: $vgpr2_vgpr3
                                        ; implicit-def: $vgpr4_vgpr5
                                        ; implicit-def: $vgpr6_vgpr7
                                        ; implicit-def: $vgpr8
                                        ; implicit-def: $vgpr9_vgpr10
.LBB260_23:
	s_and_not1_saveexec_b32 s0, s0
	s_cbranch_execz .LBB260_25
; %bb.24:
	v_lshlrev_b32_e32 v17, 1, v8
	s_delay_alu instid0(VALU_DEP_4) | instskip(SKIP_1) | instid1(VALU_DEP_4)
	v_mul_f64 v[27:28], v[15:16], -v[2:3]
	v_mul_f64 v[15:16], v[0:1], v[15:16]
	v_mul_f64 v[29:30], v[13:14], -v[2:3]
	v_mul_f64 v[13:14], v[0:1], v[13:14]
	v_ashrrev_i32_e32 v18, 31, v17
	s_delay_alu instid0(VALU_DEP_1) | instskip(SKIP_1) | instid1(VALU_DEP_1)
	v_lshlrev_b64 v[17:18], 4, v[17:18]
	s_waitcnt lgkmcnt(0)
	v_add_co_u32 v25, vcc_lo, s2, v17
	s_delay_alu instid0(VALU_DEP_2)
	v_add_co_ci_u32_e32 v26, vcc_lo, s3, v18, vcc_lo
	s_clause 0x1
	global_load_b128 v[17:20], v[25:26], off
	global_load_b128 v[21:24], v[25:26], off offset:16
	v_fma_f64 v[27:28], v[0:1], v[9:10], v[27:28]
	v_fma_f64 v[8:9], v[2:3], v[9:10], v[15:16]
	;; [unrolled: 1-line block ×4, first 2 shown]
	s_waitcnt vmcnt(1)
	s_delay_alu instid0(VALU_DEP_4) | instskip(NEXT) | instid1(VALU_DEP_4)
	v_fma_f64 v[10:11], v[4:5], v[17:18], v[27:28]
	v_fma_f64 v[8:9], v[6:7], v[17:18], v[8:9]
	s_waitcnt vmcnt(0)
	s_delay_alu instid0(VALU_DEP_4) | instskip(NEXT) | instid1(VALU_DEP_4)
	v_fma_f64 v[12:13], v[4:5], v[21:22], v[0:1]
	v_fma_f64 v[14:15], v[6:7], v[21:22], v[2:3]
	s_delay_alu instid0(VALU_DEP_4) | instskip(NEXT) | instid1(VALU_DEP_4)
	v_fma_f64 v[0:1], -v[6:7], v[19:20], v[10:11]
	v_fma_f64 v[2:3], v[4:5], v[19:20], v[8:9]
	s_delay_alu instid0(VALU_DEP_4) | instskip(NEXT) | instid1(VALU_DEP_4)
	v_fma_f64 v[6:7], -v[6:7], v[23:24], v[12:13]
	v_fma_f64 v[8:9], v[4:5], v[23:24], v[14:15]
	s_clause 0x1
	global_store_b128 v[25:26], v[0:3], off
	global_store_b128 v[25:26], v[6:9], off offset:16
.LBB260_25:
	s_nop 0
	s_sendmsg sendmsg(MSG_DEALLOC_VGPRS)
	s_endpgm
	.section	.rodata,"a",@progbits
	.p2align	6, 0x0
	.amdhsa_kernel _ZN9rocsparseL19gebsrmvn_2xn_kernelILj128ELj8ELj16E21rocsparse_complex_numIdEEEvi20rocsparse_direction_NS_24const_host_device_scalarIT2_EEPKiS8_PKS5_SA_S6_PS5_21rocsparse_index_base_b
		.amdhsa_group_segment_fixed_size 2048
		.amdhsa_private_segment_fixed_size 0
		.amdhsa_kernarg_size 88
		.amdhsa_user_sgpr_count 15
		.amdhsa_user_sgpr_dispatch_ptr 1
		.amdhsa_user_sgpr_queue_ptr 0
		.amdhsa_user_sgpr_kernarg_segment_ptr 1
		.amdhsa_user_sgpr_dispatch_id 0
		.amdhsa_user_sgpr_private_segment_size 0
		.amdhsa_wavefront_size32 1
		.amdhsa_uses_dynamic_stack 0
		.amdhsa_enable_private_segment 0
		.amdhsa_system_sgpr_workgroup_id_x 1
		.amdhsa_system_sgpr_workgroup_id_y 0
		.amdhsa_system_sgpr_workgroup_id_z 0
		.amdhsa_system_sgpr_workgroup_info 0
		.amdhsa_system_vgpr_workitem_id 2
		.amdhsa_next_free_vgpr 94
		.amdhsa_next_free_sgpr 18
		.amdhsa_reserve_vcc 1
		.amdhsa_float_round_mode_32 0
		.amdhsa_float_round_mode_16_64 0
		.amdhsa_float_denorm_mode_32 3
		.amdhsa_float_denorm_mode_16_64 3
		.amdhsa_dx10_clamp 1
		.amdhsa_ieee_mode 1
		.amdhsa_fp16_overflow 0
		.amdhsa_workgroup_processor_mode 1
		.amdhsa_memory_ordered 1
		.amdhsa_forward_progress 0
		.amdhsa_shared_vgpr_count 0
		.amdhsa_exception_fp_ieee_invalid_op 0
		.amdhsa_exception_fp_denorm_src 0
		.amdhsa_exception_fp_ieee_div_zero 0
		.amdhsa_exception_fp_ieee_overflow 0
		.amdhsa_exception_fp_ieee_underflow 0
		.amdhsa_exception_fp_ieee_inexact 0
		.amdhsa_exception_int_div_zero 0
	.end_amdhsa_kernel
	.section	.text._ZN9rocsparseL19gebsrmvn_2xn_kernelILj128ELj8ELj16E21rocsparse_complex_numIdEEEvi20rocsparse_direction_NS_24const_host_device_scalarIT2_EEPKiS8_PKS5_SA_S6_PS5_21rocsparse_index_base_b,"axG",@progbits,_ZN9rocsparseL19gebsrmvn_2xn_kernelILj128ELj8ELj16E21rocsparse_complex_numIdEEEvi20rocsparse_direction_NS_24const_host_device_scalarIT2_EEPKiS8_PKS5_SA_S6_PS5_21rocsparse_index_base_b,comdat
.Lfunc_end260:
	.size	_ZN9rocsparseL19gebsrmvn_2xn_kernelILj128ELj8ELj16E21rocsparse_complex_numIdEEEvi20rocsparse_direction_NS_24const_host_device_scalarIT2_EEPKiS8_PKS5_SA_S6_PS5_21rocsparse_index_base_b, .Lfunc_end260-_ZN9rocsparseL19gebsrmvn_2xn_kernelILj128ELj8ELj16E21rocsparse_complex_numIdEEEvi20rocsparse_direction_NS_24const_host_device_scalarIT2_EEPKiS8_PKS5_SA_S6_PS5_21rocsparse_index_base_b
                                        ; -- End function
	.section	.AMDGPU.csdata,"",@progbits
; Kernel info:
; codeLenInByte = 3680
; NumSgprs: 20
; NumVgprs: 94
; ScratchSize: 0
; MemoryBound: 1
; FloatMode: 240
; IeeeMode: 1
; LDSByteSize: 2048 bytes/workgroup (compile time only)
; SGPRBlocks: 2
; VGPRBlocks: 11
; NumSGPRsForWavesPerEU: 20
; NumVGPRsForWavesPerEU: 94
; Occupancy: 16
; WaveLimiterHint : 1
; COMPUTE_PGM_RSRC2:SCRATCH_EN: 0
; COMPUTE_PGM_RSRC2:USER_SGPR: 15
; COMPUTE_PGM_RSRC2:TRAP_HANDLER: 0
; COMPUTE_PGM_RSRC2:TGID_X_EN: 1
; COMPUTE_PGM_RSRC2:TGID_Y_EN: 0
; COMPUTE_PGM_RSRC2:TGID_Z_EN: 0
; COMPUTE_PGM_RSRC2:TIDIG_COMP_CNT: 2
	.section	.text._ZN9rocsparseL19gebsrmvn_2xn_kernelILj128ELj8ELj32E21rocsparse_complex_numIdEEEvi20rocsparse_direction_NS_24const_host_device_scalarIT2_EEPKiS8_PKS5_SA_S6_PS5_21rocsparse_index_base_b,"axG",@progbits,_ZN9rocsparseL19gebsrmvn_2xn_kernelILj128ELj8ELj32E21rocsparse_complex_numIdEEEvi20rocsparse_direction_NS_24const_host_device_scalarIT2_EEPKiS8_PKS5_SA_S6_PS5_21rocsparse_index_base_b,comdat
	.globl	_ZN9rocsparseL19gebsrmvn_2xn_kernelILj128ELj8ELj32E21rocsparse_complex_numIdEEEvi20rocsparse_direction_NS_24const_host_device_scalarIT2_EEPKiS8_PKS5_SA_S6_PS5_21rocsparse_index_base_b ; -- Begin function _ZN9rocsparseL19gebsrmvn_2xn_kernelILj128ELj8ELj32E21rocsparse_complex_numIdEEEvi20rocsparse_direction_NS_24const_host_device_scalarIT2_EEPKiS8_PKS5_SA_S6_PS5_21rocsparse_index_base_b
	.p2align	8
	.type	_ZN9rocsparseL19gebsrmvn_2xn_kernelILj128ELj8ELj32E21rocsparse_complex_numIdEEEvi20rocsparse_direction_NS_24const_host_device_scalarIT2_EEPKiS8_PKS5_SA_S6_PS5_21rocsparse_index_base_b,@function
_ZN9rocsparseL19gebsrmvn_2xn_kernelILj128ELj8ELj32E21rocsparse_complex_numIdEEEvi20rocsparse_direction_NS_24const_host_device_scalarIT2_EEPKiS8_PKS5_SA_S6_PS5_21rocsparse_index_base_b: ; @_ZN9rocsparseL19gebsrmvn_2xn_kernelILj128ELj8ELj32E21rocsparse_complex_numIdEEEvi20rocsparse_direction_NS_24const_host_device_scalarIT2_EEPKiS8_PKS5_SA_S6_PS5_21rocsparse_index_base_b
; %bb.0:
	s_load_b64 s[12:13], s[2:3], 0x50
	s_load_b64 s[16:17], s[0:1], 0x4
	s_load_b128 s[8:11], s[2:3], 0x8
	v_bfe_u32 v1, v0, 10, 10
	s_mov_b64 s[0:1], src_shared_base
	s_load_b128 s[4:7], s[2:3], 0x38
	v_and_b32_e32 v10, 0x3ff, v0
	v_bfe_u32 v0, v0, 20, 10
	s_waitcnt lgkmcnt(0)
	s_bitcmp1_b32 s13, 0
	v_mul_u32_u24_e32 v1, s17, v1
	s_cselect_b32 s0, -1, 0
	s_delay_alu instid0(SALU_CYCLE_1)
	s_and_b32 vcc_lo, s0, exec_lo
	s_cselect_b32 s13, s1, s9
	s_lshr_b32 s14, s16, 16
	v_dual_mov_b32 v2, s4 :: v_dual_mov_b32 v3, s5
	s_mul_i32 s14, s14, s17
	v_mov_b32_e32 v6, s13
	v_mad_u32_u24 v1, s14, v10, v1
	s_delay_alu instid0(VALU_DEP_1) | instskip(SKIP_1) | instid1(VALU_DEP_2)
	v_add_lshl_u32 v4, v1, v0, 3
	v_dual_mov_b32 v0, s8 :: v_dual_mov_b32 v1, s9
	v_add_nc_u32_e32 v5, 0x400, v4
	ds_store_2addr_stride64_b64 v4, v[2:3], v[0:1] offset1:2
	v_dual_mov_b32 v2, s10 :: v_dual_mov_b32 v3, s11
	v_cndmask_b32_e64 v5, s8, v5, s0
	s_xor_b32 s10, s0, -1
	flat_load_b64 v[0:1], v[5:6]
	s_cbranch_vccnz .LBB261_2
; %bb.1:
	v_dual_mov_b32 v2, s8 :: v_dual_mov_b32 v3, s9
	flat_load_b64 v[2:3], v[2:3] offset:8
.LBB261_2:
	s_and_b32 s8, s0, exec_lo
	s_cselect_b32 s1, s1, s5
	v_cndmask_b32_e64 v4, s4, v4, s0
	v_dual_mov_b32 v5, s1 :: v_dual_mov_b32 v6, s6
	v_mov_b32_e32 v7, s7
	s_and_not1_b32 vcc_lo, exec_lo, s10
	flat_load_b64 v[4:5], v[4:5]
	s_cbranch_vccnz .LBB261_4
; %bb.3:
	v_dual_mov_b32 v7, s5 :: v_dual_mov_b32 v6, s4
	flat_load_b64 v[6:7], v[6:7] offset:8
.LBB261_4:
	s_waitcnt vmcnt(1) lgkmcnt(1)
	v_cmp_eq_f64_e32 vcc_lo, 0, v[0:1]
	v_cmp_eq_f64_e64 s0, 0, v[2:3]
	s_delay_alu instid0(VALU_DEP_1)
	s_and_b32 s4, vcc_lo, s0
	s_mov_b32 s0, -1
	s_and_saveexec_b32 s1, s4
	s_cbranch_execz .LBB261_6
; %bb.5:
	s_waitcnt vmcnt(0) lgkmcnt(0)
	v_cmp_neq_f64_e32 vcc_lo, 1.0, v[4:5]
	v_cmp_neq_f64_e64 s0, 0, v[6:7]
	s_delay_alu instid0(VALU_DEP_1) | instskip(NEXT) | instid1(SALU_CYCLE_1)
	s_or_b32 s0, vcc_lo, s0
	s_or_not1_b32 s0, s0, exec_lo
.LBB261_6:
	s_or_b32 exec_lo, exec_lo, s1
	s_and_saveexec_b32 s1, s0
	s_cbranch_execz .LBB261_25
; %bb.7:
	s_load_b64 s[0:1], s[2:3], 0x0
	v_lshrrev_b32_e32 v8, 5, v10
	s_delay_alu instid0(VALU_DEP_1) | instskip(SKIP_1) | instid1(VALU_DEP_1)
	v_lshl_or_b32 v8, s15, 2, v8
	s_waitcnt lgkmcnt(0)
	v_cmp_gt_i32_e32 vcc_lo, s0, v8
	s_and_b32 exec_lo, exec_lo, vcc_lo
	s_cbranch_execz .LBB261_25
; %bb.8:
	s_load_b256 s[4:11], s[2:3], 0x18
	v_ashrrev_i32_e32 v9, 31, v8
	v_and_b32_e32 v25, 31, v10
	s_cmp_lg_u32 s1, 0
	s_delay_alu instid0(VALU_DEP_2) | instskip(SKIP_1) | instid1(VALU_DEP_1)
	v_lshlrev_b64 v[11:12], 2, v[8:9]
	s_waitcnt lgkmcnt(0)
	v_add_co_u32 v11, vcc_lo, s4, v11
	s_delay_alu instid0(VALU_DEP_2) | instskip(SKIP_4) | instid1(VALU_DEP_2)
	v_add_co_ci_u32_e32 v12, vcc_lo, s5, v12, vcc_lo
	global_load_b64 v[11:12], v[11:12], off
	s_waitcnt vmcnt(0)
	v_subrev_nc_u32_e32 v9, s12, v11
	v_subrev_nc_u32_e32 v23, s12, v12
	v_add_nc_u32_e32 v9, v9, v25
	s_delay_alu instid0(VALU_DEP_1)
	v_cmp_lt_i32_e64 s0, v9, v23
	s_cbranch_scc0 .LBB261_14
; %bb.9:
	v_mov_b32_e32 v11, 0
	v_mov_b32_e32 v12, 0
	s_delay_alu instid0(VALU_DEP_1)
	v_dual_mov_b32 v14, v12 :: v_dual_mov_b32 v13, v11
	v_dual_mov_b32 v16, v12 :: v_dual_mov_b32 v15, v11
	;; [unrolled: 1-line block ×3, first 2 shown]
	s_and_saveexec_b32 s1, s0
	s_cbranch_execz .LBB261_13
; %bb.10:
	v_dual_mov_b32 v11, 0 :: v_dual_mov_b32 v20, 0
	v_dual_mov_b32 v12, 0 :: v_dual_lshlrev_b32 v19, 4, v9
	v_mov_b32_e32 v21, v9
	s_mov_b32 s4, 0
	s_delay_alu instid0(VALU_DEP_2)
	v_dual_mov_b32 v14, v12 :: v_dual_mov_b32 v13, v11
	v_dual_mov_b32 v16, v12 :: v_dual_mov_b32 v15, v11
	;; [unrolled: 1-line block ×3, first 2 shown]
.LBB261_11:                             ; =>This Inner Loop Header: Depth=1
	v_ashrrev_i32_e32 v22, 31, v21
	s_delay_alu instid0(VALU_DEP_1) | instskip(SKIP_1) | instid1(VALU_DEP_2)
	v_lshlrev_b64 v[26:27], 2, v[21:22]
	v_add_nc_u32_e32 v21, 32, v21
	v_add_co_u32 v26, vcc_lo, s6, v26
	s_delay_alu instid0(VALU_DEP_3) | instskip(SKIP_3) | instid1(VALU_DEP_2)
	v_add_co_ci_u32_e32 v27, vcc_lo, s7, v27, vcc_lo
	global_load_b32 v10, v[26:27], off
	v_lshlrev_b64 v[26:27], 4, v[19:20]
	v_add_nc_u32_e32 v19, 0x200, v19
	v_add_co_u32 v90, vcc_lo, s8, v26
	s_delay_alu instid0(VALU_DEP_3) | instskip(SKIP_3) | instid1(VALU_DEP_1)
	v_add_co_ci_u32_e32 v91, vcc_lo, s9, v27, vcc_lo
	global_load_b128 v[26:29], v[90:91], off offset:16
	s_waitcnt vmcnt(1)
	v_subrev_nc_u32_e32 v10, s12, v10
	v_dual_mov_b32 v31, v20 :: v_dual_lshlrev_b32 v30, 3, v10
	s_delay_alu instid0(VALU_DEP_1) | instskip(NEXT) | instid1(VALU_DEP_1)
	v_lshlrev_b64 v[30:31], 4, v[30:31]
	v_add_co_u32 v92, vcc_lo, s10, v30
	s_delay_alu instid0(VALU_DEP_2)
	v_add_co_ci_u32_e32 v93, vcc_lo, s11, v31, vcc_lo
	v_cmp_ge_i32_e32 vcc_lo, v21, v23
	global_load_b128 v[30:33], v[90:91], off
	s_clause 0x1
	global_load_b128 v[34:37], v[92:93], off
	global_load_b128 v[38:41], v[92:93], off offset:16
	s_clause 0x3
	global_load_b128 v[42:45], v[90:91], off offset:32
	global_load_b128 v[46:49], v[90:91], off offset:48
	;; [unrolled: 1-line block ×4, first 2 shown]
	s_clause 0x1
	global_load_b128 v[58:61], v[92:93], off offset:32
	global_load_b128 v[62:65], v[92:93], off offset:48
	s_clause 0x3
	global_load_b128 v[66:69], v[90:91], off offset:96
	global_load_b128 v[70:73], v[90:91], off offset:112
	;; [unrolled: 1-line block ×4, first 2 shown]
	s_clause 0x1
	global_load_b128 v[82:85], v[92:93], off offset:64
	global_load_b128 v[86:89], v[92:93], off offset:80
	s_or_b32 s4, vcc_lo, s4
	s_waitcnt vmcnt(13)
	v_fma_f64 v[13:14], v[30:31], v[34:35], v[13:14]
	v_fma_f64 v[10:11], v[32:33], v[34:35], v[11:12]
	;; [unrolled: 1-line block ×4, first 2 shown]
	s_delay_alu instid0(VALU_DEP_4) | instskip(NEXT) | instid1(VALU_DEP_4)
	v_fma_f64 v[32:33], -v[32:33], v[36:37], v[13:14]
	v_fma_f64 v[30:31], v[30:31], v[36:37], v[10:11]
	s_delay_alu instid0(VALU_DEP_4) | instskip(NEXT) | instid1(VALU_DEP_4)
	v_fma_f64 v[28:29], -v[28:29], v[36:37], v[15:16]
	v_fma_f64 v[26:27], v[26:27], v[36:37], v[17:18]
	s_clause 0x1
	global_load_b128 v[10:13], v[90:91], off offset:160
	global_load_b128 v[14:17], v[90:91], off offset:176
	s_waitcnt vmcnt(13)
	v_fma_f64 v[32:33], v[42:43], v[38:39], v[32:33]
	v_fma_f64 v[30:31], v[44:45], v[38:39], v[30:31]
	s_waitcnt vmcnt(12)
	v_fma_f64 v[28:29], v[46:47], v[38:39], v[28:29]
	v_fma_f64 v[26:27], v[48:49], v[38:39], v[26:27]
	s_delay_alu instid0(VALU_DEP_4) | instskip(NEXT) | instid1(VALU_DEP_4)
	v_fma_f64 v[44:45], -v[44:45], v[40:41], v[32:33]
	v_fma_f64 v[42:43], v[42:43], v[40:41], v[30:31]
	s_delay_alu instid0(VALU_DEP_4) | instskip(NEXT) | instid1(VALU_DEP_4)
	v_fma_f64 v[48:49], -v[48:49], v[40:41], v[28:29]
	v_fma_f64 v[46:47], v[46:47], v[40:41], v[26:27]
	s_clause 0x1
	global_load_b128 v[26:29], v[90:91], off offset:208
	global_load_b128 v[30:33], v[90:91], off offset:192
	s_clause 0x1
	global_load_b128 v[34:37], v[92:93], off offset:96
	global_load_b128 v[38:41], v[92:93], off offset:112
	s_waitcnt vmcnt(13)
	v_fma_f64 v[44:45], v[54:55], v[58:59], v[44:45]
	v_fma_f64 v[42:43], v[56:57], v[58:59], v[42:43]
	;; [unrolled: 1-line block ×4, first 2 shown]
	s_delay_alu instid0(VALU_DEP_4) | instskip(NEXT) | instid1(VALU_DEP_4)
	v_fma_f64 v[56:57], -v[56:57], v[60:61], v[44:45]
	v_fma_f64 v[54:55], v[54:55], v[60:61], v[42:43]
	s_delay_alu instid0(VALU_DEP_4) | instskip(NEXT) | instid1(VALU_DEP_4)
	v_fma_f64 v[52:53], -v[52:53], v[60:61], v[48:49]
	v_fma_f64 v[50:51], v[50:51], v[60:61], v[46:47]
	s_clause 0x1
	global_load_b128 v[42:45], v[90:91], off offset:224
	global_load_b128 v[46:49], v[90:91], off offset:240
	s_waitcnt vmcnt(13)
	v_fma_f64 v[56:57], v[66:67], v[62:63], v[56:57]
	v_fma_f64 v[54:55], v[68:69], v[62:63], v[54:55]
	s_waitcnt vmcnt(12)
	v_fma_f64 v[52:53], v[70:71], v[62:63], v[52:53]
	v_fma_f64 v[50:51], v[72:73], v[62:63], v[50:51]
	s_delay_alu instid0(VALU_DEP_4) | instskip(NEXT) | instid1(VALU_DEP_4)
	v_fma_f64 v[56:57], -v[68:69], v[64:65], v[56:57]
	v_fma_f64 v[54:55], v[66:67], v[64:65], v[54:55]
	s_delay_alu instid0(VALU_DEP_4) | instskip(NEXT) | instid1(VALU_DEP_4)
	v_fma_f64 v[52:53], -v[72:73], v[64:65], v[52:53]
	v_fma_f64 v[50:51], v[70:71], v[64:65], v[50:51]
	s_waitcnt vmcnt(9)
	s_delay_alu instid0(VALU_DEP_4) | instskip(NEXT) | instid1(VALU_DEP_4)
	v_fma_f64 v[56:57], v[78:79], v[82:83], v[56:57]
	v_fma_f64 v[54:55], v[80:81], v[82:83], v[54:55]
	s_delay_alu instid0(VALU_DEP_4) | instskip(NEXT) | instid1(VALU_DEP_4)
	v_fma_f64 v[52:53], v[74:75], v[82:83], v[52:53]
	v_fma_f64 v[50:51], v[76:77], v[82:83], v[50:51]
	s_delay_alu instid0(VALU_DEP_4) | instskip(NEXT) | instid1(VALU_DEP_4)
	v_fma_f64 v[56:57], -v[80:81], v[84:85], v[56:57]
	v_fma_f64 v[54:55], v[78:79], v[84:85], v[54:55]
	s_delay_alu instid0(VALU_DEP_4) | instskip(NEXT) | instid1(VALU_DEP_4)
	v_fma_f64 v[52:53], -v[76:77], v[84:85], v[52:53]
	v_fma_f64 v[50:51], v[74:75], v[84:85], v[50:51]
	s_waitcnt vmcnt(7)
	s_delay_alu instid0(VALU_DEP_4) | instskip(NEXT) | instid1(VALU_DEP_4)
	v_fma_f64 v[56:57], v[10:11], v[86:87], v[56:57]
	v_fma_f64 v[54:55], v[12:13], v[86:87], v[54:55]
	s_waitcnt vmcnt(6)
	s_delay_alu instid0(VALU_DEP_4) | instskip(NEXT) | instid1(VALU_DEP_4)
	v_fma_f64 v[52:53], v[14:15], v[86:87], v[52:53]
	v_fma_f64 v[50:51], v[16:17], v[86:87], v[50:51]
	s_delay_alu instid0(VALU_DEP_4) | instskip(NEXT) | instid1(VALU_DEP_4)
	v_fma_f64 v[12:13], -v[12:13], v[88:89], v[56:57]
	v_fma_f64 v[10:11], v[10:11], v[88:89], v[54:55]
	s_delay_alu instid0(VALU_DEP_4) | instskip(NEXT) | instid1(VALU_DEP_4)
	v_fma_f64 v[16:17], -v[16:17], v[88:89], v[52:53]
	v_fma_f64 v[14:15], v[14:15], v[88:89], v[50:51]
	s_waitcnt vmcnt(3)
	s_delay_alu instid0(VALU_DEP_4) | instskip(NEXT) | instid1(VALU_DEP_4)
	v_fma_f64 v[12:13], v[30:31], v[34:35], v[12:13]
	v_fma_f64 v[10:11], v[32:33], v[34:35], v[10:11]
	s_delay_alu instid0(VALU_DEP_4) | instskip(NEXT) | instid1(VALU_DEP_4)
	v_fma_f64 v[16:17], v[26:27], v[34:35], v[16:17]
	v_fma_f64 v[14:15], v[28:29], v[34:35], v[14:15]
	s_delay_alu instid0(VALU_DEP_4) | instskip(NEXT) | instid1(VALU_DEP_4)
	v_fma_f64 v[12:13], -v[32:33], v[36:37], v[12:13]
	v_fma_f64 v[10:11], v[30:31], v[36:37], v[10:11]
	s_delay_alu instid0(VALU_DEP_4) | instskip(NEXT) | instid1(VALU_DEP_4)
	v_fma_f64 v[16:17], -v[28:29], v[36:37], v[16:17]
	v_fma_f64 v[14:15], v[26:27], v[36:37], v[14:15]
	s_waitcnt vmcnt(1)
	s_delay_alu instid0(VALU_DEP_4) | instskip(NEXT) | instid1(VALU_DEP_4)
	v_fma_f64 v[12:13], v[42:43], v[38:39], v[12:13]
	v_fma_f64 v[10:11], v[44:45], v[38:39], v[10:11]
	s_waitcnt vmcnt(0)
	s_delay_alu instid0(VALU_DEP_4) | instskip(NEXT) | instid1(VALU_DEP_4)
	v_fma_f64 v[16:17], v[46:47], v[38:39], v[16:17]
	v_fma_f64 v[26:27], v[48:49], v[38:39], v[14:15]
	s_delay_alu instid0(VALU_DEP_4) | instskip(NEXT) | instid1(VALU_DEP_4)
	v_fma_f64 v[13:14], -v[44:45], v[40:41], v[12:13]
	v_fma_f64 v[11:12], v[42:43], v[40:41], v[10:11]
	s_delay_alu instid0(VALU_DEP_4) | instskip(NEXT) | instid1(VALU_DEP_4)
	v_fma_f64 v[15:16], -v[48:49], v[40:41], v[16:17]
	v_fma_f64 v[17:18], v[46:47], v[40:41], v[26:27]
	s_and_not1_b32 exec_lo, exec_lo, s4
	s_cbranch_execnz .LBB261_11
; %bb.12:
	s_or_b32 exec_lo, exec_lo, s4
.LBB261_13:
	s_delay_alu instid0(SALU_CYCLE_1)
	s_or_b32 exec_lo, exec_lo, s1
	s_cbranch_execz .LBB261_15
	s_branch .LBB261_20
.LBB261_14:
                                        ; implicit-def: $vgpr11_vgpr12
                                        ; implicit-def: $vgpr13_vgpr14
                                        ; implicit-def: $vgpr15_vgpr16
                                        ; implicit-def: $vgpr17_vgpr18
.LBB261_15:
	v_mov_b32_e32 v11, 0
	v_mov_b32_e32 v12, 0
	s_delay_alu instid0(VALU_DEP_1)
	v_dual_mov_b32 v14, v12 :: v_dual_mov_b32 v13, v11
	v_dual_mov_b32 v16, v12 :: v_dual_mov_b32 v15, v11
	;; [unrolled: 1-line block ×3, first 2 shown]
	s_and_saveexec_b32 s1, s0
	s_cbranch_execz .LBB261_19
; %bb.16:
	v_dual_mov_b32 v11, 0 :: v_dual_mov_b32 v20, 0
	v_dual_mov_b32 v12, 0 :: v_dual_lshlrev_b32 v19, 4, v9
	s_mov_b32 s0, 0
	s_delay_alu instid0(VALU_DEP_1)
	v_dual_mov_b32 v14, v12 :: v_dual_mov_b32 v13, v11
	v_dual_mov_b32 v16, v12 :: v_dual_mov_b32 v15, v11
	;; [unrolled: 1-line block ×3, first 2 shown]
.LBB261_17:                             ; =>This Inner Loop Header: Depth=1
	v_ashrrev_i32_e32 v10, 31, v9
	s_delay_alu instid0(VALU_DEP_1) | instskip(SKIP_1) | instid1(VALU_DEP_2)
	v_lshlrev_b64 v[21:22], 2, v[9:10]
	v_add_nc_u32_e32 v9, 32, v9
	v_add_co_u32 v21, vcc_lo, s6, v21
	s_delay_alu instid0(VALU_DEP_3) | instskip(SKIP_3) | instid1(VALU_DEP_2)
	v_add_co_ci_u32_e32 v22, vcc_lo, s7, v22, vcc_lo
	global_load_b32 v10, v[21:22], off
	v_lshlrev_b64 v[21:22], 4, v[19:20]
	v_add_nc_u32_e32 v19, 0x200, v19
	v_add_co_u32 v21, vcc_lo, s8, v21
	s_delay_alu instid0(VALU_DEP_3) | instskip(SKIP_3) | instid1(VALU_DEP_1)
	v_add_co_ci_u32_e32 v22, vcc_lo, s9, v22, vcc_lo
	global_load_b128 v[26:29], v[21:22], off offset:128
	s_waitcnt vmcnt(1)
	v_subrev_nc_u32_e32 v10, s12, v10
	v_dual_mov_b32 v31, v20 :: v_dual_lshlrev_b32 v30, 3, v10
	s_delay_alu instid0(VALU_DEP_1) | instskip(NEXT) | instid1(VALU_DEP_1)
	v_lshlrev_b64 v[30:31], 4, v[30:31]
	v_add_co_u32 v86, vcc_lo, s10, v30
	s_delay_alu instid0(VALU_DEP_2)
	v_add_co_ci_u32_e32 v87, vcc_lo, s11, v31, vcc_lo
	v_cmp_ge_i32_e32 vcc_lo, v9, v23
	global_load_b128 v[30:33], v[21:22], off
	global_load_b128 v[34:37], v[86:87], off
	s_clause 0x1
	global_load_b128 v[38:41], v[21:22], off offset:16
	global_load_b128 v[42:45], v[21:22], off offset:144
	global_load_b128 v[46:49], v[86:87], off offset:16
	s_clause 0x1
	global_load_b128 v[50:53], v[21:22], off offset:160
	global_load_b128 v[54:57], v[21:22], off offset:32
	global_load_b128 v[58:61], v[86:87], off offset:32
	;; [unrolled: 4-line block ×4, first 2 shown]
	s_or_b32 s0, vcc_lo, s0
	s_waitcnt vmcnt(12)
	v_fma_f64 v[13:14], v[30:31], v[34:35], v[13:14]
	v_fma_f64 v[10:11], v[32:33], v[34:35], v[11:12]
	v_fma_f64 v[15:16], v[26:27], v[34:35], v[15:16]
	v_fma_f64 v[17:18], v[28:29], v[34:35], v[17:18]
	s_delay_alu instid0(VALU_DEP_4) | instskip(NEXT) | instid1(VALU_DEP_4)
	v_fma_f64 v[32:33], -v[32:33], v[36:37], v[13:14]
	v_fma_f64 v[30:31], v[30:31], v[36:37], v[10:11]
	s_delay_alu instid0(VALU_DEP_4) | instskip(NEXT) | instid1(VALU_DEP_4)
	v_fma_f64 v[34:35], -v[28:29], v[36:37], v[15:16]
	v_fma_f64 v[36:37], v[26:27], v[36:37], v[17:18]
	s_clause 0x1
	global_load_b128 v[10:13], v[21:22], off offset:80
	global_load_b128 v[14:17], v[21:22], off offset:208
	global_load_b128 v[26:29], v[86:87], off offset:80
	s_waitcnt vmcnt(12)
	v_fma_f64 v[32:33], v[38:39], v[46:47], v[32:33]
	v_fma_f64 v[30:31], v[40:41], v[46:47], v[30:31]
	v_fma_f64 v[34:35], v[42:43], v[46:47], v[34:35]
	v_fma_f64 v[36:37], v[44:45], v[46:47], v[36:37]
	s_delay_alu instid0(VALU_DEP_4) | instskip(NEXT) | instid1(VALU_DEP_4)
	v_fma_f64 v[46:47], -v[40:41], v[48:49], v[32:33]
	v_fma_f64 v[88:89], v[38:39], v[48:49], v[30:31]
	s_delay_alu instid0(VALU_DEP_4) | instskip(NEXT) | instid1(VALU_DEP_4)
	v_fma_f64 v[44:45], -v[44:45], v[48:49], v[34:35]
	v_fma_f64 v[42:43], v[42:43], v[48:49], v[36:37]
	s_clause 0x1
	global_load_b128 v[30:33], v[21:22], off offset:224
	global_load_b128 v[34:37], v[21:22], off offset:96
	global_load_b128 v[38:41], v[86:87], off offset:96
	;; [unrolled: 15-line block ×3, first 2 shown]
	s_waitcnt vmcnt(12)
	v_fma_f64 v[21:22], v[62:63], v[70:71], v[56:57]
	v_fma_f64 v[54:55], v[64:65], v[70:71], v[54:55]
	;; [unrolled: 1-line block ×4, first 2 shown]
	s_delay_alu instid0(VALU_DEP_4) | instskip(NEXT) | instid1(VALU_DEP_4)
	v_fma_f64 v[21:22], -v[64:65], v[72:73], v[21:22]
	v_fma_f64 v[54:55], v[62:63], v[72:73], v[54:55]
	s_delay_alu instid0(VALU_DEP_4) | instskip(NEXT) | instid1(VALU_DEP_4)
	v_fma_f64 v[56:57], -v[68:69], v[72:73], v[56:57]
	v_fma_f64 v[58:59], v[66:67], v[72:73], v[58:59]
	s_waitcnt vmcnt(9)
	s_delay_alu instid0(VALU_DEP_4) | instskip(NEXT) | instid1(VALU_DEP_4)
	v_fma_f64 v[21:22], v[78:79], v[82:83], v[21:22]
	v_fma_f64 v[54:55], v[80:81], v[82:83], v[54:55]
	s_delay_alu instid0(VALU_DEP_4) | instskip(NEXT) | instid1(VALU_DEP_4)
	v_fma_f64 v[56:57], v[74:75], v[82:83], v[56:57]
	v_fma_f64 v[58:59], v[76:77], v[82:83], v[58:59]
	s_delay_alu instid0(VALU_DEP_4) | instskip(NEXT) | instid1(VALU_DEP_4)
	v_fma_f64 v[21:22], -v[80:81], v[84:85], v[21:22]
	v_fma_f64 v[54:55], v[78:79], v[84:85], v[54:55]
	s_delay_alu instid0(VALU_DEP_4) | instskip(NEXT) | instid1(VALU_DEP_4)
	v_fma_f64 v[56:57], -v[76:77], v[84:85], v[56:57]
	v_fma_f64 v[58:59], v[74:75], v[84:85], v[58:59]
	s_waitcnt vmcnt(6)
	s_delay_alu instid0(VALU_DEP_4) | instskip(NEXT) | instid1(VALU_DEP_4)
	v_fma_f64 v[21:22], v[10:11], v[26:27], v[21:22]
	v_fma_f64 v[54:55], v[12:13], v[26:27], v[54:55]
	s_delay_alu instid0(VALU_DEP_4) | instskip(NEXT) | instid1(VALU_DEP_4)
	v_fma_f64 v[56:57], v[14:15], v[26:27], v[56:57]
	v_fma_f64 v[26:27], v[16:17], v[26:27], v[58:59]
	;; [unrolled: 13-line block ×4, first 2 shown]
	s_delay_alu instid0(VALU_DEP_4) | instskip(NEXT) | instid1(VALU_DEP_4)
	v_fma_f64 v[13:14], -v[44:45], v[52:53], v[12:13]
	v_fma_f64 v[11:12], v[42:43], v[52:53], v[10:11]
	s_delay_alu instid0(VALU_DEP_4) | instskip(NEXT) | instid1(VALU_DEP_4)
	v_fma_f64 v[15:16], -v[48:49], v[52:53], v[16:17]
	v_fma_f64 v[17:18], v[46:47], v[52:53], v[21:22]
	s_and_not1_b32 exec_lo, exec_lo, s0
	s_cbranch_execnz .LBB261_17
; %bb.18:
	s_or_b32 exec_lo, exec_lo, s0
.LBB261_19:
	s_delay_alu instid0(SALU_CYCLE_1)
	s_or_b32 exec_lo, exec_lo, s1
.LBB261_20:
	v_mbcnt_lo_u32_b32 v26, -1, 0
	s_delay_alu instid0(VALU_DEP_1) | instskip(NEXT) | instid1(VALU_DEP_1)
	v_xor_b32_e32 v9, 16, v26
	v_cmp_gt_i32_e32 vcc_lo, 32, v9
	v_cndmask_b32_e32 v9, v26, v9, vcc_lo
	s_delay_alu instid0(VALU_DEP_1)
	v_lshlrev_b32_e32 v24, 2, v9
	ds_bpermute_b32 v9, v24, v13
	ds_bpermute_b32 v10, v24, v14
	;; [unrolled: 1-line block ×8, first 2 shown]
	s_waitcnt lgkmcnt(6)
	v_add_f64 v[9:10], v[13:14], v[9:10]
	s_waitcnt lgkmcnt(4)
	v_add_f64 v[11:12], v[11:12], v[19:20]
	;; [unrolled: 2-line block ×4, first 2 shown]
	v_xor_b32_e32 v17, 8, v26
	s_delay_alu instid0(VALU_DEP_1) | instskip(SKIP_1) | instid1(VALU_DEP_1)
	v_cmp_gt_i32_e32 vcc_lo, 32, v17
	v_cndmask_b32_e32 v17, v26, v17, vcc_lo
	v_lshlrev_b32_e32 v24, 2, v17
	ds_bpermute_b32 v17, v24, v9
	ds_bpermute_b32 v18, v24, v10
	;; [unrolled: 1-line block ×8, first 2 shown]
	s_waitcnt lgkmcnt(6)
	v_add_f64 v[9:10], v[9:10], v[17:18]
	v_xor_b32_e32 v17, 4, v26
	s_waitcnt lgkmcnt(4)
	v_add_f64 v[11:12], v[11:12], v[19:20]
	s_waitcnt lgkmcnt(2)
	v_add_f64 v[13:14], v[13:14], v[21:22]
	;; [unrolled: 2-line block ×3, first 2 shown]
	v_cmp_gt_i32_e32 vcc_lo, 32, v17
	v_cndmask_b32_e32 v17, v26, v17, vcc_lo
	s_delay_alu instid0(VALU_DEP_1)
	v_lshlrev_b32_e32 v24, 2, v17
	ds_bpermute_b32 v17, v24, v9
	ds_bpermute_b32 v18, v24, v10
	;; [unrolled: 1-line block ×8, first 2 shown]
	s_waitcnt lgkmcnt(6)
	v_add_f64 v[9:10], v[9:10], v[17:18]
	s_waitcnt lgkmcnt(4)
	v_add_f64 v[11:12], v[11:12], v[19:20]
	;; [unrolled: 2-line block ×4, first 2 shown]
	v_xor_b32_e32 v15, 2, v26
	s_delay_alu instid0(VALU_DEP_1) | instskip(SKIP_1) | instid1(VALU_DEP_1)
	v_cmp_gt_i32_e32 vcc_lo, 32, v15
	v_cndmask_b32_e32 v15, v26, v15, vcc_lo
	v_lshlrev_b32_e32 v24, 2, v15
	ds_bpermute_b32 v15, v24, v9
	ds_bpermute_b32 v16, v24, v10
	;; [unrolled: 1-line block ×8, first 2 shown]
	s_waitcnt lgkmcnt(6)
	v_add_f64 v[9:10], v[9:10], v[15:16]
	s_waitcnt lgkmcnt(4)
	v_add_f64 v[15:16], v[11:12], v[19:20]
	;; [unrolled: 2-line block ×4, first 2 shown]
	v_xor_b32_e32 v17, 1, v26
	s_delay_alu instid0(VALU_DEP_1) | instskip(SKIP_2) | instid1(VALU_DEP_2)
	v_cmp_gt_i32_e32 vcc_lo, 32, v17
	v_cndmask_b32_e32 v17, v26, v17, vcc_lo
	v_cmp_eq_u32_e32 vcc_lo, 31, v25
	v_lshlrev_b32_e32 v20, 2, v17
	ds_bpermute_b32 v23, v20, v9
	ds_bpermute_b32 v24, v20, v10
	;; [unrolled: 1-line block ×8, first 2 shown]
	s_and_b32 exec_lo, exec_lo, vcc_lo
	s_cbranch_execz .LBB261_25
; %bb.21:
	v_cmp_eq_f64_e32 vcc_lo, 0, v[4:5]
	v_cmp_eq_f64_e64 s0, 0, v[6:7]
	s_waitcnt lgkmcnt(6)
	v_add_f64 v[9:10], v[9:10], v[23:24]
	s_waitcnt lgkmcnt(4)
	v_add_f64 v[15:16], v[15:16], v[21:22]
	;; [unrolled: 2-line block ×4, first 2 shown]
	s_load_b64 s[2:3], s[2:3], 0x48
	s_and_b32 s0, vcc_lo, s0
	s_delay_alu instid0(SALU_CYCLE_1) | instskip(NEXT) | instid1(SALU_CYCLE_1)
	s_and_saveexec_b32 s1, s0
	s_xor_b32 s0, exec_lo, s1
	s_cbranch_execz .LBB261_23
; %bb.22:
	s_delay_alu instid0(VALU_DEP_3) | instskip(SKIP_1) | instid1(VALU_DEP_3)
	v_mul_f64 v[4:5], v[15:16], -v[2:3]
	v_mul_f64 v[6:7], v[0:1], v[15:16]
	v_mul_f64 v[15:16], v[13:14], -v[2:3]
	v_mul_f64 v[13:14], v[0:1], v[13:14]
	v_lshlrev_b32_e32 v8, 1, v8
	v_fma_f64 v[4:5], v[0:1], v[9:10], v[4:5]
	v_fma_f64 v[6:7], v[2:3], v[9:10], v[6:7]
	;; [unrolled: 1-line block ×4, first 2 shown]
	v_ashrrev_i32_e32 v9, 31, v8
                                        ; implicit-def: $vgpr15_vgpr16
                                        ; implicit-def: $vgpr11_vgpr12
                                        ; implicit-def: $vgpr13_vgpr14
	s_delay_alu instid0(VALU_DEP_1) | instskip(SKIP_1) | instid1(VALU_DEP_1)
	v_lshlrev_b64 v[8:9], 4, v[8:9]
	s_waitcnt lgkmcnt(0)
	v_add_co_u32 v8, vcc_lo, s2, v8
	s_delay_alu instid0(VALU_DEP_2)
	v_add_co_ci_u32_e32 v9, vcc_lo, s3, v9, vcc_lo
	s_clause 0x1
	global_store_b128 v[8:9], v[4:7], off
	global_store_b128 v[8:9], v[0:3], off offset:16
                                        ; implicit-def: $vgpr0_vgpr1
                                        ; implicit-def: $vgpr2_vgpr3
                                        ; implicit-def: $vgpr4_vgpr5
                                        ; implicit-def: $vgpr6_vgpr7
                                        ; implicit-def: $vgpr8
                                        ; implicit-def: $vgpr9_vgpr10
.LBB261_23:
	s_and_not1_saveexec_b32 s0, s0
	s_cbranch_execz .LBB261_25
; %bb.24:
	v_lshlrev_b32_e32 v17, 1, v8
	s_delay_alu instid0(VALU_DEP_4) | instskip(SKIP_1) | instid1(VALU_DEP_4)
	v_mul_f64 v[27:28], v[15:16], -v[2:3]
	v_mul_f64 v[15:16], v[0:1], v[15:16]
	v_mul_f64 v[29:30], v[13:14], -v[2:3]
	v_mul_f64 v[13:14], v[0:1], v[13:14]
	v_ashrrev_i32_e32 v18, 31, v17
	s_delay_alu instid0(VALU_DEP_1) | instskip(SKIP_1) | instid1(VALU_DEP_1)
	v_lshlrev_b64 v[17:18], 4, v[17:18]
	s_waitcnt lgkmcnt(0)
	v_add_co_u32 v25, vcc_lo, s2, v17
	s_delay_alu instid0(VALU_DEP_2)
	v_add_co_ci_u32_e32 v26, vcc_lo, s3, v18, vcc_lo
	s_clause 0x1
	global_load_b128 v[17:20], v[25:26], off
	global_load_b128 v[21:24], v[25:26], off offset:16
	v_fma_f64 v[27:28], v[0:1], v[9:10], v[27:28]
	v_fma_f64 v[8:9], v[2:3], v[9:10], v[15:16]
	;; [unrolled: 1-line block ×4, first 2 shown]
	s_waitcnt vmcnt(1)
	s_delay_alu instid0(VALU_DEP_4) | instskip(NEXT) | instid1(VALU_DEP_4)
	v_fma_f64 v[10:11], v[4:5], v[17:18], v[27:28]
	v_fma_f64 v[8:9], v[6:7], v[17:18], v[8:9]
	s_waitcnt vmcnt(0)
	s_delay_alu instid0(VALU_DEP_4) | instskip(NEXT) | instid1(VALU_DEP_4)
	v_fma_f64 v[12:13], v[4:5], v[21:22], v[0:1]
	v_fma_f64 v[14:15], v[6:7], v[21:22], v[2:3]
	s_delay_alu instid0(VALU_DEP_4) | instskip(NEXT) | instid1(VALU_DEP_4)
	v_fma_f64 v[0:1], -v[6:7], v[19:20], v[10:11]
	v_fma_f64 v[2:3], v[4:5], v[19:20], v[8:9]
	s_delay_alu instid0(VALU_DEP_4) | instskip(NEXT) | instid1(VALU_DEP_4)
	v_fma_f64 v[6:7], -v[6:7], v[23:24], v[12:13]
	v_fma_f64 v[8:9], v[4:5], v[23:24], v[14:15]
	s_clause 0x1
	global_store_b128 v[25:26], v[0:3], off
	global_store_b128 v[25:26], v[6:9], off offset:16
.LBB261_25:
	s_nop 0
	s_sendmsg sendmsg(MSG_DEALLOC_VGPRS)
	s_endpgm
	.section	.rodata,"a",@progbits
	.p2align	6, 0x0
	.amdhsa_kernel _ZN9rocsparseL19gebsrmvn_2xn_kernelILj128ELj8ELj32E21rocsparse_complex_numIdEEEvi20rocsparse_direction_NS_24const_host_device_scalarIT2_EEPKiS8_PKS5_SA_S6_PS5_21rocsparse_index_base_b
		.amdhsa_group_segment_fixed_size 2048
		.amdhsa_private_segment_fixed_size 0
		.amdhsa_kernarg_size 88
		.amdhsa_user_sgpr_count 15
		.amdhsa_user_sgpr_dispatch_ptr 1
		.amdhsa_user_sgpr_queue_ptr 0
		.amdhsa_user_sgpr_kernarg_segment_ptr 1
		.amdhsa_user_sgpr_dispatch_id 0
		.amdhsa_user_sgpr_private_segment_size 0
		.amdhsa_wavefront_size32 1
		.amdhsa_uses_dynamic_stack 0
		.amdhsa_enable_private_segment 0
		.amdhsa_system_sgpr_workgroup_id_x 1
		.amdhsa_system_sgpr_workgroup_id_y 0
		.amdhsa_system_sgpr_workgroup_id_z 0
		.amdhsa_system_sgpr_workgroup_info 0
		.amdhsa_system_vgpr_workitem_id 2
		.amdhsa_next_free_vgpr 94
		.amdhsa_next_free_sgpr 18
		.amdhsa_reserve_vcc 1
		.amdhsa_float_round_mode_32 0
		.amdhsa_float_round_mode_16_64 0
		.amdhsa_float_denorm_mode_32 3
		.amdhsa_float_denorm_mode_16_64 3
		.amdhsa_dx10_clamp 1
		.amdhsa_ieee_mode 1
		.amdhsa_fp16_overflow 0
		.amdhsa_workgroup_processor_mode 1
		.amdhsa_memory_ordered 1
		.amdhsa_forward_progress 0
		.amdhsa_shared_vgpr_count 0
		.amdhsa_exception_fp_ieee_invalid_op 0
		.amdhsa_exception_fp_denorm_src 0
		.amdhsa_exception_fp_ieee_div_zero 0
		.amdhsa_exception_fp_ieee_overflow 0
		.amdhsa_exception_fp_ieee_underflow 0
		.amdhsa_exception_fp_ieee_inexact 0
		.amdhsa_exception_int_div_zero 0
	.end_amdhsa_kernel
	.section	.text._ZN9rocsparseL19gebsrmvn_2xn_kernelILj128ELj8ELj32E21rocsparse_complex_numIdEEEvi20rocsparse_direction_NS_24const_host_device_scalarIT2_EEPKiS8_PKS5_SA_S6_PS5_21rocsparse_index_base_b,"axG",@progbits,_ZN9rocsparseL19gebsrmvn_2xn_kernelILj128ELj8ELj32E21rocsparse_complex_numIdEEEvi20rocsparse_direction_NS_24const_host_device_scalarIT2_EEPKiS8_PKS5_SA_S6_PS5_21rocsparse_index_base_b,comdat
.Lfunc_end261:
	.size	_ZN9rocsparseL19gebsrmvn_2xn_kernelILj128ELj8ELj32E21rocsparse_complex_numIdEEEvi20rocsparse_direction_NS_24const_host_device_scalarIT2_EEPKiS8_PKS5_SA_S6_PS5_21rocsparse_index_base_b, .Lfunc_end261-_ZN9rocsparseL19gebsrmvn_2xn_kernelILj128ELj8ELj32E21rocsparse_complex_numIdEEEvi20rocsparse_direction_NS_24const_host_device_scalarIT2_EEPKiS8_PKS5_SA_S6_PS5_21rocsparse_index_base_b
                                        ; -- End function
	.section	.AMDGPU.csdata,"",@progbits
; Kernel info:
; codeLenInByte = 3812
; NumSgprs: 20
; NumVgprs: 94
; ScratchSize: 0
; MemoryBound: 1
; FloatMode: 240
; IeeeMode: 1
; LDSByteSize: 2048 bytes/workgroup (compile time only)
; SGPRBlocks: 2
; VGPRBlocks: 11
; NumSGPRsForWavesPerEU: 20
; NumVGPRsForWavesPerEU: 94
; Occupancy: 16
; WaveLimiterHint : 1
; COMPUTE_PGM_RSRC2:SCRATCH_EN: 0
; COMPUTE_PGM_RSRC2:USER_SGPR: 15
; COMPUTE_PGM_RSRC2:TRAP_HANDLER: 0
; COMPUTE_PGM_RSRC2:TGID_X_EN: 1
; COMPUTE_PGM_RSRC2:TGID_Y_EN: 0
; COMPUTE_PGM_RSRC2:TGID_Z_EN: 0
; COMPUTE_PGM_RSRC2:TIDIG_COMP_CNT: 2
	.section	.text._ZN9rocsparseL19gebsrmvn_2xn_kernelILj128ELj8ELj64E21rocsparse_complex_numIdEEEvi20rocsparse_direction_NS_24const_host_device_scalarIT2_EEPKiS8_PKS5_SA_S6_PS5_21rocsparse_index_base_b,"axG",@progbits,_ZN9rocsparseL19gebsrmvn_2xn_kernelILj128ELj8ELj64E21rocsparse_complex_numIdEEEvi20rocsparse_direction_NS_24const_host_device_scalarIT2_EEPKiS8_PKS5_SA_S6_PS5_21rocsparse_index_base_b,comdat
	.globl	_ZN9rocsparseL19gebsrmvn_2xn_kernelILj128ELj8ELj64E21rocsparse_complex_numIdEEEvi20rocsparse_direction_NS_24const_host_device_scalarIT2_EEPKiS8_PKS5_SA_S6_PS5_21rocsparse_index_base_b ; -- Begin function _ZN9rocsparseL19gebsrmvn_2xn_kernelILj128ELj8ELj64E21rocsparse_complex_numIdEEEvi20rocsparse_direction_NS_24const_host_device_scalarIT2_EEPKiS8_PKS5_SA_S6_PS5_21rocsparse_index_base_b
	.p2align	8
	.type	_ZN9rocsparseL19gebsrmvn_2xn_kernelILj128ELj8ELj64E21rocsparse_complex_numIdEEEvi20rocsparse_direction_NS_24const_host_device_scalarIT2_EEPKiS8_PKS5_SA_S6_PS5_21rocsparse_index_base_b,@function
_ZN9rocsparseL19gebsrmvn_2xn_kernelILj128ELj8ELj64E21rocsparse_complex_numIdEEEvi20rocsparse_direction_NS_24const_host_device_scalarIT2_EEPKiS8_PKS5_SA_S6_PS5_21rocsparse_index_base_b: ; @_ZN9rocsparseL19gebsrmvn_2xn_kernelILj128ELj8ELj64E21rocsparse_complex_numIdEEEvi20rocsparse_direction_NS_24const_host_device_scalarIT2_EEPKiS8_PKS5_SA_S6_PS5_21rocsparse_index_base_b
; %bb.0:
	s_load_b64 s[12:13], s[2:3], 0x50
	s_load_b64 s[16:17], s[0:1], 0x4
	s_load_b128 s[8:11], s[2:3], 0x8
	v_bfe_u32 v1, v0, 10, 10
	s_mov_b64 s[0:1], src_shared_base
	s_load_b128 s[4:7], s[2:3], 0x38
	v_and_b32_e32 v10, 0x3ff, v0
	v_bfe_u32 v0, v0, 20, 10
	s_waitcnt lgkmcnt(0)
	s_bitcmp1_b32 s13, 0
	v_mul_u32_u24_e32 v1, s17, v1
	s_cselect_b32 s0, -1, 0
	s_delay_alu instid0(SALU_CYCLE_1)
	s_and_b32 vcc_lo, s0, exec_lo
	s_cselect_b32 s13, s1, s9
	s_lshr_b32 s14, s16, 16
	v_dual_mov_b32 v2, s4 :: v_dual_mov_b32 v3, s5
	s_mul_i32 s14, s14, s17
	v_mov_b32_e32 v6, s13
	v_mad_u32_u24 v1, s14, v10, v1
	s_delay_alu instid0(VALU_DEP_1) | instskip(SKIP_1) | instid1(VALU_DEP_2)
	v_add_lshl_u32 v4, v1, v0, 3
	v_dual_mov_b32 v0, s8 :: v_dual_mov_b32 v1, s9
	v_add_nc_u32_e32 v5, 0x400, v4
	ds_store_2addr_stride64_b64 v4, v[2:3], v[0:1] offset1:2
	v_dual_mov_b32 v2, s10 :: v_dual_mov_b32 v3, s11
	v_cndmask_b32_e64 v5, s8, v5, s0
	s_xor_b32 s10, s0, -1
	flat_load_b64 v[0:1], v[5:6]
	s_cbranch_vccnz .LBB262_2
; %bb.1:
	v_dual_mov_b32 v2, s8 :: v_dual_mov_b32 v3, s9
	flat_load_b64 v[2:3], v[2:3] offset:8
.LBB262_2:
	s_and_b32 s8, s0, exec_lo
	s_cselect_b32 s1, s1, s5
	v_cndmask_b32_e64 v4, s4, v4, s0
	v_dual_mov_b32 v5, s1 :: v_dual_mov_b32 v6, s6
	v_mov_b32_e32 v7, s7
	s_and_not1_b32 vcc_lo, exec_lo, s10
	flat_load_b64 v[4:5], v[4:5]
	s_cbranch_vccnz .LBB262_4
; %bb.3:
	v_dual_mov_b32 v7, s5 :: v_dual_mov_b32 v6, s4
	flat_load_b64 v[6:7], v[6:7] offset:8
.LBB262_4:
	s_waitcnt vmcnt(1) lgkmcnt(1)
	v_cmp_eq_f64_e32 vcc_lo, 0, v[0:1]
	v_cmp_eq_f64_e64 s0, 0, v[2:3]
	s_delay_alu instid0(VALU_DEP_1)
	s_and_b32 s4, vcc_lo, s0
	s_mov_b32 s0, -1
	s_and_saveexec_b32 s1, s4
	s_cbranch_execz .LBB262_6
; %bb.5:
	s_waitcnt vmcnt(0) lgkmcnt(0)
	v_cmp_neq_f64_e32 vcc_lo, 1.0, v[4:5]
	v_cmp_neq_f64_e64 s0, 0, v[6:7]
	s_delay_alu instid0(VALU_DEP_1) | instskip(NEXT) | instid1(SALU_CYCLE_1)
	s_or_b32 s0, vcc_lo, s0
	s_or_not1_b32 s0, s0, exec_lo
.LBB262_6:
	s_or_b32 exec_lo, exec_lo, s1
	s_and_saveexec_b32 s1, s0
	s_cbranch_execz .LBB262_25
; %bb.7:
	s_load_b64 s[0:1], s[2:3], 0x0
	v_lshrrev_b32_e32 v8, 6, v10
	s_delay_alu instid0(VALU_DEP_1) | instskip(SKIP_1) | instid1(VALU_DEP_1)
	v_lshl_or_b32 v8, s15, 1, v8
	s_waitcnt lgkmcnt(0)
	v_cmp_gt_i32_e32 vcc_lo, s0, v8
	s_and_b32 exec_lo, exec_lo, vcc_lo
	s_cbranch_execz .LBB262_25
; %bb.8:
	s_load_b256 s[4:11], s[2:3], 0x18
	v_ashrrev_i32_e32 v9, 31, v8
	v_and_b32_e32 v25, 63, v10
	s_cmp_lg_u32 s1, 0
	s_delay_alu instid0(VALU_DEP_2) | instskip(SKIP_1) | instid1(VALU_DEP_1)
	v_lshlrev_b64 v[11:12], 2, v[8:9]
	s_waitcnt lgkmcnt(0)
	v_add_co_u32 v11, vcc_lo, s4, v11
	s_delay_alu instid0(VALU_DEP_2) | instskip(SKIP_4) | instid1(VALU_DEP_2)
	v_add_co_ci_u32_e32 v12, vcc_lo, s5, v12, vcc_lo
	global_load_b64 v[11:12], v[11:12], off
	s_waitcnt vmcnt(0)
	v_subrev_nc_u32_e32 v9, s12, v11
	v_subrev_nc_u32_e32 v23, s12, v12
	v_add_nc_u32_e32 v9, v9, v25
	s_delay_alu instid0(VALU_DEP_1)
	v_cmp_lt_i32_e64 s0, v9, v23
	s_cbranch_scc0 .LBB262_14
; %bb.9:
	v_mov_b32_e32 v11, 0
	v_mov_b32_e32 v12, 0
	s_delay_alu instid0(VALU_DEP_1)
	v_dual_mov_b32 v14, v12 :: v_dual_mov_b32 v13, v11
	v_dual_mov_b32 v16, v12 :: v_dual_mov_b32 v15, v11
	;; [unrolled: 1-line block ×3, first 2 shown]
	s_and_saveexec_b32 s1, s0
	s_cbranch_execz .LBB262_13
; %bb.10:
	v_dual_mov_b32 v11, 0 :: v_dual_mov_b32 v20, 0
	v_dual_mov_b32 v12, 0 :: v_dual_lshlrev_b32 v19, 4, v9
	v_mov_b32_e32 v21, v9
	s_mov_b32 s4, 0
	s_delay_alu instid0(VALU_DEP_2)
	v_dual_mov_b32 v14, v12 :: v_dual_mov_b32 v13, v11
	v_dual_mov_b32 v16, v12 :: v_dual_mov_b32 v15, v11
	;; [unrolled: 1-line block ×3, first 2 shown]
.LBB262_11:                             ; =>This Inner Loop Header: Depth=1
	v_ashrrev_i32_e32 v22, 31, v21
	s_delay_alu instid0(VALU_DEP_1) | instskip(SKIP_1) | instid1(VALU_DEP_2)
	v_lshlrev_b64 v[26:27], 2, v[21:22]
	v_add_nc_u32_e32 v21, 64, v21
	v_add_co_u32 v26, vcc_lo, s6, v26
	s_delay_alu instid0(VALU_DEP_3) | instskip(SKIP_3) | instid1(VALU_DEP_2)
	v_add_co_ci_u32_e32 v27, vcc_lo, s7, v27, vcc_lo
	global_load_b32 v10, v[26:27], off
	v_lshlrev_b64 v[26:27], 4, v[19:20]
	v_add_nc_u32_e32 v19, 0x400, v19
	v_add_co_u32 v90, vcc_lo, s8, v26
	s_delay_alu instid0(VALU_DEP_3) | instskip(SKIP_3) | instid1(VALU_DEP_1)
	v_add_co_ci_u32_e32 v91, vcc_lo, s9, v27, vcc_lo
	global_load_b128 v[26:29], v[90:91], off offset:16
	s_waitcnt vmcnt(1)
	v_subrev_nc_u32_e32 v10, s12, v10
	v_dual_mov_b32 v31, v20 :: v_dual_lshlrev_b32 v30, 3, v10
	s_delay_alu instid0(VALU_DEP_1) | instskip(NEXT) | instid1(VALU_DEP_1)
	v_lshlrev_b64 v[30:31], 4, v[30:31]
	v_add_co_u32 v92, vcc_lo, s10, v30
	s_delay_alu instid0(VALU_DEP_2)
	v_add_co_ci_u32_e32 v93, vcc_lo, s11, v31, vcc_lo
	v_cmp_ge_i32_e32 vcc_lo, v21, v23
	global_load_b128 v[30:33], v[90:91], off
	s_clause 0x1
	global_load_b128 v[34:37], v[92:93], off
	global_load_b128 v[38:41], v[92:93], off offset:16
	s_clause 0x3
	global_load_b128 v[42:45], v[90:91], off offset:32
	global_load_b128 v[46:49], v[90:91], off offset:48
	;; [unrolled: 1-line block ×4, first 2 shown]
	s_clause 0x1
	global_load_b128 v[58:61], v[92:93], off offset:32
	global_load_b128 v[62:65], v[92:93], off offset:48
	s_clause 0x3
	global_load_b128 v[66:69], v[90:91], off offset:96
	global_load_b128 v[70:73], v[90:91], off offset:112
	;; [unrolled: 1-line block ×4, first 2 shown]
	s_clause 0x1
	global_load_b128 v[82:85], v[92:93], off offset:64
	global_load_b128 v[86:89], v[92:93], off offset:80
	s_or_b32 s4, vcc_lo, s4
	s_waitcnt vmcnt(13)
	v_fma_f64 v[13:14], v[30:31], v[34:35], v[13:14]
	v_fma_f64 v[10:11], v[32:33], v[34:35], v[11:12]
	;; [unrolled: 1-line block ×4, first 2 shown]
	s_delay_alu instid0(VALU_DEP_4) | instskip(NEXT) | instid1(VALU_DEP_4)
	v_fma_f64 v[32:33], -v[32:33], v[36:37], v[13:14]
	v_fma_f64 v[30:31], v[30:31], v[36:37], v[10:11]
	s_delay_alu instid0(VALU_DEP_4) | instskip(NEXT) | instid1(VALU_DEP_4)
	v_fma_f64 v[28:29], -v[28:29], v[36:37], v[15:16]
	v_fma_f64 v[26:27], v[26:27], v[36:37], v[17:18]
	s_clause 0x1
	global_load_b128 v[10:13], v[90:91], off offset:160
	global_load_b128 v[14:17], v[90:91], off offset:176
	s_waitcnt vmcnt(13)
	v_fma_f64 v[32:33], v[42:43], v[38:39], v[32:33]
	v_fma_f64 v[30:31], v[44:45], v[38:39], v[30:31]
	s_waitcnt vmcnt(12)
	v_fma_f64 v[28:29], v[46:47], v[38:39], v[28:29]
	v_fma_f64 v[26:27], v[48:49], v[38:39], v[26:27]
	s_delay_alu instid0(VALU_DEP_4) | instskip(NEXT) | instid1(VALU_DEP_4)
	v_fma_f64 v[44:45], -v[44:45], v[40:41], v[32:33]
	v_fma_f64 v[42:43], v[42:43], v[40:41], v[30:31]
	s_delay_alu instid0(VALU_DEP_4) | instskip(NEXT) | instid1(VALU_DEP_4)
	v_fma_f64 v[48:49], -v[48:49], v[40:41], v[28:29]
	v_fma_f64 v[46:47], v[46:47], v[40:41], v[26:27]
	s_clause 0x1
	global_load_b128 v[26:29], v[90:91], off offset:208
	global_load_b128 v[30:33], v[90:91], off offset:192
	s_clause 0x1
	global_load_b128 v[34:37], v[92:93], off offset:96
	global_load_b128 v[38:41], v[92:93], off offset:112
	s_waitcnt vmcnt(13)
	v_fma_f64 v[44:45], v[54:55], v[58:59], v[44:45]
	v_fma_f64 v[42:43], v[56:57], v[58:59], v[42:43]
	;; [unrolled: 1-line block ×4, first 2 shown]
	s_delay_alu instid0(VALU_DEP_4) | instskip(NEXT) | instid1(VALU_DEP_4)
	v_fma_f64 v[56:57], -v[56:57], v[60:61], v[44:45]
	v_fma_f64 v[54:55], v[54:55], v[60:61], v[42:43]
	s_delay_alu instid0(VALU_DEP_4) | instskip(NEXT) | instid1(VALU_DEP_4)
	v_fma_f64 v[52:53], -v[52:53], v[60:61], v[48:49]
	v_fma_f64 v[50:51], v[50:51], v[60:61], v[46:47]
	s_clause 0x1
	global_load_b128 v[42:45], v[90:91], off offset:224
	global_load_b128 v[46:49], v[90:91], off offset:240
	s_waitcnt vmcnt(13)
	v_fma_f64 v[56:57], v[66:67], v[62:63], v[56:57]
	v_fma_f64 v[54:55], v[68:69], v[62:63], v[54:55]
	s_waitcnt vmcnt(12)
	v_fma_f64 v[52:53], v[70:71], v[62:63], v[52:53]
	v_fma_f64 v[50:51], v[72:73], v[62:63], v[50:51]
	s_delay_alu instid0(VALU_DEP_4) | instskip(NEXT) | instid1(VALU_DEP_4)
	v_fma_f64 v[56:57], -v[68:69], v[64:65], v[56:57]
	v_fma_f64 v[54:55], v[66:67], v[64:65], v[54:55]
	s_delay_alu instid0(VALU_DEP_4) | instskip(NEXT) | instid1(VALU_DEP_4)
	v_fma_f64 v[52:53], -v[72:73], v[64:65], v[52:53]
	v_fma_f64 v[50:51], v[70:71], v[64:65], v[50:51]
	s_waitcnt vmcnt(9)
	s_delay_alu instid0(VALU_DEP_4) | instskip(NEXT) | instid1(VALU_DEP_4)
	v_fma_f64 v[56:57], v[78:79], v[82:83], v[56:57]
	v_fma_f64 v[54:55], v[80:81], v[82:83], v[54:55]
	s_delay_alu instid0(VALU_DEP_4) | instskip(NEXT) | instid1(VALU_DEP_4)
	v_fma_f64 v[52:53], v[74:75], v[82:83], v[52:53]
	v_fma_f64 v[50:51], v[76:77], v[82:83], v[50:51]
	s_delay_alu instid0(VALU_DEP_4) | instskip(NEXT) | instid1(VALU_DEP_4)
	v_fma_f64 v[56:57], -v[80:81], v[84:85], v[56:57]
	v_fma_f64 v[54:55], v[78:79], v[84:85], v[54:55]
	s_delay_alu instid0(VALU_DEP_4) | instskip(NEXT) | instid1(VALU_DEP_4)
	v_fma_f64 v[52:53], -v[76:77], v[84:85], v[52:53]
	v_fma_f64 v[50:51], v[74:75], v[84:85], v[50:51]
	s_waitcnt vmcnt(7)
	s_delay_alu instid0(VALU_DEP_4) | instskip(NEXT) | instid1(VALU_DEP_4)
	v_fma_f64 v[56:57], v[10:11], v[86:87], v[56:57]
	v_fma_f64 v[54:55], v[12:13], v[86:87], v[54:55]
	s_waitcnt vmcnt(6)
	s_delay_alu instid0(VALU_DEP_4) | instskip(NEXT) | instid1(VALU_DEP_4)
	v_fma_f64 v[52:53], v[14:15], v[86:87], v[52:53]
	v_fma_f64 v[50:51], v[16:17], v[86:87], v[50:51]
	s_delay_alu instid0(VALU_DEP_4) | instskip(NEXT) | instid1(VALU_DEP_4)
	v_fma_f64 v[12:13], -v[12:13], v[88:89], v[56:57]
	v_fma_f64 v[10:11], v[10:11], v[88:89], v[54:55]
	s_delay_alu instid0(VALU_DEP_4) | instskip(NEXT) | instid1(VALU_DEP_4)
	v_fma_f64 v[16:17], -v[16:17], v[88:89], v[52:53]
	v_fma_f64 v[14:15], v[14:15], v[88:89], v[50:51]
	s_waitcnt vmcnt(3)
	s_delay_alu instid0(VALU_DEP_4) | instskip(NEXT) | instid1(VALU_DEP_4)
	v_fma_f64 v[12:13], v[30:31], v[34:35], v[12:13]
	v_fma_f64 v[10:11], v[32:33], v[34:35], v[10:11]
	s_delay_alu instid0(VALU_DEP_4) | instskip(NEXT) | instid1(VALU_DEP_4)
	v_fma_f64 v[16:17], v[26:27], v[34:35], v[16:17]
	v_fma_f64 v[14:15], v[28:29], v[34:35], v[14:15]
	s_delay_alu instid0(VALU_DEP_4) | instskip(NEXT) | instid1(VALU_DEP_4)
	v_fma_f64 v[12:13], -v[32:33], v[36:37], v[12:13]
	v_fma_f64 v[10:11], v[30:31], v[36:37], v[10:11]
	s_delay_alu instid0(VALU_DEP_4) | instskip(NEXT) | instid1(VALU_DEP_4)
	v_fma_f64 v[16:17], -v[28:29], v[36:37], v[16:17]
	v_fma_f64 v[14:15], v[26:27], v[36:37], v[14:15]
	s_waitcnt vmcnt(1)
	s_delay_alu instid0(VALU_DEP_4) | instskip(NEXT) | instid1(VALU_DEP_4)
	v_fma_f64 v[12:13], v[42:43], v[38:39], v[12:13]
	v_fma_f64 v[10:11], v[44:45], v[38:39], v[10:11]
	s_waitcnt vmcnt(0)
	s_delay_alu instid0(VALU_DEP_4) | instskip(NEXT) | instid1(VALU_DEP_4)
	v_fma_f64 v[16:17], v[46:47], v[38:39], v[16:17]
	v_fma_f64 v[26:27], v[48:49], v[38:39], v[14:15]
	s_delay_alu instid0(VALU_DEP_4) | instskip(NEXT) | instid1(VALU_DEP_4)
	v_fma_f64 v[13:14], -v[44:45], v[40:41], v[12:13]
	v_fma_f64 v[11:12], v[42:43], v[40:41], v[10:11]
	s_delay_alu instid0(VALU_DEP_4) | instskip(NEXT) | instid1(VALU_DEP_4)
	v_fma_f64 v[15:16], -v[48:49], v[40:41], v[16:17]
	v_fma_f64 v[17:18], v[46:47], v[40:41], v[26:27]
	s_and_not1_b32 exec_lo, exec_lo, s4
	s_cbranch_execnz .LBB262_11
; %bb.12:
	s_or_b32 exec_lo, exec_lo, s4
.LBB262_13:
	s_delay_alu instid0(SALU_CYCLE_1)
	s_or_b32 exec_lo, exec_lo, s1
	s_cbranch_execz .LBB262_15
	s_branch .LBB262_20
.LBB262_14:
                                        ; implicit-def: $vgpr11_vgpr12
                                        ; implicit-def: $vgpr13_vgpr14
                                        ; implicit-def: $vgpr15_vgpr16
                                        ; implicit-def: $vgpr17_vgpr18
.LBB262_15:
	v_mov_b32_e32 v11, 0
	v_mov_b32_e32 v12, 0
	s_delay_alu instid0(VALU_DEP_1)
	v_dual_mov_b32 v14, v12 :: v_dual_mov_b32 v13, v11
	v_dual_mov_b32 v16, v12 :: v_dual_mov_b32 v15, v11
	;; [unrolled: 1-line block ×3, first 2 shown]
	s_and_saveexec_b32 s1, s0
	s_cbranch_execz .LBB262_19
; %bb.16:
	v_dual_mov_b32 v11, 0 :: v_dual_mov_b32 v20, 0
	v_dual_mov_b32 v12, 0 :: v_dual_lshlrev_b32 v19, 4, v9
	s_mov_b32 s0, 0
	s_delay_alu instid0(VALU_DEP_1)
	v_dual_mov_b32 v14, v12 :: v_dual_mov_b32 v13, v11
	v_dual_mov_b32 v16, v12 :: v_dual_mov_b32 v15, v11
	;; [unrolled: 1-line block ×3, first 2 shown]
.LBB262_17:                             ; =>This Inner Loop Header: Depth=1
	v_ashrrev_i32_e32 v10, 31, v9
	s_delay_alu instid0(VALU_DEP_1) | instskip(SKIP_1) | instid1(VALU_DEP_2)
	v_lshlrev_b64 v[21:22], 2, v[9:10]
	v_add_nc_u32_e32 v9, 64, v9
	v_add_co_u32 v21, vcc_lo, s6, v21
	s_delay_alu instid0(VALU_DEP_3) | instskip(SKIP_3) | instid1(VALU_DEP_2)
	v_add_co_ci_u32_e32 v22, vcc_lo, s7, v22, vcc_lo
	global_load_b32 v10, v[21:22], off
	v_lshlrev_b64 v[21:22], 4, v[19:20]
	v_add_nc_u32_e32 v19, 0x400, v19
	v_add_co_u32 v21, vcc_lo, s8, v21
	s_delay_alu instid0(VALU_DEP_3) | instskip(SKIP_3) | instid1(VALU_DEP_1)
	v_add_co_ci_u32_e32 v22, vcc_lo, s9, v22, vcc_lo
	global_load_b128 v[26:29], v[21:22], off offset:128
	s_waitcnt vmcnt(1)
	v_subrev_nc_u32_e32 v10, s12, v10
	v_dual_mov_b32 v31, v20 :: v_dual_lshlrev_b32 v30, 3, v10
	s_delay_alu instid0(VALU_DEP_1) | instskip(NEXT) | instid1(VALU_DEP_1)
	v_lshlrev_b64 v[30:31], 4, v[30:31]
	v_add_co_u32 v86, vcc_lo, s10, v30
	s_delay_alu instid0(VALU_DEP_2)
	v_add_co_ci_u32_e32 v87, vcc_lo, s11, v31, vcc_lo
	v_cmp_ge_i32_e32 vcc_lo, v9, v23
	global_load_b128 v[30:33], v[21:22], off
	global_load_b128 v[34:37], v[86:87], off
	s_clause 0x1
	global_load_b128 v[38:41], v[21:22], off offset:16
	global_load_b128 v[42:45], v[21:22], off offset:144
	global_load_b128 v[46:49], v[86:87], off offset:16
	s_clause 0x1
	global_load_b128 v[50:53], v[21:22], off offset:160
	global_load_b128 v[54:57], v[21:22], off offset:32
	global_load_b128 v[58:61], v[86:87], off offset:32
	;; [unrolled: 4-line block ×4, first 2 shown]
	s_or_b32 s0, vcc_lo, s0
	s_waitcnt vmcnt(12)
	v_fma_f64 v[13:14], v[30:31], v[34:35], v[13:14]
	v_fma_f64 v[10:11], v[32:33], v[34:35], v[11:12]
	v_fma_f64 v[15:16], v[26:27], v[34:35], v[15:16]
	v_fma_f64 v[17:18], v[28:29], v[34:35], v[17:18]
	s_delay_alu instid0(VALU_DEP_4) | instskip(NEXT) | instid1(VALU_DEP_4)
	v_fma_f64 v[32:33], -v[32:33], v[36:37], v[13:14]
	v_fma_f64 v[30:31], v[30:31], v[36:37], v[10:11]
	s_delay_alu instid0(VALU_DEP_4) | instskip(NEXT) | instid1(VALU_DEP_4)
	v_fma_f64 v[34:35], -v[28:29], v[36:37], v[15:16]
	v_fma_f64 v[36:37], v[26:27], v[36:37], v[17:18]
	s_clause 0x1
	global_load_b128 v[10:13], v[21:22], off offset:80
	global_load_b128 v[14:17], v[21:22], off offset:208
	global_load_b128 v[26:29], v[86:87], off offset:80
	s_waitcnt vmcnt(12)
	v_fma_f64 v[32:33], v[38:39], v[46:47], v[32:33]
	v_fma_f64 v[30:31], v[40:41], v[46:47], v[30:31]
	v_fma_f64 v[34:35], v[42:43], v[46:47], v[34:35]
	v_fma_f64 v[36:37], v[44:45], v[46:47], v[36:37]
	s_delay_alu instid0(VALU_DEP_4) | instskip(NEXT) | instid1(VALU_DEP_4)
	v_fma_f64 v[46:47], -v[40:41], v[48:49], v[32:33]
	v_fma_f64 v[88:89], v[38:39], v[48:49], v[30:31]
	s_delay_alu instid0(VALU_DEP_4) | instskip(NEXT) | instid1(VALU_DEP_4)
	v_fma_f64 v[44:45], -v[44:45], v[48:49], v[34:35]
	v_fma_f64 v[42:43], v[42:43], v[48:49], v[36:37]
	s_clause 0x1
	global_load_b128 v[30:33], v[21:22], off offset:224
	global_load_b128 v[34:37], v[21:22], off offset:96
	global_load_b128 v[38:41], v[86:87], off offset:96
	;; [unrolled: 15-line block ×3, first 2 shown]
	s_waitcnt vmcnt(12)
	v_fma_f64 v[21:22], v[62:63], v[70:71], v[56:57]
	v_fma_f64 v[54:55], v[64:65], v[70:71], v[54:55]
	;; [unrolled: 1-line block ×4, first 2 shown]
	s_delay_alu instid0(VALU_DEP_4) | instskip(NEXT) | instid1(VALU_DEP_4)
	v_fma_f64 v[21:22], -v[64:65], v[72:73], v[21:22]
	v_fma_f64 v[54:55], v[62:63], v[72:73], v[54:55]
	s_delay_alu instid0(VALU_DEP_4) | instskip(NEXT) | instid1(VALU_DEP_4)
	v_fma_f64 v[56:57], -v[68:69], v[72:73], v[56:57]
	v_fma_f64 v[58:59], v[66:67], v[72:73], v[58:59]
	s_waitcnt vmcnt(9)
	s_delay_alu instid0(VALU_DEP_4) | instskip(NEXT) | instid1(VALU_DEP_4)
	v_fma_f64 v[21:22], v[78:79], v[82:83], v[21:22]
	v_fma_f64 v[54:55], v[80:81], v[82:83], v[54:55]
	s_delay_alu instid0(VALU_DEP_4) | instskip(NEXT) | instid1(VALU_DEP_4)
	v_fma_f64 v[56:57], v[74:75], v[82:83], v[56:57]
	v_fma_f64 v[58:59], v[76:77], v[82:83], v[58:59]
	s_delay_alu instid0(VALU_DEP_4) | instskip(NEXT) | instid1(VALU_DEP_4)
	v_fma_f64 v[21:22], -v[80:81], v[84:85], v[21:22]
	v_fma_f64 v[54:55], v[78:79], v[84:85], v[54:55]
	s_delay_alu instid0(VALU_DEP_4) | instskip(NEXT) | instid1(VALU_DEP_4)
	v_fma_f64 v[56:57], -v[76:77], v[84:85], v[56:57]
	v_fma_f64 v[58:59], v[74:75], v[84:85], v[58:59]
	s_waitcnt vmcnt(6)
	s_delay_alu instid0(VALU_DEP_4) | instskip(NEXT) | instid1(VALU_DEP_4)
	v_fma_f64 v[21:22], v[10:11], v[26:27], v[21:22]
	v_fma_f64 v[54:55], v[12:13], v[26:27], v[54:55]
	s_delay_alu instid0(VALU_DEP_4) | instskip(NEXT) | instid1(VALU_DEP_4)
	v_fma_f64 v[56:57], v[14:15], v[26:27], v[56:57]
	v_fma_f64 v[26:27], v[16:17], v[26:27], v[58:59]
	;; [unrolled: 13-line block ×4, first 2 shown]
	s_delay_alu instid0(VALU_DEP_4) | instskip(NEXT) | instid1(VALU_DEP_4)
	v_fma_f64 v[13:14], -v[44:45], v[52:53], v[12:13]
	v_fma_f64 v[11:12], v[42:43], v[52:53], v[10:11]
	s_delay_alu instid0(VALU_DEP_4) | instskip(NEXT) | instid1(VALU_DEP_4)
	v_fma_f64 v[15:16], -v[48:49], v[52:53], v[16:17]
	v_fma_f64 v[17:18], v[46:47], v[52:53], v[21:22]
	s_and_not1_b32 exec_lo, exec_lo, s0
	s_cbranch_execnz .LBB262_17
; %bb.18:
	s_or_b32 exec_lo, exec_lo, s0
.LBB262_19:
	s_delay_alu instid0(SALU_CYCLE_1)
	s_or_b32 exec_lo, exec_lo, s1
.LBB262_20:
	v_mbcnt_lo_u32_b32 v26, -1, 0
	s_delay_alu instid0(VALU_DEP_1) | instskip(NEXT) | instid1(VALU_DEP_1)
	v_or_b32_e32 v9, 32, v26
	v_cmp_gt_i32_e32 vcc_lo, 32, v9
	v_cndmask_b32_e32 v9, v26, v9, vcc_lo
	s_delay_alu instid0(VALU_DEP_1)
	v_lshlrev_b32_e32 v24, 2, v9
	ds_bpermute_b32 v9, v24, v13
	ds_bpermute_b32 v10, v24, v14
	;; [unrolled: 1-line block ×8, first 2 shown]
	s_waitcnt lgkmcnt(6)
	v_add_f64 v[9:10], v[13:14], v[9:10]
	s_waitcnt lgkmcnt(4)
	v_add_f64 v[11:12], v[11:12], v[19:20]
	;; [unrolled: 2-line block ×4, first 2 shown]
	v_xor_b32_e32 v17, 16, v26
	s_delay_alu instid0(VALU_DEP_1) | instskip(SKIP_1) | instid1(VALU_DEP_1)
	v_cmp_gt_i32_e32 vcc_lo, 32, v17
	v_cndmask_b32_e32 v17, v26, v17, vcc_lo
	v_lshlrev_b32_e32 v24, 2, v17
	ds_bpermute_b32 v17, v24, v9
	ds_bpermute_b32 v18, v24, v10
	ds_bpermute_b32 v19, v24, v11
	ds_bpermute_b32 v20, v24, v12
	ds_bpermute_b32 v21, v24, v13
	ds_bpermute_b32 v22, v24, v14
	ds_bpermute_b32 v23, v24, v15
	ds_bpermute_b32 v24, v24, v16
	s_waitcnt lgkmcnt(6)
	v_add_f64 v[9:10], v[9:10], v[17:18]
	v_xor_b32_e32 v17, 8, v26
	s_waitcnt lgkmcnt(4)
	v_add_f64 v[11:12], v[11:12], v[19:20]
	s_waitcnt lgkmcnt(2)
	v_add_f64 v[13:14], v[13:14], v[21:22]
	s_waitcnt lgkmcnt(0)
	v_add_f64 v[15:16], v[15:16], v[23:24]
	v_cmp_gt_i32_e32 vcc_lo, 32, v17
	v_cndmask_b32_e32 v17, v26, v17, vcc_lo
	s_delay_alu instid0(VALU_DEP_1)
	v_lshlrev_b32_e32 v24, 2, v17
	ds_bpermute_b32 v17, v24, v9
	ds_bpermute_b32 v18, v24, v10
	;; [unrolled: 1-line block ×8, first 2 shown]
	s_waitcnt lgkmcnt(6)
	v_add_f64 v[9:10], v[9:10], v[17:18]
	v_xor_b32_e32 v17, 4, v26
	s_waitcnt lgkmcnt(4)
	v_add_f64 v[11:12], v[11:12], v[19:20]
	s_waitcnt lgkmcnt(2)
	v_add_f64 v[13:14], v[13:14], v[21:22]
	;; [unrolled: 2-line block ×3, first 2 shown]
	v_cmp_gt_i32_e32 vcc_lo, 32, v17
	v_cndmask_b32_e32 v17, v26, v17, vcc_lo
	s_delay_alu instid0(VALU_DEP_1)
	v_lshlrev_b32_e32 v24, 2, v17
	ds_bpermute_b32 v17, v24, v9
	ds_bpermute_b32 v18, v24, v10
	;; [unrolled: 1-line block ×8, first 2 shown]
	s_waitcnt lgkmcnt(6)
	v_add_f64 v[9:10], v[9:10], v[17:18]
	s_waitcnt lgkmcnt(4)
	v_add_f64 v[11:12], v[11:12], v[19:20]
	;; [unrolled: 2-line block ×4, first 2 shown]
	v_xor_b32_e32 v15, 2, v26
	s_delay_alu instid0(VALU_DEP_1) | instskip(SKIP_1) | instid1(VALU_DEP_1)
	v_cmp_gt_i32_e32 vcc_lo, 32, v15
	v_cndmask_b32_e32 v15, v26, v15, vcc_lo
	v_lshlrev_b32_e32 v24, 2, v15
	ds_bpermute_b32 v15, v24, v9
	ds_bpermute_b32 v16, v24, v10
	;; [unrolled: 1-line block ×8, first 2 shown]
	s_waitcnt lgkmcnt(6)
	v_add_f64 v[9:10], v[9:10], v[15:16]
	s_waitcnt lgkmcnt(4)
	v_add_f64 v[15:16], v[11:12], v[19:20]
	;; [unrolled: 2-line block ×4, first 2 shown]
	v_xor_b32_e32 v17, 1, v26
	s_delay_alu instid0(VALU_DEP_1) | instskip(SKIP_2) | instid1(VALU_DEP_2)
	v_cmp_gt_i32_e32 vcc_lo, 32, v17
	v_cndmask_b32_e32 v17, v26, v17, vcc_lo
	v_cmp_eq_u32_e32 vcc_lo, 63, v25
	v_lshlrev_b32_e32 v20, 2, v17
	ds_bpermute_b32 v23, v20, v9
	ds_bpermute_b32 v24, v20, v10
	;; [unrolled: 1-line block ×8, first 2 shown]
	s_and_b32 exec_lo, exec_lo, vcc_lo
	s_cbranch_execz .LBB262_25
; %bb.21:
	v_cmp_eq_f64_e32 vcc_lo, 0, v[4:5]
	v_cmp_eq_f64_e64 s0, 0, v[6:7]
	s_waitcnt lgkmcnt(6)
	v_add_f64 v[9:10], v[9:10], v[23:24]
	s_waitcnt lgkmcnt(4)
	v_add_f64 v[15:16], v[15:16], v[21:22]
	;; [unrolled: 2-line block ×4, first 2 shown]
	s_load_b64 s[2:3], s[2:3], 0x48
	s_and_b32 s0, vcc_lo, s0
	s_delay_alu instid0(SALU_CYCLE_1) | instskip(NEXT) | instid1(SALU_CYCLE_1)
	s_and_saveexec_b32 s1, s0
	s_xor_b32 s0, exec_lo, s1
	s_cbranch_execz .LBB262_23
; %bb.22:
	s_delay_alu instid0(VALU_DEP_3) | instskip(SKIP_1) | instid1(VALU_DEP_3)
	v_mul_f64 v[4:5], v[15:16], -v[2:3]
	v_mul_f64 v[6:7], v[0:1], v[15:16]
	v_mul_f64 v[15:16], v[13:14], -v[2:3]
	v_mul_f64 v[13:14], v[0:1], v[13:14]
	v_lshlrev_b32_e32 v8, 1, v8
	v_fma_f64 v[4:5], v[0:1], v[9:10], v[4:5]
	v_fma_f64 v[6:7], v[2:3], v[9:10], v[6:7]
	;; [unrolled: 1-line block ×4, first 2 shown]
	v_ashrrev_i32_e32 v9, 31, v8
                                        ; implicit-def: $vgpr15_vgpr16
                                        ; implicit-def: $vgpr11_vgpr12
                                        ; implicit-def: $vgpr13_vgpr14
	s_delay_alu instid0(VALU_DEP_1) | instskip(SKIP_1) | instid1(VALU_DEP_1)
	v_lshlrev_b64 v[8:9], 4, v[8:9]
	s_waitcnt lgkmcnt(0)
	v_add_co_u32 v8, vcc_lo, s2, v8
	s_delay_alu instid0(VALU_DEP_2)
	v_add_co_ci_u32_e32 v9, vcc_lo, s3, v9, vcc_lo
	s_clause 0x1
	global_store_b128 v[8:9], v[4:7], off
	global_store_b128 v[8:9], v[0:3], off offset:16
                                        ; implicit-def: $vgpr0_vgpr1
                                        ; implicit-def: $vgpr2_vgpr3
                                        ; implicit-def: $vgpr4_vgpr5
                                        ; implicit-def: $vgpr6_vgpr7
                                        ; implicit-def: $vgpr8
                                        ; implicit-def: $vgpr9_vgpr10
.LBB262_23:
	s_and_not1_saveexec_b32 s0, s0
	s_cbranch_execz .LBB262_25
; %bb.24:
	v_lshlrev_b32_e32 v17, 1, v8
	s_delay_alu instid0(VALU_DEP_4) | instskip(SKIP_1) | instid1(VALU_DEP_4)
	v_mul_f64 v[27:28], v[15:16], -v[2:3]
	v_mul_f64 v[15:16], v[0:1], v[15:16]
	v_mul_f64 v[29:30], v[13:14], -v[2:3]
	v_mul_f64 v[13:14], v[0:1], v[13:14]
	v_ashrrev_i32_e32 v18, 31, v17
	s_delay_alu instid0(VALU_DEP_1) | instskip(SKIP_1) | instid1(VALU_DEP_1)
	v_lshlrev_b64 v[17:18], 4, v[17:18]
	s_waitcnt lgkmcnt(0)
	v_add_co_u32 v25, vcc_lo, s2, v17
	s_delay_alu instid0(VALU_DEP_2)
	v_add_co_ci_u32_e32 v26, vcc_lo, s3, v18, vcc_lo
	s_clause 0x1
	global_load_b128 v[17:20], v[25:26], off
	global_load_b128 v[21:24], v[25:26], off offset:16
	v_fma_f64 v[27:28], v[0:1], v[9:10], v[27:28]
	v_fma_f64 v[8:9], v[2:3], v[9:10], v[15:16]
	;; [unrolled: 1-line block ×4, first 2 shown]
	s_waitcnt vmcnt(1)
	s_delay_alu instid0(VALU_DEP_4) | instskip(NEXT) | instid1(VALU_DEP_4)
	v_fma_f64 v[10:11], v[4:5], v[17:18], v[27:28]
	v_fma_f64 v[8:9], v[6:7], v[17:18], v[8:9]
	s_waitcnt vmcnt(0)
	s_delay_alu instid0(VALU_DEP_4) | instskip(NEXT) | instid1(VALU_DEP_4)
	v_fma_f64 v[12:13], v[4:5], v[21:22], v[0:1]
	v_fma_f64 v[14:15], v[6:7], v[21:22], v[2:3]
	s_delay_alu instid0(VALU_DEP_4) | instskip(NEXT) | instid1(VALU_DEP_4)
	v_fma_f64 v[0:1], -v[6:7], v[19:20], v[10:11]
	v_fma_f64 v[2:3], v[4:5], v[19:20], v[8:9]
	s_delay_alu instid0(VALU_DEP_4) | instskip(NEXT) | instid1(VALU_DEP_4)
	v_fma_f64 v[6:7], -v[6:7], v[23:24], v[12:13]
	v_fma_f64 v[8:9], v[4:5], v[23:24], v[14:15]
	s_clause 0x1
	global_store_b128 v[25:26], v[0:3], off
	global_store_b128 v[25:26], v[6:9], off offset:16
.LBB262_25:
	s_nop 0
	s_sendmsg sendmsg(MSG_DEALLOC_VGPRS)
	s_endpgm
	.section	.rodata,"a",@progbits
	.p2align	6, 0x0
	.amdhsa_kernel _ZN9rocsparseL19gebsrmvn_2xn_kernelILj128ELj8ELj64E21rocsparse_complex_numIdEEEvi20rocsparse_direction_NS_24const_host_device_scalarIT2_EEPKiS8_PKS5_SA_S6_PS5_21rocsparse_index_base_b
		.amdhsa_group_segment_fixed_size 2048
		.amdhsa_private_segment_fixed_size 0
		.amdhsa_kernarg_size 88
		.amdhsa_user_sgpr_count 15
		.amdhsa_user_sgpr_dispatch_ptr 1
		.amdhsa_user_sgpr_queue_ptr 0
		.amdhsa_user_sgpr_kernarg_segment_ptr 1
		.amdhsa_user_sgpr_dispatch_id 0
		.amdhsa_user_sgpr_private_segment_size 0
		.amdhsa_wavefront_size32 1
		.amdhsa_uses_dynamic_stack 0
		.amdhsa_enable_private_segment 0
		.amdhsa_system_sgpr_workgroup_id_x 1
		.amdhsa_system_sgpr_workgroup_id_y 0
		.amdhsa_system_sgpr_workgroup_id_z 0
		.amdhsa_system_sgpr_workgroup_info 0
		.amdhsa_system_vgpr_workitem_id 2
		.amdhsa_next_free_vgpr 94
		.amdhsa_next_free_sgpr 18
		.amdhsa_reserve_vcc 1
		.amdhsa_float_round_mode_32 0
		.amdhsa_float_round_mode_16_64 0
		.amdhsa_float_denorm_mode_32 3
		.amdhsa_float_denorm_mode_16_64 3
		.amdhsa_dx10_clamp 1
		.amdhsa_ieee_mode 1
		.amdhsa_fp16_overflow 0
		.amdhsa_workgroup_processor_mode 1
		.amdhsa_memory_ordered 1
		.amdhsa_forward_progress 0
		.amdhsa_shared_vgpr_count 0
		.amdhsa_exception_fp_ieee_invalid_op 0
		.amdhsa_exception_fp_denorm_src 0
		.amdhsa_exception_fp_ieee_div_zero 0
		.amdhsa_exception_fp_ieee_overflow 0
		.amdhsa_exception_fp_ieee_underflow 0
		.amdhsa_exception_fp_ieee_inexact 0
		.amdhsa_exception_int_div_zero 0
	.end_amdhsa_kernel
	.section	.text._ZN9rocsparseL19gebsrmvn_2xn_kernelILj128ELj8ELj64E21rocsparse_complex_numIdEEEvi20rocsparse_direction_NS_24const_host_device_scalarIT2_EEPKiS8_PKS5_SA_S6_PS5_21rocsparse_index_base_b,"axG",@progbits,_ZN9rocsparseL19gebsrmvn_2xn_kernelILj128ELj8ELj64E21rocsparse_complex_numIdEEEvi20rocsparse_direction_NS_24const_host_device_scalarIT2_EEPKiS8_PKS5_SA_S6_PS5_21rocsparse_index_base_b,comdat
.Lfunc_end262:
	.size	_ZN9rocsparseL19gebsrmvn_2xn_kernelILj128ELj8ELj64E21rocsparse_complex_numIdEEEvi20rocsparse_direction_NS_24const_host_device_scalarIT2_EEPKiS8_PKS5_SA_S6_PS5_21rocsparse_index_base_b, .Lfunc_end262-_ZN9rocsparseL19gebsrmvn_2xn_kernelILj128ELj8ELj64E21rocsparse_complex_numIdEEEvi20rocsparse_direction_NS_24const_host_device_scalarIT2_EEPKiS8_PKS5_SA_S6_PS5_21rocsparse_index_base_b
                                        ; -- End function
	.section	.AMDGPU.csdata,"",@progbits
; Kernel info:
; codeLenInByte = 3944
; NumSgprs: 20
; NumVgprs: 94
; ScratchSize: 0
; MemoryBound: 1
; FloatMode: 240
; IeeeMode: 1
; LDSByteSize: 2048 bytes/workgroup (compile time only)
; SGPRBlocks: 2
; VGPRBlocks: 11
; NumSGPRsForWavesPerEU: 20
; NumVGPRsForWavesPerEU: 94
; Occupancy: 16
; WaveLimiterHint : 1
; COMPUTE_PGM_RSRC2:SCRATCH_EN: 0
; COMPUTE_PGM_RSRC2:USER_SGPR: 15
; COMPUTE_PGM_RSRC2:TRAP_HANDLER: 0
; COMPUTE_PGM_RSRC2:TGID_X_EN: 1
; COMPUTE_PGM_RSRC2:TGID_Y_EN: 0
; COMPUTE_PGM_RSRC2:TGID_Z_EN: 0
; COMPUTE_PGM_RSRC2:TIDIG_COMP_CNT: 2
	.section	.text._ZN9rocsparseL19gebsrmvn_2xn_kernelILj128ELj9ELj4E21rocsparse_complex_numIdEEEvi20rocsparse_direction_NS_24const_host_device_scalarIT2_EEPKiS8_PKS5_SA_S6_PS5_21rocsparse_index_base_b,"axG",@progbits,_ZN9rocsparseL19gebsrmvn_2xn_kernelILj128ELj9ELj4E21rocsparse_complex_numIdEEEvi20rocsparse_direction_NS_24const_host_device_scalarIT2_EEPKiS8_PKS5_SA_S6_PS5_21rocsparse_index_base_b,comdat
	.globl	_ZN9rocsparseL19gebsrmvn_2xn_kernelILj128ELj9ELj4E21rocsparse_complex_numIdEEEvi20rocsparse_direction_NS_24const_host_device_scalarIT2_EEPKiS8_PKS5_SA_S6_PS5_21rocsparse_index_base_b ; -- Begin function _ZN9rocsparseL19gebsrmvn_2xn_kernelILj128ELj9ELj4E21rocsparse_complex_numIdEEEvi20rocsparse_direction_NS_24const_host_device_scalarIT2_EEPKiS8_PKS5_SA_S6_PS5_21rocsparse_index_base_b
	.p2align	8
	.type	_ZN9rocsparseL19gebsrmvn_2xn_kernelILj128ELj9ELj4E21rocsparse_complex_numIdEEEvi20rocsparse_direction_NS_24const_host_device_scalarIT2_EEPKiS8_PKS5_SA_S6_PS5_21rocsparse_index_base_b,@function
_ZN9rocsparseL19gebsrmvn_2xn_kernelILj128ELj9ELj4E21rocsparse_complex_numIdEEEvi20rocsparse_direction_NS_24const_host_device_scalarIT2_EEPKiS8_PKS5_SA_S6_PS5_21rocsparse_index_base_b: ; @_ZN9rocsparseL19gebsrmvn_2xn_kernelILj128ELj9ELj4E21rocsparse_complex_numIdEEEvi20rocsparse_direction_NS_24const_host_device_scalarIT2_EEPKiS8_PKS5_SA_S6_PS5_21rocsparse_index_base_b
; %bb.0:
	s_load_b64 s[12:13], s[2:3], 0x50
	s_load_b64 s[16:17], s[0:1], 0x4
	s_load_b128 s[8:11], s[2:3], 0x8
	v_bfe_u32 v1, v0, 10, 10
	s_mov_b64 s[0:1], src_shared_base
	s_load_b128 s[4:7], s[2:3], 0x38
	v_and_b32_e32 v10, 0x3ff, v0
	v_bfe_u32 v0, v0, 20, 10
	s_waitcnt lgkmcnt(0)
	s_bitcmp1_b32 s13, 0
	v_mul_u32_u24_e32 v1, s17, v1
	s_cselect_b32 s0, -1, 0
	s_delay_alu instid0(SALU_CYCLE_1)
	s_and_b32 vcc_lo, s0, exec_lo
	s_cselect_b32 s13, s1, s9
	s_lshr_b32 s14, s16, 16
	v_dual_mov_b32 v2, s4 :: v_dual_mov_b32 v3, s5
	s_mul_i32 s14, s14, s17
	v_mov_b32_e32 v6, s13
	v_mad_u32_u24 v1, s14, v10, v1
	s_delay_alu instid0(VALU_DEP_1) | instskip(SKIP_1) | instid1(VALU_DEP_2)
	v_add_lshl_u32 v4, v1, v0, 3
	v_dual_mov_b32 v0, s8 :: v_dual_mov_b32 v1, s9
	v_add_nc_u32_e32 v5, 0x400, v4
	ds_store_2addr_stride64_b64 v4, v[2:3], v[0:1] offset1:2
	v_dual_mov_b32 v2, s10 :: v_dual_mov_b32 v3, s11
	v_cndmask_b32_e64 v5, s8, v5, s0
	s_xor_b32 s10, s0, -1
	flat_load_b64 v[0:1], v[5:6]
	s_cbranch_vccnz .LBB263_2
; %bb.1:
	v_dual_mov_b32 v2, s8 :: v_dual_mov_b32 v3, s9
	flat_load_b64 v[2:3], v[2:3] offset:8
.LBB263_2:
	s_and_b32 s8, s0, exec_lo
	s_cselect_b32 s1, s1, s5
	v_cndmask_b32_e64 v4, s4, v4, s0
	v_dual_mov_b32 v5, s1 :: v_dual_mov_b32 v6, s6
	v_mov_b32_e32 v7, s7
	s_and_not1_b32 vcc_lo, exec_lo, s10
	flat_load_b64 v[4:5], v[4:5]
	s_cbranch_vccnz .LBB263_4
; %bb.3:
	v_dual_mov_b32 v7, s5 :: v_dual_mov_b32 v6, s4
	flat_load_b64 v[6:7], v[6:7] offset:8
.LBB263_4:
	s_waitcnt vmcnt(1) lgkmcnt(1)
	v_cmp_eq_f64_e32 vcc_lo, 0, v[0:1]
	v_cmp_eq_f64_e64 s0, 0, v[2:3]
	s_delay_alu instid0(VALU_DEP_1)
	s_and_b32 s4, vcc_lo, s0
	s_mov_b32 s0, -1
	s_and_saveexec_b32 s1, s4
	s_cbranch_execz .LBB263_6
; %bb.5:
	s_waitcnt vmcnt(0) lgkmcnt(0)
	v_cmp_neq_f64_e32 vcc_lo, 1.0, v[4:5]
	v_cmp_neq_f64_e64 s0, 0, v[6:7]
	s_delay_alu instid0(VALU_DEP_1) | instskip(NEXT) | instid1(SALU_CYCLE_1)
	s_or_b32 s0, vcc_lo, s0
	s_or_not1_b32 s0, s0, exec_lo
.LBB263_6:
	s_or_b32 exec_lo, exec_lo, s1
	s_and_saveexec_b32 s1, s0
	s_cbranch_execz .LBB263_25
; %bb.7:
	s_load_b64 s[0:1], s[2:3], 0x0
	v_lshrrev_b32_e32 v8, 2, v10
	s_delay_alu instid0(VALU_DEP_1) | instskip(SKIP_1) | instid1(VALU_DEP_1)
	v_lshl_or_b32 v8, s15, 5, v8
	s_waitcnt lgkmcnt(0)
	v_cmp_gt_i32_e32 vcc_lo, s0, v8
	s_and_b32 exec_lo, exec_lo, vcc_lo
	s_cbranch_execz .LBB263_25
; %bb.8:
	s_load_b256 s[4:11], s[2:3], 0x18
	v_ashrrev_i32_e32 v9, 31, v8
	v_and_b32_e32 v25, 3, v10
	s_cmp_lg_u32 s1, 0
	s_delay_alu instid0(VALU_DEP_2) | instskip(SKIP_1) | instid1(VALU_DEP_1)
	v_lshlrev_b64 v[11:12], 2, v[8:9]
	s_waitcnt lgkmcnt(0)
	v_add_co_u32 v11, vcc_lo, s4, v11
	s_delay_alu instid0(VALU_DEP_2) | instskip(SKIP_4) | instid1(VALU_DEP_2)
	v_add_co_ci_u32_e32 v12, vcc_lo, s5, v12, vcc_lo
	global_load_b64 v[11:12], v[11:12], off
	s_waitcnt vmcnt(0)
	v_subrev_nc_u32_e32 v9, s12, v11
	v_subrev_nc_u32_e32 v24, s12, v12
	v_add_nc_u32_e32 v9, v9, v25
	s_delay_alu instid0(VALU_DEP_1)
	v_cmp_lt_i32_e64 s0, v9, v24
	s_cbranch_scc0 .LBB263_14
; %bb.9:
	v_mov_b32_e32 v11, 0
	v_mov_b32_e32 v12, 0
	s_delay_alu instid0(VALU_DEP_1)
	v_dual_mov_b32 v14, v12 :: v_dual_mov_b32 v13, v11
	v_dual_mov_b32 v16, v12 :: v_dual_mov_b32 v15, v11
	;; [unrolled: 1-line block ×3, first 2 shown]
	s_and_saveexec_b32 s1, s0
	s_cbranch_execz .LBB263_13
; %bb.10:
	v_dual_mov_b32 v11, 0 :: v_dual_mov_b32 v22, v9
	v_dual_mov_b32 v12, 0 :: v_dual_mov_b32 v21, 0
	v_mad_u64_u32 v[19:20], null, v9, 18, 16
	s_mov_b32 s4, 0
	s_delay_alu instid0(VALU_DEP_2)
	v_dual_mov_b32 v14, v12 :: v_dual_mov_b32 v13, v11
	v_dual_mov_b32 v16, v12 :: v_dual_mov_b32 v15, v11
	;; [unrolled: 1-line block ×3, first 2 shown]
.LBB263_11:                             ; =>This Inner Loop Header: Depth=1
	v_ashrrev_i32_e32 v23, 31, v22
	v_dual_mov_b32 v87, v21 :: v_dual_add_nc_u32 v20, -16, v19
	s_delay_alu instid0(VALU_DEP_2) | instskip(SKIP_1) | instid1(VALU_DEP_2)
	v_lshlrev_b64 v[26:27], 2, v[22:23]
	v_add_nc_u32_e32 v22, 4, v22
	v_add_co_u32 v26, vcc_lo, s6, v26
	s_delay_alu instid0(VALU_DEP_3) | instskip(SKIP_3) | instid1(VALU_DEP_1)
	v_add_co_ci_u32_e32 v27, vcc_lo, s7, v27, vcc_lo
	global_load_b32 v10, v[26:27], off
	v_lshlrev_b64 v[26:27], 4, v[20:21]
	v_add_nc_u32_e32 v20, -14, v19
	v_lshlrev_b64 v[38:39], 4, v[20:21]
	s_delay_alu instid0(VALU_DEP_3) | instskip(NEXT) | instid1(VALU_DEP_4)
	v_add_co_u32 v30, vcc_lo, s8, v26
	v_add_co_ci_u32_e32 v31, vcc_lo, s9, v27, vcc_lo
	global_load_b128 v[26:29], v[30:31], off offset:16
	s_waitcnt vmcnt(1)
	v_subrev_nc_u32_e32 v10, s12, v10
	s_delay_alu instid0(VALU_DEP_1) | instskip(NEXT) | instid1(VALU_DEP_1)
	v_lshl_add_u32 v86, v10, 3, v10
	v_lshlrev_b64 v[32:33], 4, v[86:87]
	v_add_nc_u32_e32 v20, 1, v86
	s_delay_alu instid0(VALU_DEP_1) | instskip(NEXT) | instid1(VALU_DEP_3)
	v_lshlrev_b64 v[44:45], 4, v[20:21]
	v_add_co_u32 v34, vcc_lo, s10, v32
	s_delay_alu instid0(VALU_DEP_4)
	v_add_co_ci_u32_e32 v35, vcc_lo, s11, v33, vcc_lo
	v_add_co_u32 v42, vcc_lo, s8, v38
	global_load_b128 v[30:33], v[30:31], off
	global_load_b128 v[34:37], v[34:35], off
	v_add_co_ci_u32_e32 v43, vcc_lo, s9, v39, vcc_lo
	v_add_co_u32 v46, vcc_lo, s10, v44
	v_add_co_ci_u32_e32 v47, vcc_lo, s11, v45, vcc_lo
	s_clause 0x1
	global_load_b128 v[38:41], v[42:43], off offset:16
	global_load_b128 v[42:45], v[42:43], off
	global_load_b128 v[46:49], v[46:47], off
	v_add_nc_u32_e32 v20, -12, v19
	s_delay_alu instid0(VALU_DEP_1) | instskip(SKIP_1) | instid1(VALU_DEP_1)
	v_lshlrev_b64 v[50:51], 4, v[20:21]
	v_add_nc_u32_e32 v20, 2, v86
	v_lshlrev_b64 v[52:53], 4, v[20:21]
	s_delay_alu instid0(VALU_DEP_3) | instskip(NEXT) | instid1(VALU_DEP_4)
	v_add_co_u32 v54, vcc_lo, s8, v50
	v_add_co_ci_u32_e32 v55, vcc_lo, s9, v51, vcc_lo
	v_add_nc_u32_e32 v20, -10, v19
	s_delay_alu instid0(VALU_DEP_4)
	v_add_co_u32 v58, vcc_lo, s10, v52
	v_add_co_ci_u32_e32 v59, vcc_lo, s11, v53, vcc_lo
	s_clause 0x1
	global_load_b128 v[50:53], v[54:55], off offset:16
	global_load_b128 v[54:57], v[54:55], off
	global_load_b128 v[58:61], v[58:59], off
	v_lshlrev_b64 v[62:63], 4, v[20:21]
	v_add_nc_u32_e32 v20, 3, v86
	s_delay_alu instid0(VALU_DEP_1) | instskip(NEXT) | instid1(VALU_DEP_3)
	v_lshlrev_b64 v[64:65], 4, v[20:21]
	v_add_co_u32 v66, vcc_lo, s8, v62
	s_delay_alu instid0(VALU_DEP_4) | instskip(SKIP_1) | instid1(VALU_DEP_4)
	v_add_co_ci_u32_e32 v67, vcc_lo, s9, v63, vcc_lo
	v_add_nc_u32_e32 v20, -8, v19
	v_add_co_u32 v70, vcc_lo, s10, v64
	v_add_co_ci_u32_e32 v71, vcc_lo, s11, v65, vcc_lo
	s_clause 0x1
	global_load_b128 v[62:65], v[66:67], off offset:16
	global_load_b128 v[66:69], v[66:67], off
	global_load_b128 v[70:73], v[70:71], off
	v_lshlrev_b64 v[74:75], 4, v[20:21]
	v_add_nc_u32_e32 v20, 4, v86
	s_delay_alu instid0(VALU_DEP_1) | instskip(NEXT) | instid1(VALU_DEP_3)
	v_lshlrev_b64 v[76:77], 4, v[20:21]
	v_add_co_u32 v78, vcc_lo, s8, v74
	s_delay_alu instid0(VALU_DEP_4) | instskip(SKIP_1) | instid1(VALU_DEP_4)
	v_add_co_ci_u32_e32 v79, vcc_lo, s9, v75, vcc_lo
	v_add_nc_u32_e32 v20, -6, v19
	v_add_co_u32 v82, vcc_lo, s10, v76
	v_add_co_ci_u32_e32 v83, vcc_lo, s11, v77, vcc_lo
	s_clause 0x1
	global_load_b128 v[74:77], v[78:79], off offset:16
	global_load_b128 v[78:81], v[78:79], off
	global_load_b128 v[82:85], v[82:83], off
	s_waitcnt vmcnt(12)
	v_fma_f64 v[13:14], v[30:31], v[34:35], v[13:14]
	v_fma_f64 v[10:11], v[32:33], v[34:35], v[11:12]
	;; [unrolled: 1-line block ×4, first 2 shown]
	v_lshlrev_b64 v[34:35], 4, v[20:21]
	v_add_nc_u32_e32 v20, 5, v86
	v_fma_f64 v[32:33], -v[32:33], v[36:37], v[13:14]
	v_fma_f64 v[30:31], v[30:31], v[36:37], v[10:11]
	v_fma_f64 v[87:88], -v[28:29], v[36:37], v[15:16]
	v_fma_f64 v[36:37], v[26:27], v[36:37], v[17:18]
	v_lshlrev_b64 v[10:11], 4, v[20:21]
	v_add_co_u32 v14, vcc_lo, s8, v34
	v_add_co_ci_u32_e32 v15, vcc_lo, s9, v35, vcc_lo
	v_add_nc_u32_e32 v20, -4, v19
	s_delay_alu instid0(VALU_DEP_4)
	v_add_co_u32 v26, vcc_lo, s10, v10
	v_add_co_ci_u32_e32 v27, vcc_lo, s11, v11, vcc_lo
	s_clause 0x1
	global_load_b128 v[10:13], v[14:15], off offset:16
	global_load_b128 v[14:17], v[14:15], off
	global_load_b128 v[26:29], v[26:27], off
	s_waitcnt vmcnt(12)
	v_fma_f64 v[32:33], v[42:43], v[46:47], v[32:33]
	v_fma_f64 v[30:31], v[44:45], v[46:47], v[30:31]
	;; [unrolled: 1-line block ×4, first 2 shown]
	v_lshlrev_b64 v[46:47], 4, v[20:21]
	v_add_nc_u32_e32 v20, 6, v86
	v_fma_f64 v[44:45], -v[44:45], v[48:49], v[32:33]
	v_fma_f64 v[42:43], v[42:43], v[48:49], v[30:31]
	v_fma_f64 v[87:88], -v[40:41], v[48:49], v[34:35]
	v_fma_f64 v[48:49], v[38:39], v[48:49], v[36:37]
	v_lshlrev_b64 v[30:31], 4, v[20:21]
	v_add_co_u32 v34, vcc_lo, s8, v46
	v_add_co_ci_u32_e32 v35, vcc_lo, s9, v47, vcc_lo
	v_add_nc_u32_e32 v20, -2, v19
	s_delay_alu instid0(VALU_DEP_4)
	v_add_co_u32 v38, vcc_lo, s10, v30
	v_add_co_ci_u32_e32 v39, vcc_lo, s11, v31, vcc_lo
	s_clause 0x1
	global_load_b128 v[30:33], v[34:35], off offset:16
	global_load_b128 v[34:37], v[34:35], off
	global_load_b128 v[38:41], v[38:39], off
	s_waitcnt vmcnt(12)
	v_fma_f64 v[44:45], v[54:55], v[58:59], v[44:45]
	v_fma_f64 v[42:43], v[56:57], v[58:59], v[42:43]
	;; [unrolled: 1-line block ×4, first 2 shown]
	v_lshlrev_b64 v[58:59], 4, v[20:21]
	v_add_nc_u32_e32 v20, 7, v86
	v_fma_f64 v[56:57], -v[56:57], v[60:61], v[44:45]
	v_fma_f64 v[54:55], v[54:55], v[60:61], v[42:43]
	v_fma_f64 v[87:88], -v[52:53], v[60:61], v[46:47]
	v_fma_f64 v[60:61], v[50:51], v[60:61], v[48:49]
	v_lshlrev_b64 v[42:43], 4, v[20:21]
	v_add_co_u32 v46, vcc_lo, s8, v58
	v_add_co_ci_u32_e32 v47, vcc_lo, s9, v59, vcc_lo
	v_mov_b32_e32 v20, v21
	s_delay_alu instid0(VALU_DEP_4)
	v_add_co_u32 v50, vcc_lo, s10, v42
	v_add_co_ci_u32_e32 v51, vcc_lo, s11, v43, vcc_lo
	s_clause 0x1
	global_load_b128 v[42:45], v[46:47], off offset:16
	global_load_b128 v[46:49], v[46:47], off
	global_load_b128 v[50:53], v[50:51], off
	s_waitcnt vmcnt(12)
	v_fma_f64 v[58:59], v[66:67], v[70:71], v[56:57]
	v_fma_f64 v[89:90], v[68:69], v[70:71], v[54:55]
	;; [unrolled: 1-line block ×4, first 2 shown]
	v_lshlrev_b64 v[54:55], 4, v[19:20]
	v_add_nc_u32_e32 v19, 0x48, v19
	v_add_nc_u32_e32 v20, 8, v86
	s_delay_alu instid0(VALU_DEP_3) | instskip(NEXT) | instid1(VALU_DEP_4)
	v_add_co_u32 v70, vcc_lo, s8, v54
	v_add_co_ci_u32_e32 v71, vcc_lo, s9, v55, vcc_lo
	global_load_b128 v[54:57], v[70:71], off offset:16
	v_fma_f64 v[68:69], -v[68:69], v[72:73], v[58:59]
	v_fma_f64 v[66:67], v[66:67], v[72:73], v[89:90]
	v_fma_f64 v[87:88], -v[64:65], v[72:73], v[87:88]
	v_fma_f64 v[72:73], v[62:63], v[72:73], v[60:61]
	v_lshlrev_b64 v[58:59], 4, v[20:21]
	s_delay_alu instid0(VALU_DEP_1) | instskip(NEXT) | instid1(VALU_DEP_2)
	v_add_co_u32 v62, vcc_lo, s10, v58
	v_add_co_ci_u32_e32 v63, vcc_lo, s11, v59, vcc_lo
	global_load_b128 v[58:61], v[70:71], off
	global_load_b128 v[62:65], v[62:63], off
	v_cmp_ge_i32_e32 vcc_lo, v22, v24
	s_or_b32 s4, vcc_lo, s4
	s_waitcnt vmcnt(12)
	v_fma_f64 v[68:69], v[78:79], v[82:83], v[68:69]
	v_fma_f64 v[66:67], v[80:81], v[82:83], v[66:67]
	;; [unrolled: 1-line block ×4, first 2 shown]
	s_delay_alu instid0(VALU_DEP_4) | instskip(NEXT) | instid1(VALU_DEP_4)
	v_fma_f64 v[68:69], -v[80:81], v[84:85], v[68:69]
	v_fma_f64 v[66:67], v[78:79], v[84:85], v[66:67]
	s_delay_alu instid0(VALU_DEP_4) | instskip(NEXT) | instid1(VALU_DEP_4)
	v_fma_f64 v[70:71], -v[76:77], v[84:85], v[70:71]
	v_fma_f64 v[72:73], v[74:75], v[84:85], v[72:73]
	s_waitcnt vmcnt(9)
	s_delay_alu instid0(VALU_DEP_4) | instskip(NEXT) | instid1(VALU_DEP_4)
	v_fma_f64 v[68:69], v[14:15], v[26:27], v[68:69]
	v_fma_f64 v[66:67], v[16:17], v[26:27], v[66:67]
	s_delay_alu instid0(VALU_DEP_4) | instskip(NEXT) | instid1(VALU_DEP_4)
	v_fma_f64 v[70:71], v[10:11], v[26:27], v[70:71]
	v_fma_f64 v[26:27], v[12:13], v[26:27], v[72:73]
	s_delay_alu instid0(VALU_DEP_4) | instskip(NEXT) | instid1(VALU_DEP_4)
	v_fma_f64 v[16:17], -v[16:17], v[28:29], v[68:69]
	v_fma_f64 v[14:15], v[14:15], v[28:29], v[66:67]
	s_delay_alu instid0(VALU_DEP_4) | instskip(NEXT) | instid1(VALU_DEP_4)
	v_fma_f64 v[12:13], -v[12:13], v[28:29], v[70:71]
	v_fma_f64 v[10:11], v[10:11], v[28:29], v[26:27]
	s_waitcnt vmcnt(6)
	s_delay_alu instid0(VALU_DEP_4) | instskip(NEXT) | instid1(VALU_DEP_4)
	v_fma_f64 v[16:17], v[34:35], v[38:39], v[16:17]
	v_fma_f64 v[14:15], v[36:37], v[38:39], v[14:15]
	s_delay_alu instid0(VALU_DEP_4) | instskip(NEXT) | instid1(VALU_DEP_4)
	v_fma_f64 v[12:13], v[30:31], v[38:39], v[12:13]
	v_fma_f64 v[10:11], v[32:33], v[38:39], v[10:11]
	;; [unrolled: 13-line block ×4, first 2 shown]
	s_delay_alu instid0(VALU_DEP_4) | instskip(NEXT) | instid1(VALU_DEP_4)
	v_fma_f64 v[13:14], -v[60:61], v[64:65], v[16:17]
	v_fma_f64 v[11:12], v[58:59], v[64:65], v[26:27]
	s_delay_alu instid0(VALU_DEP_4) | instskip(NEXT) | instid1(VALU_DEP_4)
	v_fma_f64 v[15:16], -v[56:57], v[64:65], v[28:29]
	v_fma_f64 v[17:18], v[54:55], v[64:65], v[30:31]
	s_and_not1_b32 exec_lo, exec_lo, s4
	s_cbranch_execnz .LBB263_11
; %bb.12:
	s_or_b32 exec_lo, exec_lo, s4
.LBB263_13:
	s_delay_alu instid0(SALU_CYCLE_1)
	s_or_b32 exec_lo, exec_lo, s1
	s_cbranch_execz .LBB263_15
	s_branch .LBB263_20
.LBB263_14:
                                        ; implicit-def: $vgpr11_vgpr12
                                        ; implicit-def: $vgpr13_vgpr14
                                        ; implicit-def: $vgpr15_vgpr16
                                        ; implicit-def: $vgpr17_vgpr18
.LBB263_15:
	v_mov_b32_e32 v11, 0
	v_mov_b32_e32 v12, 0
	s_delay_alu instid0(VALU_DEP_1)
	v_dual_mov_b32 v14, v12 :: v_dual_mov_b32 v13, v11
	v_dual_mov_b32 v16, v12 :: v_dual_mov_b32 v15, v11
	;; [unrolled: 1-line block ×3, first 2 shown]
	s_and_saveexec_b32 s1, s0
	s_cbranch_execz .LBB263_19
; %bb.16:
	v_mov_b32_e32 v11, 0
	v_dual_mov_b32 v12, 0 :: v_dual_mov_b32 v21, 0
	v_mad_u64_u32 v[19:20], null, v9, 18, 17
	s_mov_b32 s0, 0
	s_delay_alu instid0(VALU_DEP_2)
	v_dual_mov_b32 v14, v12 :: v_dual_mov_b32 v13, v11
	v_dual_mov_b32 v16, v12 :: v_dual_mov_b32 v15, v11
	;; [unrolled: 1-line block ×3, first 2 shown]
.LBB263_17:                             ; =>This Inner Loop Header: Depth=1
	v_ashrrev_i32_e32 v10, 31, v9
	v_subrev_nc_u32_e32 v20, 17, v19
	v_add_nc_u32_e32 v26, -8, v19
	s_delay_alu instid0(VALU_DEP_3) | instskip(NEXT) | instid1(VALU_DEP_3)
	v_lshlrev_b64 v[22:23], 2, v[9:10]
	v_lshlrev_b64 v[28:29], 4, v[20:21]
	v_add_nc_u32_e32 v9, 4, v9
	s_delay_alu instid0(VALU_DEP_3) | instskip(NEXT) | instid1(VALU_DEP_4)
	v_add_co_u32 v22, vcc_lo, s6, v22
	v_add_co_ci_u32_e32 v23, vcc_lo, s7, v23, vcc_lo
	s_delay_alu instid0(VALU_DEP_4)
	v_add_co_u32 v30, vcc_lo, s8, v28
	v_add_co_ci_u32_e32 v31, vcc_lo, s9, v29, vcc_lo
	global_load_b32 v10, v[22:23], off
	v_mov_b32_e32 v23, v21
	s_waitcnt vmcnt(0)
	v_subrev_nc_u32_e32 v10, s12, v10
	s_delay_alu instid0(VALU_DEP_1) | instskip(NEXT) | instid1(VALU_DEP_1)
	v_lshl_add_u32 v22, v10, 3, v10
	v_dual_mov_b32 v27, v21 :: v_dual_add_nc_u32 v20, 1, v22
	s_delay_alu instid0(VALU_DEP_1) | instskip(SKIP_1) | instid1(VALU_DEP_3)
	v_lshlrev_b64 v[26:27], 4, v[26:27]
	v_lshlrev_b64 v[38:39], 4, v[22:23]
	;; [unrolled: 1-line block ×3, first 2 shown]
	v_add_nc_u32_e32 v20, -7, v19
	s_delay_alu instid0(VALU_DEP_4)
	v_add_co_u32 v34, vcc_lo, s8, v26
	v_add_co_ci_u32_e32 v35, vcc_lo, s9, v27, vcc_lo
	v_add_co_u32 v38, vcc_lo, s10, v38
	v_add_co_ci_u32_e32 v39, vcc_lo, s11, v39, vcc_lo
	s_clause 0x2
	global_load_b128 v[26:29], v[30:31], off offset:16
	global_load_b128 v[30:33], v[30:31], off
	global_load_b128 v[34:37], v[34:35], off
	v_lshlrev_b64 v[44:45], 4, v[20:21]
	v_add_co_u32 v42, vcc_lo, s10, v42
	global_load_b128 v[38:41], v[38:39], off
	v_add_co_ci_u32_e32 v43, vcc_lo, s11, v43, vcc_lo
	v_add_co_u32 v46, vcc_lo, s8, v44
	v_add_co_ci_u32_e32 v47, vcc_lo, s9, v45, vcc_lo
	global_load_b128 v[42:45], v[42:43], off
	global_load_b128 v[46:49], v[46:47], off
	v_add_nc_u32_e32 v20, -15, v19
	s_delay_alu instid0(VALU_DEP_1) | instskip(SKIP_1) | instid1(VALU_DEP_1)
	v_lshlrev_b64 v[50:51], 4, v[20:21]
	v_add_nc_u32_e32 v20, 2, v22
	v_lshlrev_b64 v[54:55], 4, v[20:21]
	v_add_nc_u32_e32 v20, -6, v19
	s_delay_alu instid0(VALU_DEP_4) | instskip(SKIP_1) | instid1(VALU_DEP_3)
	v_add_co_u32 v50, vcc_lo, s8, v50
	v_add_co_ci_u32_e32 v51, vcc_lo, s9, v51, vcc_lo
	v_lshlrev_b64 v[56:57], 4, v[20:21]
	v_add_co_u32 v54, vcc_lo, s10, v54
	v_add_co_ci_u32_e32 v55, vcc_lo, s11, v55, vcc_lo
	global_load_b128 v[50:53], v[50:51], off
	v_add_co_u32 v58, vcc_lo, s8, v56
	v_add_co_ci_u32_e32 v59, vcc_lo, s9, v57, vcc_lo
	global_load_b128 v[54:57], v[54:55], off
	global_load_b128 v[58:61], v[58:59], off
	v_add_nc_u32_e32 v20, -14, v19
	s_delay_alu instid0(VALU_DEP_1) | instskip(SKIP_1) | instid1(VALU_DEP_1)
	v_lshlrev_b64 v[62:63], 4, v[20:21]
	v_add_nc_u32_e32 v20, 3, v22
	v_lshlrev_b64 v[64:65], 4, v[20:21]
	v_add_nc_u32_e32 v20, -5, v19
	s_delay_alu instid0(VALU_DEP_4) | instskip(SKIP_1) | instid1(VALU_DEP_3)
	v_add_co_u32 v62, vcc_lo, s8, v62
	v_add_co_ci_u32_e32 v63, vcc_lo, s9, v63, vcc_lo
	v_lshlrev_b64 v[66:67], 4, v[20:21]
	v_add_co_u32 v68, vcc_lo, s10, v64
	v_add_co_ci_u32_e32 v69, vcc_lo, s11, v65, vcc_lo
	v_add_nc_u32_e32 v20, -13, v19
	s_delay_alu instid0(VALU_DEP_4)
	v_add_co_u32 v70, vcc_lo, s8, v66
	v_add_co_ci_u32_e32 v71, vcc_lo, s9, v67, vcc_lo
	global_load_b128 v[62:65], v[62:63], off
	global_load_b128 v[66:69], v[68:69], off
	global_load_b128 v[70:73], v[70:71], off
	v_lshlrev_b64 v[74:75], 4, v[20:21]
	v_add_nc_u32_e32 v20, 4, v22
	s_delay_alu instid0(VALU_DEP_1) | instskip(SKIP_1) | instid1(VALU_DEP_4)
	v_lshlrev_b64 v[76:77], 4, v[20:21]
	v_add_nc_u32_e32 v20, -4, v19
	v_add_co_u32 v74, vcc_lo, s8, v74
	v_add_co_ci_u32_e32 v75, vcc_lo, s9, v75, vcc_lo
	s_delay_alu instid0(VALU_DEP_3) | instskip(SKIP_3) | instid1(VALU_DEP_4)
	v_lshlrev_b64 v[78:79], 4, v[20:21]
	v_add_co_u32 v80, vcc_lo, s10, v76
	v_add_co_ci_u32_e32 v81, vcc_lo, s11, v77, vcc_lo
	v_add_nc_u32_e32 v20, -12, v19
	v_add_co_u32 v82, vcc_lo, s8, v78
	v_add_co_ci_u32_e32 v83, vcc_lo, s9, v79, vcc_lo
	global_load_b128 v[74:77], v[74:75], off
	global_load_b128 v[78:81], v[80:81], off
	;; [unrolled: 1-line block ×3, first 2 shown]
	s_waitcnt vmcnt(11)
	v_fma_f64 v[13:14], v[30:31], v[38:39], v[13:14]
	v_fma_f64 v[10:11], v[32:33], v[38:39], v[11:12]
	;; [unrolled: 1-line block ×4, first 2 shown]
	v_lshlrev_b64 v[38:39], 4, v[20:21]
	v_add_nc_u32_e32 v20, 5, v22
	s_delay_alu instid0(VALU_DEP_2)
	v_add_co_u32 v12, vcc_lo, s8, v38
	v_fma_f64 v[86:87], -v[32:33], v[40:41], v[13:14]
	v_fma_f64 v[88:89], v[30:31], v[40:41], v[10:11]
	v_fma_f64 v[36:37], -v[36:37], v[40:41], v[15:16]
	v_fma_f64 v[34:35], v[34:35], v[40:41], v[17:18]
	v_lshlrev_b64 v[10:11], 4, v[20:21]
	v_add_nc_u32_e32 v20, -3, v19
	v_add_co_ci_u32_e32 v13, vcc_lo, s9, v39, vcc_lo
	s_delay_alu instid0(VALU_DEP_2) | instskip(NEXT) | instid1(VALU_DEP_4)
	v_lshlrev_b64 v[14:15], 4, v[20:21]
	v_add_co_u32 v16, vcc_lo, s10, v10
	v_add_co_ci_u32_e32 v17, vcc_lo, s11, v11, vcc_lo
	v_add_nc_u32_e32 v20, -11, v19
	s_delay_alu instid0(VALU_DEP_4)
	v_add_co_u32 v30, vcc_lo, s8, v14
	v_add_co_ci_u32_e32 v31, vcc_lo, s9, v15, vcc_lo
	global_load_b128 v[10:13], v[12:13], off
	global_load_b128 v[14:17], v[16:17], off
	;; [unrolled: 1-line block ×3, first 2 shown]
	s_waitcnt vmcnt(13)
	v_fma_f64 v[38:39], v[26:27], v[42:43], v[86:87]
	v_fma_f64 v[40:41], v[28:29], v[42:43], v[88:89]
	s_waitcnt vmcnt(12)
	v_fma_f64 v[36:37], v[46:47], v[42:43], v[36:37]
	v_fma_f64 v[34:35], v[48:49], v[42:43], v[34:35]
	v_lshlrev_b64 v[42:43], 4, v[20:21]
	v_add_nc_u32_e32 v20, 6, v22
	v_fma_f64 v[86:87], -v[28:29], v[44:45], v[38:39]
	v_fma_f64 v[88:89], v[26:27], v[44:45], v[40:41]
	v_fma_f64 v[48:49], -v[48:49], v[44:45], v[36:37]
	v_fma_f64 v[44:45], v[46:47], v[44:45], v[34:35]
	v_lshlrev_b64 v[26:27], 4, v[20:21]
	v_add_nc_u32_e32 v20, -2, v19
	v_add_co_u32 v28, vcc_lo, s8, v42
	v_add_co_ci_u32_e32 v29, vcc_lo, s9, v43, vcc_lo
	s_delay_alu instid0(VALU_DEP_3) | instskip(SKIP_3) | instid1(VALU_DEP_4)
	v_lshlrev_b64 v[34:35], 4, v[20:21]
	v_add_co_u32 v36, vcc_lo, s10, v26
	v_add_co_ci_u32_e32 v37, vcc_lo, s11, v27, vcc_lo
	v_add_nc_u32_e32 v20, -10, v19
	v_add_co_u32 v38, vcc_lo, s8, v34
	v_add_co_ci_u32_e32 v39, vcc_lo, s9, v35, vcc_lo
	global_load_b128 v[26:29], v[28:29], off
	global_load_b128 v[34:37], v[36:37], off
	;; [unrolled: 1-line block ×3, first 2 shown]
	s_waitcnt vmcnt(13)
	v_fma_f64 v[42:43], v[50:51], v[54:55], v[86:87]
	v_fma_f64 v[46:47], v[52:53], v[54:55], v[88:89]
	s_waitcnt vmcnt(12)
	v_fma_f64 v[48:49], v[58:59], v[54:55], v[48:49]
	v_fma_f64 v[44:45], v[60:61], v[54:55], v[44:45]
	v_lshlrev_b64 v[54:55], 4, v[20:21]
	v_add_nc_u32_e32 v20, 7, v22
	v_fma_f64 v[86:87], -v[52:53], v[56:57], v[42:43]
	v_fma_f64 v[88:89], v[50:51], v[56:57], v[46:47]
	v_fma_f64 v[60:61], -v[60:61], v[56:57], v[48:49]
	v_fma_f64 v[56:57], v[58:59], v[56:57], v[44:45]
	v_lshlrev_b64 v[42:43], 4, v[20:21]
	v_add_nc_u32_e32 v20, -1, v19
	v_add_co_u32 v44, vcc_lo, s8, v54
	v_add_co_ci_u32_e32 v45, vcc_lo, s9, v55, vcc_lo
	s_delay_alu instid0(VALU_DEP_3) | instskip(SKIP_3) | instid1(VALU_DEP_4)
	v_lshlrev_b64 v[46:47], 4, v[20:21]
	v_add_co_u32 v48, vcc_lo, s10, v42
	v_add_co_ci_u32_e32 v49, vcc_lo, s11, v43, vcc_lo
	v_mov_b32_e32 v20, v21
	v_add_co_u32 v50, vcc_lo, s8, v46
	v_add_co_ci_u32_e32 v51, vcc_lo, s9, v47, vcc_lo
	global_load_b128 v[42:45], v[44:45], off
	global_load_b128 v[46:49], v[48:49], off
	;; [unrolled: 1-line block ×3, first 2 shown]
	v_lshlrev_b64 v[54:55], 4, v[19:20]
	v_add_nc_u32_e32 v20, -9, v19
	v_add_nc_u32_e32 v19, 0x48, v19
	s_delay_alu instid0(VALU_DEP_3) | instskip(NEXT) | instid1(VALU_DEP_4)
	v_add_co_u32 v54, vcc_lo, s8, v54
	v_add_co_ci_u32_e32 v55, vcc_lo, s9, v55, vcc_lo
	s_waitcnt vmcnt(13)
	v_fma_f64 v[58:59], v[62:63], v[66:67], v[86:87]
	v_fma_f64 v[86:87], v[64:65], v[66:67], v[88:89]
	s_waitcnt vmcnt(12)
	v_fma_f64 v[60:61], v[70:71], v[66:67], v[60:61]
	v_fma_f64 v[66:67], v[72:73], v[66:67], v[56:57]
	v_lshlrev_b64 v[88:89], 4, v[20:21]
	v_add_nc_u32_e32 v20, 8, v22
	global_load_b128 v[54:57], v[54:55], off
	v_lshlrev_b64 v[22:23], 4, v[20:21]
	v_fma_f64 v[90:91], -v[64:65], v[68:69], v[58:59]
	v_fma_f64 v[86:87], v[62:63], v[68:69], v[86:87]
	v_fma_f64 v[72:73], -v[72:73], v[68:69], v[60:61]
	v_fma_f64 v[66:67], v[70:71], v[68:69], v[66:67]
	v_add_co_u32 v58, vcc_lo, s8, v88
	v_add_co_ci_u32_e32 v59, vcc_lo, s9, v89, vcc_lo
	v_add_co_u32 v22, vcc_lo, s10, v22
	v_add_co_ci_u32_e32 v23, vcc_lo, s11, v23, vcc_lo
	global_load_b128 v[58:61], v[58:59], off
	global_load_b128 v[62:65], v[22:23], off
	v_cmp_ge_i32_e32 vcc_lo, v9, v24
	s_or_b32 s0, vcc_lo, s0
	s_waitcnt vmcnt(13)
	v_fma_f64 v[22:23], v[74:75], v[78:79], v[90:91]
	v_fma_f64 v[68:69], v[76:77], v[78:79], v[86:87]
	s_waitcnt vmcnt(12)
	v_fma_f64 v[70:71], v[82:83], v[78:79], v[72:73]
	v_fma_f64 v[66:67], v[84:85], v[78:79], v[66:67]
	s_delay_alu instid0(VALU_DEP_4) | instskip(NEXT) | instid1(VALU_DEP_4)
	v_fma_f64 v[22:23], -v[76:77], v[80:81], v[22:23]
	v_fma_f64 v[68:69], v[74:75], v[80:81], v[68:69]
	s_delay_alu instid0(VALU_DEP_4) | instskip(NEXT) | instid1(VALU_DEP_4)
	v_fma_f64 v[70:71], -v[84:85], v[80:81], v[70:71]
	v_fma_f64 v[66:67], v[82:83], v[80:81], v[66:67]
	s_waitcnt vmcnt(10)
	s_delay_alu instid0(VALU_DEP_4) | instskip(NEXT) | instid1(VALU_DEP_4)
	v_fma_f64 v[22:23], v[10:11], v[14:15], v[22:23]
	v_fma_f64 v[68:69], v[12:13], v[14:15], v[68:69]
	s_waitcnt vmcnt(9)
	s_delay_alu instid0(VALU_DEP_4) | instskip(NEXT) | instid1(VALU_DEP_4)
	v_fma_f64 v[70:71], v[30:31], v[14:15], v[70:71]
	v_fma_f64 v[14:15], v[32:33], v[14:15], v[66:67]
	s_delay_alu instid0(VALU_DEP_4) | instskip(NEXT) | instid1(VALU_DEP_4)
	v_fma_f64 v[12:13], -v[12:13], v[16:17], v[22:23]
	v_fma_f64 v[10:11], v[10:11], v[16:17], v[68:69]
	s_delay_alu instid0(VALU_DEP_4) | instskip(NEXT) | instid1(VALU_DEP_4)
	v_fma_f64 v[22:23], -v[32:33], v[16:17], v[70:71]
	v_fma_f64 v[14:15], v[30:31], v[16:17], v[14:15]
	s_waitcnt vmcnt(7)
	s_delay_alu instid0(VALU_DEP_4) | instskip(NEXT) | instid1(VALU_DEP_4)
	v_fma_f64 v[12:13], v[26:27], v[34:35], v[12:13]
	v_fma_f64 v[10:11], v[28:29], v[34:35], v[10:11]
	s_waitcnt vmcnt(6)
	s_delay_alu instid0(VALU_DEP_4) | instskip(NEXT) | instid1(VALU_DEP_4)
	;; [unrolled: 14-line block ×3, first 2 shown]
	v_fma_f64 v[16:17], v[50:51], v[46:47], v[16:17]
	v_fma_f64 v[14:15], v[52:53], v[46:47], v[14:15]
	s_delay_alu instid0(VALU_DEP_4) | instskip(NEXT) | instid1(VALU_DEP_4)
	v_fma_f64 v[12:13], -v[44:45], v[48:49], v[12:13]
	v_fma_f64 v[10:11], v[42:43], v[48:49], v[10:11]
	s_delay_alu instid0(VALU_DEP_4) | instskip(NEXT) | instid1(VALU_DEP_4)
	v_fma_f64 v[16:17], -v[52:53], v[48:49], v[16:17]
	v_fma_f64 v[14:15], v[50:51], v[48:49], v[14:15]
	s_waitcnt vmcnt(0)
	s_delay_alu instid0(VALU_DEP_4) | instskip(NEXT) | instid1(VALU_DEP_4)
	v_fma_f64 v[12:13], v[58:59], v[62:63], v[12:13]
	v_fma_f64 v[10:11], v[60:61], v[62:63], v[10:11]
	s_delay_alu instid0(VALU_DEP_4) | instskip(NEXT) | instid1(VALU_DEP_4)
	v_fma_f64 v[16:17], v[54:55], v[62:63], v[16:17]
	v_fma_f64 v[22:23], v[56:57], v[62:63], v[14:15]
	s_delay_alu instid0(VALU_DEP_4) | instskip(NEXT) | instid1(VALU_DEP_4)
	v_fma_f64 v[13:14], -v[60:61], v[64:65], v[12:13]
	v_fma_f64 v[11:12], v[58:59], v[64:65], v[10:11]
	s_delay_alu instid0(VALU_DEP_4) | instskip(NEXT) | instid1(VALU_DEP_4)
	v_fma_f64 v[15:16], -v[56:57], v[64:65], v[16:17]
	v_fma_f64 v[17:18], v[54:55], v[64:65], v[22:23]
	s_and_not1_b32 exec_lo, exec_lo, s0
	s_cbranch_execnz .LBB263_17
; %bb.18:
	s_or_b32 exec_lo, exec_lo, s0
.LBB263_19:
	s_delay_alu instid0(SALU_CYCLE_1)
	s_or_b32 exec_lo, exec_lo, s1
.LBB263_20:
	v_mbcnt_lo_u32_b32 v26, -1, 0
	s_delay_alu instid0(VALU_DEP_1) | instskip(NEXT) | instid1(VALU_DEP_1)
	v_xor_b32_e32 v9, 2, v26
	v_cmp_gt_i32_e32 vcc_lo, 32, v9
	v_cndmask_b32_e32 v9, v26, v9, vcc_lo
	s_delay_alu instid0(VALU_DEP_1)
	v_lshlrev_b32_e32 v24, 2, v9
	ds_bpermute_b32 v19, v24, v11
	ds_bpermute_b32 v20, v24, v12
	;; [unrolled: 1-line block ×4, first 2 shown]
	s_waitcnt lgkmcnt(2)
	v_add_f64 v[19:20], v[11:12], v[19:20]
	s_waitcnt lgkmcnt(0)
	v_add_f64 v[11:12], v[15:16], v[21:22]
	v_xor_b32_e32 v15, 1, v26
	s_delay_alu instid0(VALU_DEP_1)
	v_cmp_gt_i32_e32 vcc_lo, 32, v15
	v_cndmask_b32_e32 v15, v26, v15, vcc_lo
	ds_bpermute_b32 v9, v24, v13
	ds_bpermute_b32 v10, v24, v14
	;; [unrolled: 1-line block ×4, first 2 shown]
	v_lshlrev_b32_e32 v22, 2, v15
	v_cmp_eq_u32_e32 vcc_lo, 3, v25
	s_waitcnt lgkmcnt(2)
	v_add_f64 v[9:10], v[13:14], v[9:10]
	s_waitcnt lgkmcnt(0)
	v_add_f64 v[13:14], v[17:18], v[23:24]
	ds_bpermute_b32 v15, v22, v19
	ds_bpermute_b32 v16, v22, v20
	;; [unrolled: 1-line block ×8, first 2 shown]
	s_and_b32 exec_lo, exec_lo, vcc_lo
	s_cbranch_execz .LBB263_25
; %bb.21:
	v_cmp_eq_f64_e32 vcc_lo, 0, v[4:5]
	v_cmp_eq_f64_e64 s0, 0, v[6:7]
	s_waitcnt lgkmcnt(2)
	v_add_f64 v[9:10], v[9:10], v[23:24]
	v_add_f64 v[15:16], v[19:20], v[15:16]
	;; [unrolled: 1-line block ×3, first 2 shown]
	s_waitcnt lgkmcnt(0)
	v_add_f64 v[13:14], v[13:14], v[21:22]
	s_load_b64 s[2:3], s[2:3], 0x48
	s_and_b32 s0, vcc_lo, s0
	s_delay_alu instid0(SALU_CYCLE_1) | instskip(NEXT) | instid1(SALU_CYCLE_1)
	s_and_saveexec_b32 s1, s0
	s_xor_b32 s0, exec_lo, s1
	s_cbranch_execz .LBB263_23
; %bb.22:
	s_delay_alu instid0(VALU_DEP_3) | instskip(SKIP_1) | instid1(VALU_DEP_3)
	v_mul_f64 v[4:5], v[15:16], -v[2:3]
	v_mul_f64 v[6:7], v[0:1], v[15:16]
	v_mul_f64 v[15:16], v[13:14], -v[2:3]
	v_mul_f64 v[13:14], v[0:1], v[13:14]
	v_lshlrev_b32_e32 v8, 1, v8
	v_fma_f64 v[4:5], v[0:1], v[9:10], v[4:5]
	v_fma_f64 v[6:7], v[2:3], v[9:10], v[6:7]
	;; [unrolled: 1-line block ×4, first 2 shown]
	v_ashrrev_i32_e32 v9, 31, v8
                                        ; implicit-def: $vgpr15_vgpr16
                                        ; implicit-def: $vgpr11_vgpr12
                                        ; implicit-def: $vgpr13_vgpr14
	s_delay_alu instid0(VALU_DEP_1) | instskip(SKIP_1) | instid1(VALU_DEP_1)
	v_lshlrev_b64 v[8:9], 4, v[8:9]
	s_waitcnt lgkmcnt(0)
	v_add_co_u32 v8, vcc_lo, s2, v8
	s_delay_alu instid0(VALU_DEP_2)
	v_add_co_ci_u32_e32 v9, vcc_lo, s3, v9, vcc_lo
	s_clause 0x1
	global_store_b128 v[8:9], v[4:7], off
	global_store_b128 v[8:9], v[0:3], off offset:16
                                        ; implicit-def: $vgpr0_vgpr1
                                        ; implicit-def: $vgpr2_vgpr3
                                        ; implicit-def: $vgpr4_vgpr5
                                        ; implicit-def: $vgpr6_vgpr7
                                        ; implicit-def: $vgpr8
                                        ; implicit-def: $vgpr9_vgpr10
.LBB263_23:
	s_and_not1_saveexec_b32 s0, s0
	s_cbranch_execz .LBB263_25
; %bb.24:
	v_lshlrev_b32_e32 v17, 1, v8
	s_delay_alu instid0(VALU_DEP_4) | instskip(SKIP_1) | instid1(VALU_DEP_4)
	v_mul_f64 v[27:28], v[15:16], -v[2:3]
	v_mul_f64 v[15:16], v[0:1], v[15:16]
	v_mul_f64 v[29:30], v[13:14], -v[2:3]
	v_mul_f64 v[13:14], v[0:1], v[13:14]
	v_ashrrev_i32_e32 v18, 31, v17
	s_delay_alu instid0(VALU_DEP_1) | instskip(SKIP_1) | instid1(VALU_DEP_1)
	v_lshlrev_b64 v[17:18], 4, v[17:18]
	s_waitcnt lgkmcnt(0)
	v_add_co_u32 v25, vcc_lo, s2, v17
	s_delay_alu instid0(VALU_DEP_2)
	v_add_co_ci_u32_e32 v26, vcc_lo, s3, v18, vcc_lo
	s_clause 0x1
	global_load_b128 v[17:20], v[25:26], off
	global_load_b128 v[21:24], v[25:26], off offset:16
	v_fma_f64 v[27:28], v[0:1], v[9:10], v[27:28]
	v_fma_f64 v[8:9], v[2:3], v[9:10], v[15:16]
	;; [unrolled: 1-line block ×4, first 2 shown]
	s_waitcnt vmcnt(1)
	s_delay_alu instid0(VALU_DEP_4) | instskip(NEXT) | instid1(VALU_DEP_4)
	v_fma_f64 v[10:11], v[4:5], v[17:18], v[27:28]
	v_fma_f64 v[8:9], v[6:7], v[17:18], v[8:9]
	s_waitcnt vmcnt(0)
	s_delay_alu instid0(VALU_DEP_4) | instskip(NEXT) | instid1(VALU_DEP_4)
	v_fma_f64 v[12:13], v[4:5], v[21:22], v[0:1]
	v_fma_f64 v[14:15], v[6:7], v[21:22], v[2:3]
	s_delay_alu instid0(VALU_DEP_4) | instskip(NEXT) | instid1(VALU_DEP_4)
	v_fma_f64 v[0:1], -v[6:7], v[19:20], v[10:11]
	v_fma_f64 v[2:3], v[4:5], v[19:20], v[8:9]
	s_delay_alu instid0(VALU_DEP_4) | instskip(NEXT) | instid1(VALU_DEP_4)
	v_fma_f64 v[6:7], -v[6:7], v[23:24], v[12:13]
	v_fma_f64 v[8:9], v[4:5], v[23:24], v[14:15]
	s_clause 0x1
	global_store_b128 v[25:26], v[0:3], off
	global_store_b128 v[25:26], v[6:9], off offset:16
.LBB263_25:
	s_nop 0
	s_sendmsg sendmsg(MSG_DEALLOC_VGPRS)
	s_endpgm
	.section	.rodata,"a",@progbits
	.p2align	6, 0x0
	.amdhsa_kernel _ZN9rocsparseL19gebsrmvn_2xn_kernelILj128ELj9ELj4E21rocsparse_complex_numIdEEEvi20rocsparse_direction_NS_24const_host_device_scalarIT2_EEPKiS8_PKS5_SA_S6_PS5_21rocsparse_index_base_b
		.amdhsa_group_segment_fixed_size 2048
		.amdhsa_private_segment_fixed_size 0
		.amdhsa_kernarg_size 88
		.amdhsa_user_sgpr_count 15
		.amdhsa_user_sgpr_dispatch_ptr 1
		.amdhsa_user_sgpr_queue_ptr 0
		.amdhsa_user_sgpr_kernarg_segment_ptr 1
		.amdhsa_user_sgpr_dispatch_id 0
		.amdhsa_user_sgpr_private_segment_size 0
		.amdhsa_wavefront_size32 1
		.amdhsa_uses_dynamic_stack 0
		.amdhsa_enable_private_segment 0
		.amdhsa_system_sgpr_workgroup_id_x 1
		.amdhsa_system_sgpr_workgroup_id_y 0
		.amdhsa_system_sgpr_workgroup_id_z 0
		.amdhsa_system_sgpr_workgroup_info 0
		.amdhsa_system_vgpr_workitem_id 2
		.amdhsa_next_free_vgpr 92
		.amdhsa_next_free_sgpr 18
		.amdhsa_reserve_vcc 1
		.amdhsa_float_round_mode_32 0
		.amdhsa_float_round_mode_16_64 0
		.amdhsa_float_denorm_mode_32 3
		.amdhsa_float_denorm_mode_16_64 3
		.amdhsa_dx10_clamp 1
		.amdhsa_ieee_mode 1
		.amdhsa_fp16_overflow 0
		.amdhsa_workgroup_processor_mode 1
		.amdhsa_memory_ordered 1
		.amdhsa_forward_progress 0
		.amdhsa_shared_vgpr_count 0
		.amdhsa_exception_fp_ieee_invalid_op 0
		.amdhsa_exception_fp_denorm_src 0
		.amdhsa_exception_fp_ieee_div_zero 0
		.amdhsa_exception_fp_ieee_overflow 0
		.amdhsa_exception_fp_ieee_underflow 0
		.amdhsa_exception_fp_ieee_inexact 0
		.amdhsa_exception_int_div_zero 0
	.end_amdhsa_kernel
	.section	.text._ZN9rocsparseL19gebsrmvn_2xn_kernelILj128ELj9ELj4E21rocsparse_complex_numIdEEEvi20rocsparse_direction_NS_24const_host_device_scalarIT2_EEPKiS8_PKS5_SA_S6_PS5_21rocsparse_index_base_b,"axG",@progbits,_ZN9rocsparseL19gebsrmvn_2xn_kernelILj128ELj9ELj4E21rocsparse_complex_numIdEEEvi20rocsparse_direction_NS_24const_host_device_scalarIT2_EEPKiS8_PKS5_SA_S6_PS5_21rocsparse_index_base_b,comdat
.Lfunc_end263:
	.size	_ZN9rocsparseL19gebsrmvn_2xn_kernelILj128ELj9ELj4E21rocsparse_complex_numIdEEEvi20rocsparse_direction_NS_24const_host_device_scalarIT2_EEPKiS8_PKS5_SA_S6_PS5_21rocsparse_index_base_b, .Lfunc_end263-_ZN9rocsparseL19gebsrmvn_2xn_kernelILj128ELj9ELj4E21rocsparse_complex_numIdEEEvi20rocsparse_direction_NS_24const_host_device_scalarIT2_EEPKiS8_PKS5_SA_S6_PS5_21rocsparse_index_base_b
                                        ; -- End function
	.section	.AMDGPU.csdata,"",@progbits
; Kernel info:
; codeLenInByte = 4620
; NumSgprs: 20
; NumVgprs: 92
; ScratchSize: 0
; MemoryBound: 0
; FloatMode: 240
; IeeeMode: 1
; LDSByteSize: 2048 bytes/workgroup (compile time only)
; SGPRBlocks: 2
; VGPRBlocks: 11
; NumSGPRsForWavesPerEU: 20
; NumVGPRsForWavesPerEU: 92
; Occupancy: 16
; WaveLimiterHint : 1
; COMPUTE_PGM_RSRC2:SCRATCH_EN: 0
; COMPUTE_PGM_RSRC2:USER_SGPR: 15
; COMPUTE_PGM_RSRC2:TRAP_HANDLER: 0
; COMPUTE_PGM_RSRC2:TGID_X_EN: 1
; COMPUTE_PGM_RSRC2:TGID_Y_EN: 0
; COMPUTE_PGM_RSRC2:TGID_Z_EN: 0
; COMPUTE_PGM_RSRC2:TIDIG_COMP_CNT: 2
	.section	.text._ZN9rocsparseL19gebsrmvn_2xn_kernelILj128ELj9ELj8E21rocsparse_complex_numIdEEEvi20rocsparse_direction_NS_24const_host_device_scalarIT2_EEPKiS8_PKS5_SA_S6_PS5_21rocsparse_index_base_b,"axG",@progbits,_ZN9rocsparseL19gebsrmvn_2xn_kernelILj128ELj9ELj8E21rocsparse_complex_numIdEEEvi20rocsparse_direction_NS_24const_host_device_scalarIT2_EEPKiS8_PKS5_SA_S6_PS5_21rocsparse_index_base_b,comdat
	.globl	_ZN9rocsparseL19gebsrmvn_2xn_kernelILj128ELj9ELj8E21rocsparse_complex_numIdEEEvi20rocsparse_direction_NS_24const_host_device_scalarIT2_EEPKiS8_PKS5_SA_S6_PS5_21rocsparse_index_base_b ; -- Begin function _ZN9rocsparseL19gebsrmvn_2xn_kernelILj128ELj9ELj8E21rocsparse_complex_numIdEEEvi20rocsparse_direction_NS_24const_host_device_scalarIT2_EEPKiS8_PKS5_SA_S6_PS5_21rocsparse_index_base_b
	.p2align	8
	.type	_ZN9rocsparseL19gebsrmvn_2xn_kernelILj128ELj9ELj8E21rocsparse_complex_numIdEEEvi20rocsparse_direction_NS_24const_host_device_scalarIT2_EEPKiS8_PKS5_SA_S6_PS5_21rocsparse_index_base_b,@function
_ZN9rocsparseL19gebsrmvn_2xn_kernelILj128ELj9ELj8E21rocsparse_complex_numIdEEEvi20rocsparse_direction_NS_24const_host_device_scalarIT2_EEPKiS8_PKS5_SA_S6_PS5_21rocsparse_index_base_b: ; @_ZN9rocsparseL19gebsrmvn_2xn_kernelILj128ELj9ELj8E21rocsparse_complex_numIdEEEvi20rocsparse_direction_NS_24const_host_device_scalarIT2_EEPKiS8_PKS5_SA_S6_PS5_21rocsparse_index_base_b
; %bb.0:
	s_load_b64 s[12:13], s[2:3], 0x50
	s_load_b64 s[16:17], s[0:1], 0x4
	s_load_b128 s[8:11], s[2:3], 0x8
	v_bfe_u32 v1, v0, 10, 10
	s_mov_b64 s[0:1], src_shared_base
	s_load_b128 s[4:7], s[2:3], 0x38
	v_and_b32_e32 v10, 0x3ff, v0
	v_bfe_u32 v0, v0, 20, 10
	s_waitcnt lgkmcnt(0)
	s_bitcmp1_b32 s13, 0
	v_mul_u32_u24_e32 v1, s17, v1
	s_cselect_b32 s0, -1, 0
	s_delay_alu instid0(SALU_CYCLE_1)
	s_and_b32 vcc_lo, s0, exec_lo
	s_cselect_b32 s13, s1, s9
	s_lshr_b32 s14, s16, 16
	v_dual_mov_b32 v2, s4 :: v_dual_mov_b32 v3, s5
	s_mul_i32 s14, s14, s17
	v_mov_b32_e32 v6, s13
	v_mad_u32_u24 v1, s14, v10, v1
	s_delay_alu instid0(VALU_DEP_1) | instskip(SKIP_1) | instid1(VALU_DEP_2)
	v_add_lshl_u32 v4, v1, v0, 3
	v_dual_mov_b32 v0, s8 :: v_dual_mov_b32 v1, s9
	v_add_nc_u32_e32 v5, 0x400, v4
	ds_store_2addr_stride64_b64 v4, v[2:3], v[0:1] offset1:2
	v_dual_mov_b32 v2, s10 :: v_dual_mov_b32 v3, s11
	v_cndmask_b32_e64 v5, s8, v5, s0
	s_xor_b32 s10, s0, -1
	flat_load_b64 v[0:1], v[5:6]
	s_cbranch_vccnz .LBB264_2
; %bb.1:
	v_dual_mov_b32 v2, s8 :: v_dual_mov_b32 v3, s9
	flat_load_b64 v[2:3], v[2:3] offset:8
.LBB264_2:
	s_and_b32 s8, s0, exec_lo
	s_cselect_b32 s1, s1, s5
	v_cndmask_b32_e64 v4, s4, v4, s0
	v_dual_mov_b32 v5, s1 :: v_dual_mov_b32 v6, s6
	v_mov_b32_e32 v7, s7
	s_and_not1_b32 vcc_lo, exec_lo, s10
	flat_load_b64 v[4:5], v[4:5]
	s_cbranch_vccnz .LBB264_4
; %bb.3:
	v_dual_mov_b32 v7, s5 :: v_dual_mov_b32 v6, s4
	flat_load_b64 v[6:7], v[6:7] offset:8
.LBB264_4:
	s_waitcnt vmcnt(1) lgkmcnt(1)
	v_cmp_eq_f64_e32 vcc_lo, 0, v[0:1]
	v_cmp_eq_f64_e64 s0, 0, v[2:3]
	s_delay_alu instid0(VALU_DEP_1)
	s_and_b32 s4, vcc_lo, s0
	s_mov_b32 s0, -1
	s_and_saveexec_b32 s1, s4
	s_cbranch_execz .LBB264_6
; %bb.5:
	s_waitcnt vmcnt(0) lgkmcnt(0)
	v_cmp_neq_f64_e32 vcc_lo, 1.0, v[4:5]
	v_cmp_neq_f64_e64 s0, 0, v[6:7]
	s_delay_alu instid0(VALU_DEP_1) | instskip(NEXT) | instid1(SALU_CYCLE_1)
	s_or_b32 s0, vcc_lo, s0
	s_or_not1_b32 s0, s0, exec_lo
.LBB264_6:
	s_or_b32 exec_lo, exec_lo, s1
	s_and_saveexec_b32 s1, s0
	s_cbranch_execz .LBB264_25
; %bb.7:
	s_load_b64 s[0:1], s[2:3], 0x0
	v_lshrrev_b32_e32 v8, 3, v10
	s_delay_alu instid0(VALU_DEP_1) | instskip(SKIP_1) | instid1(VALU_DEP_1)
	v_lshl_or_b32 v8, s15, 4, v8
	s_waitcnt lgkmcnt(0)
	v_cmp_gt_i32_e32 vcc_lo, s0, v8
	s_and_b32 exec_lo, exec_lo, vcc_lo
	s_cbranch_execz .LBB264_25
; %bb.8:
	s_load_b256 s[4:11], s[2:3], 0x18
	v_ashrrev_i32_e32 v9, 31, v8
	v_and_b32_e32 v25, 7, v10
	s_cmp_lg_u32 s1, 0
	s_delay_alu instid0(VALU_DEP_2) | instskip(SKIP_1) | instid1(VALU_DEP_1)
	v_lshlrev_b64 v[11:12], 2, v[8:9]
	s_waitcnt lgkmcnt(0)
	v_add_co_u32 v11, vcc_lo, s4, v11
	s_delay_alu instid0(VALU_DEP_2) | instskip(SKIP_4) | instid1(VALU_DEP_2)
	v_add_co_ci_u32_e32 v12, vcc_lo, s5, v12, vcc_lo
	global_load_b64 v[11:12], v[11:12], off
	s_waitcnt vmcnt(0)
	v_subrev_nc_u32_e32 v9, s12, v11
	v_subrev_nc_u32_e32 v24, s12, v12
	v_add_nc_u32_e32 v9, v9, v25
	s_delay_alu instid0(VALU_DEP_1)
	v_cmp_lt_i32_e64 s0, v9, v24
	s_cbranch_scc0 .LBB264_14
; %bb.9:
	v_mov_b32_e32 v11, 0
	v_mov_b32_e32 v12, 0
	s_delay_alu instid0(VALU_DEP_1)
	v_dual_mov_b32 v14, v12 :: v_dual_mov_b32 v13, v11
	v_dual_mov_b32 v16, v12 :: v_dual_mov_b32 v15, v11
	;; [unrolled: 1-line block ×3, first 2 shown]
	s_and_saveexec_b32 s1, s0
	s_cbranch_execz .LBB264_13
; %bb.10:
	v_dual_mov_b32 v11, 0 :: v_dual_mov_b32 v22, v9
	v_dual_mov_b32 v12, 0 :: v_dual_mov_b32 v21, 0
	v_mad_u64_u32 v[19:20], null, v9, 18, 16
	s_mov_b32 s4, 0
	s_delay_alu instid0(VALU_DEP_2)
	v_dual_mov_b32 v14, v12 :: v_dual_mov_b32 v13, v11
	v_dual_mov_b32 v16, v12 :: v_dual_mov_b32 v15, v11
	;; [unrolled: 1-line block ×3, first 2 shown]
.LBB264_11:                             ; =>This Inner Loop Header: Depth=1
	v_ashrrev_i32_e32 v23, 31, v22
	v_dual_mov_b32 v87, v21 :: v_dual_add_nc_u32 v20, -16, v19
	s_delay_alu instid0(VALU_DEP_2) | instskip(SKIP_1) | instid1(VALU_DEP_2)
	v_lshlrev_b64 v[26:27], 2, v[22:23]
	v_add_nc_u32_e32 v22, 8, v22
	v_add_co_u32 v26, vcc_lo, s6, v26
	s_delay_alu instid0(VALU_DEP_3) | instskip(SKIP_3) | instid1(VALU_DEP_1)
	v_add_co_ci_u32_e32 v27, vcc_lo, s7, v27, vcc_lo
	global_load_b32 v10, v[26:27], off
	v_lshlrev_b64 v[26:27], 4, v[20:21]
	v_add_nc_u32_e32 v20, -14, v19
	v_lshlrev_b64 v[38:39], 4, v[20:21]
	s_delay_alu instid0(VALU_DEP_3) | instskip(NEXT) | instid1(VALU_DEP_4)
	v_add_co_u32 v30, vcc_lo, s8, v26
	v_add_co_ci_u32_e32 v31, vcc_lo, s9, v27, vcc_lo
	global_load_b128 v[26:29], v[30:31], off offset:16
	s_waitcnt vmcnt(1)
	v_subrev_nc_u32_e32 v10, s12, v10
	s_delay_alu instid0(VALU_DEP_1) | instskip(NEXT) | instid1(VALU_DEP_1)
	v_lshl_add_u32 v86, v10, 3, v10
	v_lshlrev_b64 v[32:33], 4, v[86:87]
	v_add_nc_u32_e32 v20, 1, v86
	s_delay_alu instid0(VALU_DEP_1) | instskip(NEXT) | instid1(VALU_DEP_3)
	v_lshlrev_b64 v[44:45], 4, v[20:21]
	v_add_co_u32 v34, vcc_lo, s10, v32
	s_delay_alu instid0(VALU_DEP_4)
	v_add_co_ci_u32_e32 v35, vcc_lo, s11, v33, vcc_lo
	v_add_co_u32 v42, vcc_lo, s8, v38
	global_load_b128 v[30:33], v[30:31], off
	global_load_b128 v[34:37], v[34:35], off
	v_add_co_ci_u32_e32 v43, vcc_lo, s9, v39, vcc_lo
	v_add_co_u32 v46, vcc_lo, s10, v44
	v_add_co_ci_u32_e32 v47, vcc_lo, s11, v45, vcc_lo
	s_clause 0x1
	global_load_b128 v[38:41], v[42:43], off offset:16
	global_load_b128 v[42:45], v[42:43], off
	global_load_b128 v[46:49], v[46:47], off
	v_add_nc_u32_e32 v20, -12, v19
	s_delay_alu instid0(VALU_DEP_1) | instskip(SKIP_1) | instid1(VALU_DEP_1)
	v_lshlrev_b64 v[50:51], 4, v[20:21]
	v_add_nc_u32_e32 v20, 2, v86
	v_lshlrev_b64 v[52:53], 4, v[20:21]
	s_delay_alu instid0(VALU_DEP_3) | instskip(NEXT) | instid1(VALU_DEP_4)
	v_add_co_u32 v54, vcc_lo, s8, v50
	v_add_co_ci_u32_e32 v55, vcc_lo, s9, v51, vcc_lo
	v_add_nc_u32_e32 v20, -10, v19
	s_delay_alu instid0(VALU_DEP_4)
	v_add_co_u32 v58, vcc_lo, s10, v52
	v_add_co_ci_u32_e32 v59, vcc_lo, s11, v53, vcc_lo
	s_clause 0x1
	global_load_b128 v[50:53], v[54:55], off offset:16
	global_load_b128 v[54:57], v[54:55], off
	global_load_b128 v[58:61], v[58:59], off
	v_lshlrev_b64 v[62:63], 4, v[20:21]
	v_add_nc_u32_e32 v20, 3, v86
	s_delay_alu instid0(VALU_DEP_1) | instskip(NEXT) | instid1(VALU_DEP_3)
	v_lshlrev_b64 v[64:65], 4, v[20:21]
	v_add_co_u32 v66, vcc_lo, s8, v62
	s_delay_alu instid0(VALU_DEP_4) | instskip(SKIP_1) | instid1(VALU_DEP_4)
	v_add_co_ci_u32_e32 v67, vcc_lo, s9, v63, vcc_lo
	v_add_nc_u32_e32 v20, -8, v19
	v_add_co_u32 v70, vcc_lo, s10, v64
	v_add_co_ci_u32_e32 v71, vcc_lo, s11, v65, vcc_lo
	s_clause 0x1
	global_load_b128 v[62:65], v[66:67], off offset:16
	global_load_b128 v[66:69], v[66:67], off
	global_load_b128 v[70:73], v[70:71], off
	v_lshlrev_b64 v[74:75], 4, v[20:21]
	v_add_nc_u32_e32 v20, 4, v86
	s_delay_alu instid0(VALU_DEP_1) | instskip(NEXT) | instid1(VALU_DEP_3)
	v_lshlrev_b64 v[76:77], 4, v[20:21]
	v_add_co_u32 v78, vcc_lo, s8, v74
	s_delay_alu instid0(VALU_DEP_4) | instskip(SKIP_1) | instid1(VALU_DEP_4)
	v_add_co_ci_u32_e32 v79, vcc_lo, s9, v75, vcc_lo
	v_add_nc_u32_e32 v20, -6, v19
	v_add_co_u32 v82, vcc_lo, s10, v76
	v_add_co_ci_u32_e32 v83, vcc_lo, s11, v77, vcc_lo
	s_clause 0x1
	global_load_b128 v[74:77], v[78:79], off offset:16
	global_load_b128 v[78:81], v[78:79], off
	global_load_b128 v[82:85], v[82:83], off
	s_waitcnt vmcnt(12)
	v_fma_f64 v[13:14], v[30:31], v[34:35], v[13:14]
	v_fma_f64 v[10:11], v[32:33], v[34:35], v[11:12]
	;; [unrolled: 1-line block ×4, first 2 shown]
	v_lshlrev_b64 v[34:35], 4, v[20:21]
	v_add_nc_u32_e32 v20, 5, v86
	v_fma_f64 v[32:33], -v[32:33], v[36:37], v[13:14]
	v_fma_f64 v[30:31], v[30:31], v[36:37], v[10:11]
	v_fma_f64 v[87:88], -v[28:29], v[36:37], v[15:16]
	v_fma_f64 v[36:37], v[26:27], v[36:37], v[17:18]
	v_lshlrev_b64 v[10:11], 4, v[20:21]
	v_add_co_u32 v14, vcc_lo, s8, v34
	v_add_co_ci_u32_e32 v15, vcc_lo, s9, v35, vcc_lo
	v_add_nc_u32_e32 v20, -4, v19
	s_delay_alu instid0(VALU_DEP_4)
	v_add_co_u32 v26, vcc_lo, s10, v10
	v_add_co_ci_u32_e32 v27, vcc_lo, s11, v11, vcc_lo
	s_clause 0x1
	global_load_b128 v[10:13], v[14:15], off offset:16
	global_load_b128 v[14:17], v[14:15], off
	global_load_b128 v[26:29], v[26:27], off
	s_waitcnt vmcnt(12)
	v_fma_f64 v[32:33], v[42:43], v[46:47], v[32:33]
	v_fma_f64 v[30:31], v[44:45], v[46:47], v[30:31]
	;; [unrolled: 1-line block ×4, first 2 shown]
	v_lshlrev_b64 v[46:47], 4, v[20:21]
	v_add_nc_u32_e32 v20, 6, v86
	v_fma_f64 v[44:45], -v[44:45], v[48:49], v[32:33]
	v_fma_f64 v[42:43], v[42:43], v[48:49], v[30:31]
	v_fma_f64 v[87:88], -v[40:41], v[48:49], v[34:35]
	v_fma_f64 v[48:49], v[38:39], v[48:49], v[36:37]
	v_lshlrev_b64 v[30:31], 4, v[20:21]
	v_add_co_u32 v34, vcc_lo, s8, v46
	v_add_co_ci_u32_e32 v35, vcc_lo, s9, v47, vcc_lo
	v_add_nc_u32_e32 v20, -2, v19
	s_delay_alu instid0(VALU_DEP_4)
	v_add_co_u32 v38, vcc_lo, s10, v30
	v_add_co_ci_u32_e32 v39, vcc_lo, s11, v31, vcc_lo
	s_clause 0x1
	global_load_b128 v[30:33], v[34:35], off offset:16
	global_load_b128 v[34:37], v[34:35], off
	global_load_b128 v[38:41], v[38:39], off
	s_waitcnt vmcnt(12)
	v_fma_f64 v[44:45], v[54:55], v[58:59], v[44:45]
	v_fma_f64 v[42:43], v[56:57], v[58:59], v[42:43]
	;; [unrolled: 1-line block ×4, first 2 shown]
	v_lshlrev_b64 v[58:59], 4, v[20:21]
	v_add_nc_u32_e32 v20, 7, v86
	v_fma_f64 v[56:57], -v[56:57], v[60:61], v[44:45]
	v_fma_f64 v[54:55], v[54:55], v[60:61], v[42:43]
	v_fma_f64 v[87:88], -v[52:53], v[60:61], v[46:47]
	v_fma_f64 v[60:61], v[50:51], v[60:61], v[48:49]
	v_lshlrev_b64 v[42:43], 4, v[20:21]
	v_add_co_u32 v46, vcc_lo, s8, v58
	v_add_co_ci_u32_e32 v47, vcc_lo, s9, v59, vcc_lo
	v_mov_b32_e32 v20, v21
	s_delay_alu instid0(VALU_DEP_4)
	v_add_co_u32 v50, vcc_lo, s10, v42
	v_add_co_ci_u32_e32 v51, vcc_lo, s11, v43, vcc_lo
	s_clause 0x1
	global_load_b128 v[42:45], v[46:47], off offset:16
	global_load_b128 v[46:49], v[46:47], off
	global_load_b128 v[50:53], v[50:51], off
	s_waitcnt vmcnt(12)
	v_fma_f64 v[58:59], v[66:67], v[70:71], v[56:57]
	v_fma_f64 v[89:90], v[68:69], v[70:71], v[54:55]
	;; [unrolled: 1-line block ×4, first 2 shown]
	v_lshlrev_b64 v[54:55], 4, v[19:20]
	v_add_nc_u32_e32 v19, 0x90, v19
	v_add_nc_u32_e32 v20, 8, v86
	s_delay_alu instid0(VALU_DEP_3) | instskip(NEXT) | instid1(VALU_DEP_4)
	v_add_co_u32 v70, vcc_lo, s8, v54
	v_add_co_ci_u32_e32 v71, vcc_lo, s9, v55, vcc_lo
	global_load_b128 v[54:57], v[70:71], off offset:16
	v_fma_f64 v[68:69], -v[68:69], v[72:73], v[58:59]
	v_fma_f64 v[66:67], v[66:67], v[72:73], v[89:90]
	v_fma_f64 v[87:88], -v[64:65], v[72:73], v[87:88]
	v_fma_f64 v[72:73], v[62:63], v[72:73], v[60:61]
	v_lshlrev_b64 v[58:59], 4, v[20:21]
	s_delay_alu instid0(VALU_DEP_1) | instskip(NEXT) | instid1(VALU_DEP_2)
	v_add_co_u32 v62, vcc_lo, s10, v58
	v_add_co_ci_u32_e32 v63, vcc_lo, s11, v59, vcc_lo
	global_load_b128 v[58:61], v[70:71], off
	global_load_b128 v[62:65], v[62:63], off
	v_cmp_ge_i32_e32 vcc_lo, v22, v24
	s_or_b32 s4, vcc_lo, s4
	s_waitcnt vmcnt(12)
	v_fma_f64 v[68:69], v[78:79], v[82:83], v[68:69]
	v_fma_f64 v[66:67], v[80:81], v[82:83], v[66:67]
	;; [unrolled: 1-line block ×4, first 2 shown]
	s_delay_alu instid0(VALU_DEP_4) | instskip(NEXT) | instid1(VALU_DEP_4)
	v_fma_f64 v[68:69], -v[80:81], v[84:85], v[68:69]
	v_fma_f64 v[66:67], v[78:79], v[84:85], v[66:67]
	s_delay_alu instid0(VALU_DEP_4) | instskip(NEXT) | instid1(VALU_DEP_4)
	v_fma_f64 v[70:71], -v[76:77], v[84:85], v[70:71]
	v_fma_f64 v[72:73], v[74:75], v[84:85], v[72:73]
	s_waitcnt vmcnt(9)
	s_delay_alu instid0(VALU_DEP_4) | instskip(NEXT) | instid1(VALU_DEP_4)
	v_fma_f64 v[68:69], v[14:15], v[26:27], v[68:69]
	v_fma_f64 v[66:67], v[16:17], v[26:27], v[66:67]
	s_delay_alu instid0(VALU_DEP_4) | instskip(NEXT) | instid1(VALU_DEP_4)
	v_fma_f64 v[70:71], v[10:11], v[26:27], v[70:71]
	v_fma_f64 v[26:27], v[12:13], v[26:27], v[72:73]
	s_delay_alu instid0(VALU_DEP_4) | instskip(NEXT) | instid1(VALU_DEP_4)
	v_fma_f64 v[16:17], -v[16:17], v[28:29], v[68:69]
	v_fma_f64 v[14:15], v[14:15], v[28:29], v[66:67]
	s_delay_alu instid0(VALU_DEP_4) | instskip(NEXT) | instid1(VALU_DEP_4)
	v_fma_f64 v[12:13], -v[12:13], v[28:29], v[70:71]
	v_fma_f64 v[10:11], v[10:11], v[28:29], v[26:27]
	s_waitcnt vmcnt(6)
	s_delay_alu instid0(VALU_DEP_4) | instskip(NEXT) | instid1(VALU_DEP_4)
	v_fma_f64 v[16:17], v[34:35], v[38:39], v[16:17]
	v_fma_f64 v[14:15], v[36:37], v[38:39], v[14:15]
	s_delay_alu instid0(VALU_DEP_4) | instskip(NEXT) | instid1(VALU_DEP_4)
	v_fma_f64 v[12:13], v[30:31], v[38:39], v[12:13]
	v_fma_f64 v[10:11], v[32:33], v[38:39], v[10:11]
	;; [unrolled: 13-line block ×4, first 2 shown]
	s_delay_alu instid0(VALU_DEP_4) | instskip(NEXT) | instid1(VALU_DEP_4)
	v_fma_f64 v[13:14], -v[60:61], v[64:65], v[16:17]
	v_fma_f64 v[11:12], v[58:59], v[64:65], v[26:27]
	s_delay_alu instid0(VALU_DEP_4) | instskip(NEXT) | instid1(VALU_DEP_4)
	v_fma_f64 v[15:16], -v[56:57], v[64:65], v[28:29]
	v_fma_f64 v[17:18], v[54:55], v[64:65], v[30:31]
	s_and_not1_b32 exec_lo, exec_lo, s4
	s_cbranch_execnz .LBB264_11
; %bb.12:
	s_or_b32 exec_lo, exec_lo, s4
.LBB264_13:
	s_delay_alu instid0(SALU_CYCLE_1)
	s_or_b32 exec_lo, exec_lo, s1
	s_cbranch_execz .LBB264_15
	s_branch .LBB264_20
.LBB264_14:
                                        ; implicit-def: $vgpr11_vgpr12
                                        ; implicit-def: $vgpr13_vgpr14
                                        ; implicit-def: $vgpr15_vgpr16
                                        ; implicit-def: $vgpr17_vgpr18
.LBB264_15:
	v_mov_b32_e32 v11, 0
	v_mov_b32_e32 v12, 0
	s_delay_alu instid0(VALU_DEP_1)
	v_dual_mov_b32 v14, v12 :: v_dual_mov_b32 v13, v11
	v_dual_mov_b32 v16, v12 :: v_dual_mov_b32 v15, v11
	;; [unrolled: 1-line block ×3, first 2 shown]
	s_and_saveexec_b32 s1, s0
	s_cbranch_execz .LBB264_19
; %bb.16:
	v_mov_b32_e32 v11, 0
	v_dual_mov_b32 v12, 0 :: v_dual_mov_b32 v21, 0
	v_mad_u64_u32 v[19:20], null, v9, 18, 17
	s_mov_b32 s0, 0
	s_delay_alu instid0(VALU_DEP_2)
	v_dual_mov_b32 v14, v12 :: v_dual_mov_b32 v13, v11
	v_dual_mov_b32 v16, v12 :: v_dual_mov_b32 v15, v11
	;; [unrolled: 1-line block ×3, first 2 shown]
.LBB264_17:                             ; =>This Inner Loop Header: Depth=1
	v_ashrrev_i32_e32 v10, 31, v9
	v_subrev_nc_u32_e32 v20, 17, v19
	v_add_nc_u32_e32 v26, -8, v19
	s_delay_alu instid0(VALU_DEP_3) | instskip(NEXT) | instid1(VALU_DEP_3)
	v_lshlrev_b64 v[22:23], 2, v[9:10]
	v_lshlrev_b64 v[28:29], 4, v[20:21]
	v_add_nc_u32_e32 v9, 8, v9
	s_delay_alu instid0(VALU_DEP_3) | instskip(NEXT) | instid1(VALU_DEP_4)
	v_add_co_u32 v22, vcc_lo, s6, v22
	v_add_co_ci_u32_e32 v23, vcc_lo, s7, v23, vcc_lo
	s_delay_alu instid0(VALU_DEP_4)
	v_add_co_u32 v30, vcc_lo, s8, v28
	v_add_co_ci_u32_e32 v31, vcc_lo, s9, v29, vcc_lo
	global_load_b32 v10, v[22:23], off
	v_mov_b32_e32 v23, v21
	s_waitcnt vmcnt(0)
	v_subrev_nc_u32_e32 v10, s12, v10
	s_delay_alu instid0(VALU_DEP_1) | instskip(NEXT) | instid1(VALU_DEP_1)
	v_lshl_add_u32 v22, v10, 3, v10
	v_dual_mov_b32 v27, v21 :: v_dual_add_nc_u32 v20, 1, v22
	s_delay_alu instid0(VALU_DEP_1) | instskip(SKIP_1) | instid1(VALU_DEP_3)
	v_lshlrev_b64 v[26:27], 4, v[26:27]
	v_lshlrev_b64 v[38:39], 4, v[22:23]
	;; [unrolled: 1-line block ×3, first 2 shown]
	v_add_nc_u32_e32 v20, -7, v19
	s_delay_alu instid0(VALU_DEP_4)
	v_add_co_u32 v34, vcc_lo, s8, v26
	v_add_co_ci_u32_e32 v35, vcc_lo, s9, v27, vcc_lo
	v_add_co_u32 v38, vcc_lo, s10, v38
	v_add_co_ci_u32_e32 v39, vcc_lo, s11, v39, vcc_lo
	s_clause 0x2
	global_load_b128 v[26:29], v[30:31], off offset:16
	global_load_b128 v[30:33], v[30:31], off
	global_load_b128 v[34:37], v[34:35], off
	v_lshlrev_b64 v[44:45], 4, v[20:21]
	v_add_co_u32 v42, vcc_lo, s10, v42
	global_load_b128 v[38:41], v[38:39], off
	v_add_co_ci_u32_e32 v43, vcc_lo, s11, v43, vcc_lo
	v_add_co_u32 v46, vcc_lo, s8, v44
	v_add_co_ci_u32_e32 v47, vcc_lo, s9, v45, vcc_lo
	global_load_b128 v[42:45], v[42:43], off
	global_load_b128 v[46:49], v[46:47], off
	v_add_nc_u32_e32 v20, -15, v19
	s_delay_alu instid0(VALU_DEP_1) | instskip(SKIP_1) | instid1(VALU_DEP_1)
	v_lshlrev_b64 v[50:51], 4, v[20:21]
	v_add_nc_u32_e32 v20, 2, v22
	v_lshlrev_b64 v[54:55], 4, v[20:21]
	v_add_nc_u32_e32 v20, -6, v19
	s_delay_alu instid0(VALU_DEP_4) | instskip(SKIP_1) | instid1(VALU_DEP_3)
	v_add_co_u32 v50, vcc_lo, s8, v50
	v_add_co_ci_u32_e32 v51, vcc_lo, s9, v51, vcc_lo
	v_lshlrev_b64 v[56:57], 4, v[20:21]
	v_add_co_u32 v54, vcc_lo, s10, v54
	v_add_co_ci_u32_e32 v55, vcc_lo, s11, v55, vcc_lo
	global_load_b128 v[50:53], v[50:51], off
	v_add_co_u32 v58, vcc_lo, s8, v56
	v_add_co_ci_u32_e32 v59, vcc_lo, s9, v57, vcc_lo
	global_load_b128 v[54:57], v[54:55], off
	global_load_b128 v[58:61], v[58:59], off
	v_add_nc_u32_e32 v20, -14, v19
	s_delay_alu instid0(VALU_DEP_1) | instskip(SKIP_1) | instid1(VALU_DEP_1)
	v_lshlrev_b64 v[62:63], 4, v[20:21]
	v_add_nc_u32_e32 v20, 3, v22
	v_lshlrev_b64 v[64:65], 4, v[20:21]
	v_add_nc_u32_e32 v20, -5, v19
	s_delay_alu instid0(VALU_DEP_4) | instskip(SKIP_1) | instid1(VALU_DEP_3)
	v_add_co_u32 v62, vcc_lo, s8, v62
	v_add_co_ci_u32_e32 v63, vcc_lo, s9, v63, vcc_lo
	v_lshlrev_b64 v[66:67], 4, v[20:21]
	v_add_co_u32 v68, vcc_lo, s10, v64
	v_add_co_ci_u32_e32 v69, vcc_lo, s11, v65, vcc_lo
	v_add_nc_u32_e32 v20, -13, v19
	s_delay_alu instid0(VALU_DEP_4)
	v_add_co_u32 v70, vcc_lo, s8, v66
	v_add_co_ci_u32_e32 v71, vcc_lo, s9, v67, vcc_lo
	global_load_b128 v[62:65], v[62:63], off
	global_load_b128 v[66:69], v[68:69], off
	;; [unrolled: 1-line block ×3, first 2 shown]
	v_lshlrev_b64 v[74:75], 4, v[20:21]
	v_add_nc_u32_e32 v20, 4, v22
	s_delay_alu instid0(VALU_DEP_1) | instskip(SKIP_1) | instid1(VALU_DEP_4)
	v_lshlrev_b64 v[76:77], 4, v[20:21]
	v_add_nc_u32_e32 v20, -4, v19
	v_add_co_u32 v74, vcc_lo, s8, v74
	v_add_co_ci_u32_e32 v75, vcc_lo, s9, v75, vcc_lo
	s_delay_alu instid0(VALU_DEP_3) | instskip(SKIP_3) | instid1(VALU_DEP_4)
	v_lshlrev_b64 v[78:79], 4, v[20:21]
	v_add_co_u32 v80, vcc_lo, s10, v76
	v_add_co_ci_u32_e32 v81, vcc_lo, s11, v77, vcc_lo
	v_add_nc_u32_e32 v20, -12, v19
	v_add_co_u32 v82, vcc_lo, s8, v78
	v_add_co_ci_u32_e32 v83, vcc_lo, s9, v79, vcc_lo
	global_load_b128 v[74:77], v[74:75], off
	global_load_b128 v[78:81], v[80:81], off
	;; [unrolled: 1-line block ×3, first 2 shown]
	s_waitcnt vmcnt(11)
	v_fma_f64 v[13:14], v[30:31], v[38:39], v[13:14]
	v_fma_f64 v[10:11], v[32:33], v[38:39], v[11:12]
	;; [unrolled: 1-line block ×4, first 2 shown]
	v_lshlrev_b64 v[38:39], 4, v[20:21]
	v_add_nc_u32_e32 v20, 5, v22
	s_delay_alu instid0(VALU_DEP_2)
	v_add_co_u32 v12, vcc_lo, s8, v38
	v_fma_f64 v[86:87], -v[32:33], v[40:41], v[13:14]
	v_fma_f64 v[88:89], v[30:31], v[40:41], v[10:11]
	v_fma_f64 v[36:37], -v[36:37], v[40:41], v[15:16]
	v_fma_f64 v[34:35], v[34:35], v[40:41], v[17:18]
	v_lshlrev_b64 v[10:11], 4, v[20:21]
	v_add_nc_u32_e32 v20, -3, v19
	v_add_co_ci_u32_e32 v13, vcc_lo, s9, v39, vcc_lo
	s_delay_alu instid0(VALU_DEP_2) | instskip(NEXT) | instid1(VALU_DEP_4)
	v_lshlrev_b64 v[14:15], 4, v[20:21]
	v_add_co_u32 v16, vcc_lo, s10, v10
	v_add_co_ci_u32_e32 v17, vcc_lo, s11, v11, vcc_lo
	v_add_nc_u32_e32 v20, -11, v19
	s_delay_alu instid0(VALU_DEP_4)
	v_add_co_u32 v30, vcc_lo, s8, v14
	v_add_co_ci_u32_e32 v31, vcc_lo, s9, v15, vcc_lo
	global_load_b128 v[10:13], v[12:13], off
	global_load_b128 v[14:17], v[16:17], off
	;; [unrolled: 1-line block ×3, first 2 shown]
	s_waitcnt vmcnt(13)
	v_fma_f64 v[38:39], v[26:27], v[42:43], v[86:87]
	v_fma_f64 v[40:41], v[28:29], v[42:43], v[88:89]
	s_waitcnt vmcnt(12)
	v_fma_f64 v[36:37], v[46:47], v[42:43], v[36:37]
	v_fma_f64 v[34:35], v[48:49], v[42:43], v[34:35]
	v_lshlrev_b64 v[42:43], 4, v[20:21]
	v_add_nc_u32_e32 v20, 6, v22
	v_fma_f64 v[86:87], -v[28:29], v[44:45], v[38:39]
	v_fma_f64 v[88:89], v[26:27], v[44:45], v[40:41]
	v_fma_f64 v[48:49], -v[48:49], v[44:45], v[36:37]
	v_fma_f64 v[44:45], v[46:47], v[44:45], v[34:35]
	v_lshlrev_b64 v[26:27], 4, v[20:21]
	v_add_nc_u32_e32 v20, -2, v19
	v_add_co_u32 v28, vcc_lo, s8, v42
	v_add_co_ci_u32_e32 v29, vcc_lo, s9, v43, vcc_lo
	s_delay_alu instid0(VALU_DEP_3) | instskip(SKIP_3) | instid1(VALU_DEP_4)
	v_lshlrev_b64 v[34:35], 4, v[20:21]
	v_add_co_u32 v36, vcc_lo, s10, v26
	v_add_co_ci_u32_e32 v37, vcc_lo, s11, v27, vcc_lo
	v_add_nc_u32_e32 v20, -10, v19
	v_add_co_u32 v38, vcc_lo, s8, v34
	v_add_co_ci_u32_e32 v39, vcc_lo, s9, v35, vcc_lo
	global_load_b128 v[26:29], v[28:29], off
	global_load_b128 v[34:37], v[36:37], off
	;; [unrolled: 1-line block ×3, first 2 shown]
	s_waitcnt vmcnt(13)
	v_fma_f64 v[42:43], v[50:51], v[54:55], v[86:87]
	v_fma_f64 v[46:47], v[52:53], v[54:55], v[88:89]
	s_waitcnt vmcnt(12)
	v_fma_f64 v[48:49], v[58:59], v[54:55], v[48:49]
	v_fma_f64 v[44:45], v[60:61], v[54:55], v[44:45]
	v_lshlrev_b64 v[54:55], 4, v[20:21]
	v_add_nc_u32_e32 v20, 7, v22
	v_fma_f64 v[86:87], -v[52:53], v[56:57], v[42:43]
	v_fma_f64 v[88:89], v[50:51], v[56:57], v[46:47]
	v_fma_f64 v[60:61], -v[60:61], v[56:57], v[48:49]
	v_fma_f64 v[56:57], v[58:59], v[56:57], v[44:45]
	v_lshlrev_b64 v[42:43], 4, v[20:21]
	v_add_nc_u32_e32 v20, -1, v19
	v_add_co_u32 v44, vcc_lo, s8, v54
	v_add_co_ci_u32_e32 v45, vcc_lo, s9, v55, vcc_lo
	s_delay_alu instid0(VALU_DEP_3) | instskip(SKIP_3) | instid1(VALU_DEP_4)
	v_lshlrev_b64 v[46:47], 4, v[20:21]
	v_add_co_u32 v48, vcc_lo, s10, v42
	v_add_co_ci_u32_e32 v49, vcc_lo, s11, v43, vcc_lo
	v_mov_b32_e32 v20, v21
	v_add_co_u32 v50, vcc_lo, s8, v46
	v_add_co_ci_u32_e32 v51, vcc_lo, s9, v47, vcc_lo
	global_load_b128 v[42:45], v[44:45], off
	global_load_b128 v[46:49], v[48:49], off
	;; [unrolled: 1-line block ×3, first 2 shown]
	v_lshlrev_b64 v[54:55], 4, v[19:20]
	v_add_nc_u32_e32 v20, -9, v19
	v_add_nc_u32_e32 v19, 0x90, v19
	s_delay_alu instid0(VALU_DEP_3) | instskip(NEXT) | instid1(VALU_DEP_4)
	v_add_co_u32 v54, vcc_lo, s8, v54
	v_add_co_ci_u32_e32 v55, vcc_lo, s9, v55, vcc_lo
	s_waitcnt vmcnt(13)
	v_fma_f64 v[58:59], v[62:63], v[66:67], v[86:87]
	v_fma_f64 v[86:87], v[64:65], v[66:67], v[88:89]
	s_waitcnt vmcnt(12)
	v_fma_f64 v[60:61], v[70:71], v[66:67], v[60:61]
	v_fma_f64 v[66:67], v[72:73], v[66:67], v[56:57]
	v_lshlrev_b64 v[88:89], 4, v[20:21]
	v_add_nc_u32_e32 v20, 8, v22
	global_load_b128 v[54:57], v[54:55], off
	v_lshlrev_b64 v[22:23], 4, v[20:21]
	v_fma_f64 v[90:91], -v[64:65], v[68:69], v[58:59]
	v_fma_f64 v[86:87], v[62:63], v[68:69], v[86:87]
	v_fma_f64 v[72:73], -v[72:73], v[68:69], v[60:61]
	v_fma_f64 v[66:67], v[70:71], v[68:69], v[66:67]
	v_add_co_u32 v58, vcc_lo, s8, v88
	v_add_co_ci_u32_e32 v59, vcc_lo, s9, v89, vcc_lo
	v_add_co_u32 v22, vcc_lo, s10, v22
	v_add_co_ci_u32_e32 v23, vcc_lo, s11, v23, vcc_lo
	global_load_b128 v[58:61], v[58:59], off
	global_load_b128 v[62:65], v[22:23], off
	v_cmp_ge_i32_e32 vcc_lo, v9, v24
	s_or_b32 s0, vcc_lo, s0
	s_waitcnt vmcnt(13)
	v_fma_f64 v[22:23], v[74:75], v[78:79], v[90:91]
	v_fma_f64 v[68:69], v[76:77], v[78:79], v[86:87]
	s_waitcnt vmcnt(12)
	v_fma_f64 v[70:71], v[82:83], v[78:79], v[72:73]
	v_fma_f64 v[66:67], v[84:85], v[78:79], v[66:67]
	s_delay_alu instid0(VALU_DEP_4) | instskip(NEXT) | instid1(VALU_DEP_4)
	v_fma_f64 v[22:23], -v[76:77], v[80:81], v[22:23]
	v_fma_f64 v[68:69], v[74:75], v[80:81], v[68:69]
	s_delay_alu instid0(VALU_DEP_4) | instskip(NEXT) | instid1(VALU_DEP_4)
	v_fma_f64 v[70:71], -v[84:85], v[80:81], v[70:71]
	v_fma_f64 v[66:67], v[82:83], v[80:81], v[66:67]
	s_waitcnt vmcnt(10)
	s_delay_alu instid0(VALU_DEP_4) | instskip(NEXT) | instid1(VALU_DEP_4)
	v_fma_f64 v[22:23], v[10:11], v[14:15], v[22:23]
	v_fma_f64 v[68:69], v[12:13], v[14:15], v[68:69]
	s_waitcnt vmcnt(9)
	s_delay_alu instid0(VALU_DEP_4) | instskip(NEXT) | instid1(VALU_DEP_4)
	v_fma_f64 v[70:71], v[30:31], v[14:15], v[70:71]
	v_fma_f64 v[14:15], v[32:33], v[14:15], v[66:67]
	s_delay_alu instid0(VALU_DEP_4) | instskip(NEXT) | instid1(VALU_DEP_4)
	v_fma_f64 v[12:13], -v[12:13], v[16:17], v[22:23]
	v_fma_f64 v[10:11], v[10:11], v[16:17], v[68:69]
	s_delay_alu instid0(VALU_DEP_4) | instskip(NEXT) | instid1(VALU_DEP_4)
	v_fma_f64 v[22:23], -v[32:33], v[16:17], v[70:71]
	v_fma_f64 v[14:15], v[30:31], v[16:17], v[14:15]
	s_waitcnt vmcnt(7)
	s_delay_alu instid0(VALU_DEP_4) | instskip(NEXT) | instid1(VALU_DEP_4)
	v_fma_f64 v[12:13], v[26:27], v[34:35], v[12:13]
	v_fma_f64 v[10:11], v[28:29], v[34:35], v[10:11]
	s_waitcnt vmcnt(6)
	s_delay_alu instid0(VALU_DEP_4) | instskip(NEXT) | instid1(VALU_DEP_4)
	;; [unrolled: 14-line block ×3, first 2 shown]
	v_fma_f64 v[16:17], v[50:51], v[46:47], v[16:17]
	v_fma_f64 v[14:15], v[52:53], v[46:47], v[14:15]
	s_delay_alu instid0(VALU_DEP_4) | instskip(NEXT) | instid1(VALU_DEP_4)
	v_fma_f64 v[12:13], -v[44:45], v[48:49], v[12:13]
	v_fma_f64 v[10:11], v[42:43], v[48:49], v[10:11]
	s_delay_alu instid0(VALU_DEP_4) | instskip(NEXT) | instid1(VALU_DEP_4)
	v_fma_f64 v[16:17], -v[52:53], v[48:49], v[16:17]
	v_fma_f64 v[14:15], v[50:51], v[48:49], v[14:15]
	s_waitcnt vmcnt(0)
	s_delay_alu instid0(VALU_DEP_4) | instskip(NEXT) | instid1(VALU_DEP_4)
	v_fma_f64 v[12:13], v[58:59], v[62:63], v[12:13]
	v_fma_f64 v[10:11], v[60:61], v[62:63], v[10:11]
	s_delay_alu instid0(VALU_DEP_4) | instskip(NEXT) | instid1(VALU_DEP_4)
	v_fma_f64 v[16:17], v[54:55], v[62:63], v[16:17]
	v_fma_f64 v[22:23], v[56:57], v[62:63], v[14:15]
	s_delay_alu instid0(VALU_DEP_4) | instskip(NEXT) | instid1(VALU_DEP_4)
	v_fma_f64 v[13:14], -v[60:61], v[64:65], v[12:13]
	v_fma_f64 v[11:12], v[58:59], v[64:65], v[10:11]
	s_delay_alu instid0(VALU_DEP_4) | instskip(NEXT) | instid1(VALU_DEP_4)
	v_fma_f64 v[15:16], -v[56:57], v[64:65], v[16:17]
	v_fma_f64 v[17:18], v[54:55], v[64:65], v[22:23]
	s_and_not1_b32 exec_lo, exec_lo, s0
	s_cbranch_execnz .LBB264_17
; %bb.18:
	s_or_b32 exec_lo, exec_lo, s0
.LBB264_19:
	s_delay_alu instid0(SALU_CYCLE_1)
	s_or_b32 exec_lo, exec_lo, s1
.LBB264_20:
	v_mbcnt_lo_u32_b32 v26, -1, 0
	s_delay_alu instid0(VALU_DEP_1) | instskip(NEXT) | instid1(VALU_DEP_1)
	v_xor_b32_e32 v9, 4, v26
	v_cmp_gt_i32_e32 vcc_lo, 32, v9
	v_cndmask_b32_e32 v9, v26, v9, vcc_lo
	s_delay_alu instid0(VALU_DEP_1)
	v_lshlrev_b32_e32 v24, 2, v9
	ds_bpermute_b32 v9, v24, v13
	ds_bpermute_b32 v10, v24, v14
	;; [unrolled: 1-line block ×4, first 2 shown]
	s_waitcnt lgkmcnt(2)
	v_add_f64 v[9:10], v[13:14], v[9:10]
	s_waitcnt lgkmcnt(0)
	v_add_f64 v[13:14], v[15:16], v[21:22]
	v_xor_b32_e32 v15, 2, v26
	s_delay_alu instid0(VALU_DEP_1)
	v_cmp_gt_i32_e32 vcc_lo, 32, v15
	v_cndmask_b32_e32 v15, v26, v15, vcc_lo
	ds_bpermute_b32 v19, v24, v11
	ds_bpermute_b32 v20, v24, v12
	;; [unrolled: 1-line block ×4, first 2 shown]
	s_waitcnt lgkmcnt(2)
	v_add_f64 v[11:12], v[11:12], v[19:20]
	s_waitcnt lgkmcnt(0)
	v_add_f64 v[17:18], v[17:18], v[23:24]
	v_lshlrev_b32_e32 v24, 2, v15
	ds_bpermute_b32 v15, v24, v9
	ds_bpermute_b32 v16, v24, v10
	;; [unrolled: 1-line block ×4, first 2 shown]
	s_waitcnt lgkmcnt(2)
	v_add_f64 v[9:10], v[9:10], v[15:16]
	ds_bpermute_b32 v19, v24, v11
	ds_bpermute_b32 v20, v24, v12
	;; [unrolled: 1-line block ×4, first 2 shown]
	s_waitcnt lgkmcnt(2)
	v_add_f64 v[15:16], v[11:12], v[19:20]
	v_add_f64 v[11:12], v[13:14], v[21:22]
	s_waitcnt lgkmcnt(0)
	v_add_f64 v[13:14], v[17:18], v[23:24]
	v_xor_b32_e32 v17, 1, v26
	s_delay_alu instid0(VALU_DEP_1) | instskip(SKIP_2) | instid1(VALU_DEP_2)
	v_cmp_gt_i32_e32 vcc_lo, 32, v17
	v_cndmask_b32_e32 v17, v26, v17, vcc_lo
	v_cmp_eq_u32_e32 vcc_lo, 7, v25
	v_lshlrev_b32_e32 v20, 2, v17
	ds_bpermute_b32 v23, v20, v9
	ds_bpermute_b32 v24, v20, v10
	;; [unrolled: 1-line block ×8, first 2 shown]
	s_and_b32 exec_lo, exec_lo, vcc_lo
	s_cbranch_execz .LBB264_25
; %bb.21:
	v_cmp_eq_f64_e32 vcc_lo, 0, v[4:5]
	v_cmp_eq_f64_e64 s0, 0, v[6:7]
	s_waitcnt lgkmcnt(6)
	v_add_f64 v[9:10], v[9:10], v[23:24]
	s_waitcnt lgkmcnt(4)
	v_add_f64 v[15:16], v[15:16], v[21:22]
	;; [unrolled: 2-line block ×4, first 2 shown]
	s_load_b64 s[2:3], s[2:3], 0x48
	s_and_b32 s0, vcc_lo, s0
	s_delay_alu instid0(SALU_CYCLE_1) | instskip(NEXT) | instid1(SALU_CYCLE_1)
	s_and_saveexec_b32 s1, s0
	s_xor_b32 s0, exec_lo, s1
	s_cbranch_execz .LBB264_23
; %bb.22:
	s_delay_alu instid0(VALU_DEP_3) | instskip(SKIP_1) | instid1(VALU_DEP_3)
	v_mul_f64 v[4:5], v[15:16], -v[2:3]
	v_mul_f64 v[6:7], v[0:1], v[15:16]
	v_mul_f64 v[15:16], v[13:14], -v[2:3]
	v_mul_f64 v[13:14], v[0:1], v[13:14]
	v_lshlrev_b32_e32 v8, 1, v8
	v_fma_f64 v[4:5], v[0:1], v[9:10], v[4:5]
	v_fma_f64 v[6:7], v[2:3], v[9:10], v[6:7]
	v_fma_f64 v[0:1], v[0:1], v[11:12], v[15:16]
	v_fma_f64 v[2:3], v[2:3], v[11:12], v[13:14]
	v_ashrrev_i32_e32 v9, 31, v8
                                        ; implicit-def: $vgpr15_vgpr16
                                        ; implicit-def: $vgpr11_vgpr12
                                        ; implicit-def: $vgpr13_vgpr14
	s_delay_alu instid0(VALU_DEP_1) | instskip(SKIP_1) | instid1(VALU_DEP_1)
	v_lshlrev_b64 v[8:9], 4, v[8:9]
	s_waitcnt lgkmcnt(0)
	v_add_co_u32 v8, vcc_lo, s2, v8
	s_delay_alu instid0(VALU_DEP_2)
	v_add_co_ci_u32_e32 v9, vcc_lo, s3, v9, vcc_lo
	s_clause 0x1
	global_store_b128 v[8:9], v[4:7], off
	global_store_b128 v[8:9], v[0:3], off offset:16
                                        ; implicit-def: $vgpr0_vgpr1
                                        ; implicit-def: $vgpr2_vgpr3
                                        ; implicit-def: $vgpr4_vgpr5
                                        ; implicit-def: $vgpr6_vgpr7
                                        ; implicit-def: $vgpr8
                                        ; implicit-def: $vgpr9_vgpr10
.LBB264_23:
	s_and_not1_saveexec_b32 s0, s0
	s_cbranch_execz .LBB264_25
; %bb.24:
	v_lshlrev_b32_e32 v17, 1, v8
	s_delay_alu instid0(VALU_DEP_4) | instskip(SKIP_1) | instid1(VALU_DEP_4)
	v_mul_f64 v[27:28], v[15:16], -v[2:3]
	v_mul_f64 v[15:16], v[0:1], v[15:16]
	v_mul_f64 v[29:30], v[13:14], -v[2:3]
	v_mul_f64 v[13:14], v[0:1], v[13:14]
	v_ashrrev_i32_e32 v18, 31, v17
	s_delay_alu instid0(VALU_DEP_1) | instskip(SKIP_1) | instid1(VALU_DEP_1)
	v_lshlrev_b64 v[17:18], 4, v[17:18]
	s_waitcnt lgkmcnt(0)
	v_add_co_u32 v25, vcc_lo, s2, v17
	s_delay_alu instid0(VALU_DEP_2)
	v_add_co_ci_u32_e32 v26, vcc_lo, s3, v18, vcc_lo
	s_clause 0x1
	global_load_b128 v[17:20], v[25:26], off
	global_load_b128 v[21:24], v[25:26], off offset:16
	v_fma_f64 v[27:28], v[0:1], v[9:10], v[27:28]
	v_fma_f64 v[8:9], v[2:3], v[9:10], v[15:16]
	;; [unrolled: 1-line block ×4, first 2 shown]
	s_waitcnt vmcnt(1)
	s_delay_alu instid0(VALU_DEP_4) | instskip(NEXT) | instid1(VALU_DEP_4)
	v_fma_f64 v[10:11], v[4:5], v[17:18], v[27:28]
	v_fma_f64 v[8:9], v[6:7], v[17:18], v[8:9]
	s_waitcnt vmcnt(0)
	s_delay_alu instid0(VALU_DEP_4) | instskip(NEXT) | instid1(VALU_DEP_4)
	v_fma_f64 v[12:13], v[4:5], v[21:22], v[0:1]
	v_fma_f64 v[14:15], v[6:7], v[21:22], v[2:3]
	s_delay_alu instid0(VALU_DEP_4) | instskip(NEXT) | instid1(VALU_DEP_4)
	v_fma_f64 v[0:1], -v[6:7], v[19:20], v[10:11]
	v_fma_f64 v[2:3], v[4:5], v[19:20], v[8:9]
	s_delay_alu instid0(VALU_DEP_4) | instskip(NEXT) | instid1(VALU_DEP_4)
	v_fma_f64 v[6:7], -v[6:7], v[23:24], v[12:13]
	v_fma_f64 v[8:9], v[4:5], v[23:24], v[14:15]
	s_clause 0x1
	global_store_b128 v[25:26], v[0:3], off
	global_store_b128 v[25:26], v[6:9], off offset:16
.LBB264_25:
	s_nop 0
	s_sendmsg sendmsg(MSG_DEALLOC_VGPRS)
	s_endpgm
	.section	.rodata,"a",@progbits
	.p2align	6, 0x0
	.amdhsa_kernel _ZN9rocsparseL19gebsrmvn_2xn_kernelILj128ELj9ELj8E21rocsparse_complex_numIdEEEvi20rocsparse_direction_NS_24const_host_device_scalarIT2_EEPKiS8_PKS5_SA_S6_PS5_21rocsparse_index_base_b
		.amdhsa_group_segment_fixed_size 2048
		.amdhsa_private_segment_fixed_size 0
		.amdhsa_kernarg_size 88
		.amdhsa_user_sgpr_count 15
		.amdhsa_user_sgpr_dispatch_ptr 1
		.amdhsa_user_sgpr_queue_ptr 0
		.amdhsa_user_sgpr_kernarg_segment_ptr 1
		.amdhsa_user_sgpr_dispatch_id 0
		.amdhsa_user_sgpr_private_segment_size 0
		.amdhsa_wavefront_size32 1
		.amdhsa_uses_dynamic_stack 0
		.amdhsa_enable_private_segment 0
		.amdhsa_system_sgpr_workgroup_id_x 1
		.amdhsa_system_sgpr_workgroup_id_y 0
		.amdhsa_system_sgpr_workgroup_id_z 0
		.amdhsa_system_sgpr_workgroup_info 0
		.amdhsa_system_vgpr_workitem_id 2
		.amdhsa_next_free_vgpr 92
		.amdhsa_next_free_sgpr 18
		.amdhsa_reserve_vcc 1
		.amdhsa_float_round_mode_32 0
		.amdhsa_float_round_mode_16_64 0
		.amdhsa_float_denorm_mode_32 3
		.amdhsa_float_denorm_mode_16_64 3
		.amdhsa_dx10_clamp 1
		.amdhsa_ieee_mode 1
		.amdhsa_fp16_overflow 0
		.amdhsa_workgroup_processor_mode 1
		.amdhsa_memory_ordered 1
		.amdhsa_forward_progress 0
		.amdhsa_shared_vgpr_count 0
		.amdhsa_exception_fp_ieee_invalid_op 0
		.amdhsa_exception_fp_denorm_src 0
		.amdhsa_exception_fp_ieee_div_zero 0
		.amdhsa_exception_fp_ieee_overflow 0
		.amdhsa_exception_fp_ieee_underflow 0
		.amdhsa_exception_fp_ieee_inexact 0
		.amdhsa_exception_int_div_zero 0
	.end_amdhsa_kernel
	.section	.text._ZN9rocsparseL19gebsrmvn_2xn_kernelILj128ELj9ELj8E21rocsparse_complex_numIdEEEvi20rocsparse_direction_NS_24const_host_device_scalarIT2_EEPKiS8_PKS5_SA_S6_PS5_21rocsparse_index_base_b,"axG",@progbits,_ZN9rocsparseL19gebsrmvn_2xn_kernelILj128ELj9ELj8E21rocsparse_complex_numIdEEEvi20rocsparse_direction_NS_24const_host_device_scalarIT2_EEPKiS8_PKS5_SA_S6_PS5_21rocsparse_index_base_b,comdat
.Lfunc_end264:
	.size	_ZN9rocsparseL19gebsrmvn_2xn_kernelILj128ELj9ELj8E21rocsparse_complex_numIdEEEvi20rocsparse_direction_NS_24const_host_device_scalarIT2_EEPKiS8_PKS5_SA_S6_PS5_21rocsparse_index_base_b, .Lfunc_end264-_ZN9rocsparseL19gebsrmvn_2xn_kernelILj128ELj9ELj8E21rocsparse_complex_numIdEEEvi20rocsparse_direction_NS_24const_host_device_scalarIT2_EEPKiS8_PKS5_SA_S6_PS5_21rocsparse_index_base_b
                                        ; -- End function
	.section	.AMDGPU.csdata,"",@progbits
; Kernel info:
; codeLenInByte = 4756
; NumSgprs: 20
; NumVgprs: 92
; ScratchSize: 0
; MemoryBound: 0
; FloatMode: 240
; IeeeMode: 1
; LDSByteSize: 2048 bytes/workgroup (compile time only)
; SGPRBlocks: 2
; VGPRBlocks: 11
; NumSGPRsForWavesPerEU: 20
; NumVGPRsForWavesPerEU: 92
; Occupancy: 16
; WaveLimiterHint : 1
; COMPUTE_PGM_RSRC2:SCRATCH_EN: 0
; COMPUTE_PGM_RSRC2:USER_SGPR: 15
; COMPUTE_PGM_RSRC2:TRAP_HANDLER: 0
; COMPUTE_PGM_RSRC2:TGID_X_EN: 1
; COMPUTE_PGM_RSRC2:TGID_Y_EN: 0
; COMPUTE_PGM_RSRC2:TGID_Z_EN: 0
; COMPUTE_PGM_RSRC2:TIDIG_COMP_CNT: 2
	.section	.text._ZN9rocsparseL19gebsrmvn_2xn_kernelILj128ELj9ELj16E21rocsparse_complex_numIdEEEvi20rocsparse_direction_NS_24const_host_device_scalarIT2_EEPKiS8_PKS5_SA_S6_PS5_21rocsparse_index_base_b,"axG",@progbits,_ZN9rocsparseL19gebsrmvn_2xn_kernelILj128ELj9ELj16E21rocsparse_complex_numIdEEEvi20rocsparse_direction_NS_24const_host_device_scalarIT2_EEPKiS8_PKS5_SA_S6_PS5_21rocsparse_index_base_b,comdat
	.globl	_ZN9rocsparseL19gebsrmvn_2xn_kernelILj128ELj9ELj16E21rocsparse_complex_numIdEEEvi20rocsparse_direction_NS_24const_host_device_scalarIT2_EEPKiS8_PKS5_SA_S6_PS5_21rocsparse_index_base_b ; -- Begin function _ZN9rocsparseL19gebsrmvn_2xn_kernelILj128ELj9ELj16E21rocsparse_complex_numIdEEEvi20rocsparse_direction_NS_24const_host_device_scalarIT2_EEPKiS8_PKS5_SA_S6_PS5_21rocsparse_index_base_b
	.p2align	8
	.type	_ZN9rocsparseL19gebsrmvn_2xn_kernelILj128ELj9ELj16E21rocsparse_complex_numIdEEEvi20rocsparse_direction_NS_24const_host_device_scalarIT2_EEPKiS8_PKS5_SA_S6_PS5_21rocsparse_index_base_b,@function
_ZN9rocsparseL19gebsrmvn_2xn_kernelILj128ELj9ELj16E21rocsparse_complex_numIdEEEvi20rocsparse_direction_NS_24const_host_device_scalarIT2_EEPKiS8_PKS5_SA_S6_PS5_21rocsparse_index_base_b: ; @_ZN9rocsparseL19gebsrmvn_2xn_kernelILj128ELj9ELj16E21rocsparse_complex_numIdEEEvi20rocsparse_direction_NS_24const_host_device_scalarIT2_EEPKiS8_PKS5_SA_S6_PS5_21rocsparse_index_base_b
; %bb.0:
	s_load_b64 s[12:13], s[2:3], 0x50
	s_load_b64 s[16:17], s[0:1], 0x4
	s_load_b128 s[8:11], s[2:3], 0x8
	v_bfe_u32 v1, v0, 10, 10
	s_mov_b64 s[0:1], src_shared_base
	s_load_b128 s[4:7], s[2:3], 0x38
	v_and_b32_e32 v10, 0x3ff, v0
	v_bfe_u32 v0, v0, 20, 10
	s_waitcnt lgkmcnt(0)
	s_bitcmp1_b32 s13, 0
	v_mul_u32_u24_e32 v1, s17, v1
	s_cselect_b32 s0, -1, 0
	s_delay_alu instid0(SALU_CYCLE_1)
	s_and_b32 vcc_lo, s0, exec_lo
	s_cselect_b32 s13, s1, s9
	s_lshr_b32 s14, s16, 16
	v_dual_mov_b32 v2, s4 :: v_dual_mov_b32 v3, s5
	s_mul_i32 s14, s14, s17
	v_mov_b32_e32 v6, s13
	v_mad_u32_u24 v1, s14, v10, v1
	s_delay_alu instid0(VALU_DEP_1) | instskip(SKIP_1) | instid1(VALU_DEP_2)
	v_add_lshl_u32 v4, v1, v0, 3
	v_dual_mov_b32 v0, s8 :: v_dual_mov_b32 v1, s9
	v_add_nc_u32_e32 v5, 0x400, v4
	ds_store_2addr_stride64_b64 v4, v[2:3], v[0:1] offset1:2
	v_dual_mov_b32 v2, s10 :: v_dual_mov_b32 v3, s11
	v_cndmask_b32_e64 v5, s8, v5, s0
	s_xor_b32 s10, s0, -1
	flat_load_b64 v[0:1], v[5:6]
	s_cbranch_vccnz .LBB265_2
; %bb.1:
	v_dual_mov_b32 v2, s8 :: v_dual_mov_b32 v3, s9
	flat_load_b64 v[2:3], v[2:3] offset:8
.LBB265_2:
	s_and_b32 s8, s0, exec_lo
	s_cselect_b32 s1, s1, s5
	v_cndmask_b32_e64 v4, s4, v4, s0
	v_dual_mov_b32 v5, s1 :: v_dual_mov_b32 v6, s6
	v_mov_b32_e32 v7, s7
	s_and_not1_b32 vcc_lo, exec_lo, s10
	flat_load_b64 v[4:5], v[4:5]
	s_cbranch_vccnz .LBB265_4
; %bb.3:
	v_dual_mov_b32 v7, s5 :: v_dual_mov_b32 v6, s4
	flat_load_b64 v[6:7], v[6:7] offset:8
.LBB265_4:
	s_waitcnt vmcnt(1) lgkmcnt(1)
	v_cmp_eq_f64_e32 vcc_lo, 0, v[0:1]
	v_cmp_eq_f64_e64 s0, 0, v[2:3]
	s_delay_alu instid0(VALU_DEP_1)
	s_and_b32 s4, vcc_lo, s0
	s_mov_b32 s0, -1
	s_and_saveexec_b32 s1, s4
	s_cbranch_execz .LBB265_6
; %bb.5:
	s_waitcnt vmcnt(0) lgkmcnt(0)
	v_cmp_neq_f64_e32 vcc_lo, 1.0, v[4:5]
	v_cmp_neq_f64_e64 s0, 0, v[6:7]
	s_delay_alu instid0(VALU_DEP_1) | instskip(NEXT) | instid1(SALU_CYCLE_1)
	s_or_b32 s0, vcc_lo, s0
	s_or_not1_b32 s0, s0, exec_lo
.LBB265_6:
	s_or_b32 exec_lo, exec_lo, s1
	s_and_saveexec_b32 s1, s0
	s_cbranch_execz .LBB265_25
; %bb.7:
	s_load_b64 s[0:1], s[2:3], 0x0
	v_lshrrev_b32_e32 v8, 4, v10
	s_delay_alu instid0(VALU_DEP_1) | instskip(SKIP_1) | instid1(VALU_DEP_1)
	v_lshl_or_b32 v8, s15, 3, v8
	s_waitcnt lgkmcnt(0)
	v_cmp_gt_i32_e32 vcc_lo, s0, v8
	s_and_b32 exec_lo, exec_lo, vcc_lo
	s_cbranch_execz .LBB265_25
; %bb.8:
	s_load_b256 s[4:11], s[2:3], 0x18
	v_ashrrev_i32_e32 v9, 31, v8
	v_and_b32_e32 v25, 15, v10
	s_cmp_lg_u32 s1, 0
	s_delay_alu instid0(VALU_DEP_2) | instskip(SKIP_1) | instid1(VALU_DEP_1)
	v_lshlrev_b64 v[11:12], 2, v[8:9]
	s_waitcnt lgkmcnt(0)
	v_add_co_u32 v11, vcc_lo, s4, v11
	s_delay_alu instid0(VALU_DEP_2) | instskip(SKIP_4) | instid1(VALU_DEP_2)
	v_add_co_ci_u32_e32 v12, vcc_lo, s5, v12, vcc_lo
	global_load_b64 v[11:12], v[11:12], off
	s_waitcnt vmcnt(0)
	v_subrev_nc_u32_e32 v9, s12, v11
	v_subrev_nc_u32_e32 v24, s12, v12
	v_add_nc_u32_e32 v9, v9, v25
	s_delay_alu instid0(VALU_DEP_1)
	v_cmp_lt_i32_e64 s0, v9, v24
	s_cbranch_scc0 .LBB265_14
; %bb.9:
	v_mov_b32_e32 v11, 0
	v_mov_b32_e32 v12, 0
	s_delay_alu instid0(VALU_DEP_1)
	v_dual_mov_b32 v14, v12 :: v_dual_mov_b32 v13, v11
	v_dual_mov_b32 v16, v12 :: v_dual_mov_b32 v15, v11
	;; [unrolled: 1-line block ×3, first 2 shown]
	s_and_saveexec_b32 s1, s0
	s_cbranch_execz .LBB265_13
; %bb.10:
	v_dual_mov_b32 v11, 0 :: v_dual_mov_b32 v22, v9
	v_dual_mov_b32 v12, 0 :: v_dual_mov_b32 v21, 0
	v_mad_u64_u32 v[19:20], null, v9, 18, 16
	s_mov_b32 s4, 0
	s_delay_alu instid0(VALU_DEP_2)
	v_dual_mov_b32 v14, v12 :: v_dual_mov_b32 v13, v11
	v_dual_mov_b32 v16, v12 :: v_dual_mov_b32 v15, v11
	;; [unrolled: 1-line block ×3, first 2 shown]
.LBB265_11:                             ; =>This Inner Loop Header: Depth=1
	v_ashrrev_i32_e32 v23, 31, v22
	v_dual_mov_b32 v87, v21 :: v_dual_add_nc_u32 v20, -16, v19
	s_delay_alu instid0(VALU_DEP_2) | instskip(SKIP_1) | instid1(VALU_DEP_2)
	v_lshlrev_b64 v[26:27], 2, v[22:23]
	v_add_nc_u32_e32 v22, 16, v22
	v_add_co_u32 v26, vcc_lo, s6, v26
	s_delay_alu instid0(VALU_DEP_3) | instskip(SKIP_3) | instid1(VALU_DEP_1)
	v_add_co_ci_u32_e32 v27, vcc_lo, s7, v27, vcc_lo
	global_load_b32 v10, v[26:27], off
	v_lshlrev_b64 v[26:27], 4, v[20:21]
	v_add_nc_u32_e32 v20, -14, v19
	v_lshlrev_b64 v[38:39], 4, v[20:21]
	s_delay_alu instid0(VALU_DEP_3) | instskip(NEXT) | instid1(VALU_DEP_4)
	v_add_co_u32 v30, vcc_lo, s8, v26
	v_add_co_ci_u32_e32 v31, vcc_lo, s9, v27, vcc_lo
	global_load_b128 v[26:29], v[30:31], off offset:16
	s_waitcnt vmcnt(1)
	v_subrev_nc_u32_e32 v10, s12, v10
	s_delay_alu instid0(VALU_DEP_1) | instskip(NEXT) | instid1(VALU_DEP_1)
	v_lshl_add_u32 v86, v10, 3, v10
	v_lshlrev_b64 v[32:33], 4, v[86:87]
	v_add_nc_u32_e32 v20, 1, v86
	s_delay_alu instid0(VALU_DEP_1) | instskip(NEXT) | instid1(VALU_DEP_3)
	v_lshlrev_b64 v[44:45], 4, v[20:21]
	v_add_co_u32 v34, vcc_lo, s10, v32
	s_delay_alu instid0(VALU_DEP_4)
	v_add_co_ci_u32_e32 v35, vcc_lo, s11, v33, vcc_lo
	v_add_co_u32 v42, vcc_lo, s8, v38
	global_load_b128 v[30:33], v[30:31], off
	global_load_b128 v[34:37], v[34:35], off
	v_add_co_ci_u32_e32 v43, vcc_lo, s9, v39, vcc_lo
	v_add_co_u32 v46, vcc_lo, s10, v44
	v_add_co_ci_u32_e32 v47, vcc_lo, s11, v45, vcc_lo
	s_clause 0x1
	global_load_b128 v[38:41], v[42:43], off offset:16
	global_load_b128 v[42:45], v[42:43], off
	global_load_b128 v[46:49], v[46:47], off
	v_add_nc_u32_e32 v20, -12, v19
	s_delay_alu instid0(VALU_DEP_1) | instskip(SKIP_1) | instid1(VALU_DEP_1)
	v_lshlrev_b64 v[50:51], 4, v[20:21]
	v_add_nc_u32_e32 v20, 2, v86
	v_lshlrev_b64 v[52:53], 4, v[20:21]
	s_delay_alu instid0(VALU_DEP_3) | instskip(NEXT) | instid1(VALU_DEP_4)
	v_add_co_u32 v54, vcc_lo, s8, v50
	v_add_co_ci_u32_e32 v55, vcc_lo, s9, v51, vcc_lo
	v_add_nc_u32_e32 v20, -10, v19
	s_delay_alu instid0(VALU_DEP_4)
	v_add_co_u32 v58, vcc_lo, s10, v52
	v_add_co_ci_u32_e32 v59, vcc_lo, s11, v53, vcc_lo
	s_clause 0x1
	global_load_b128 v[50:53], v[54:55], off offset:16
	global_load_b128 v[54:57], v[54:55], off
	global_load_b128 v[58:61], v[58:59], off
	v_lshlrev_b64 v[62:63], 4, v[20:21]
	v_add_nc_u32_e32 v20, 3, v86
	s_delay_alu instid0(VALU_DEP_1) | instskip(NEXT) | instid1(VALU_DEP_3)
	v_lshlrev_b64 v[64:65], 4, v[20:21]
	v_add_co_u32 v66, vcc_lo, s8, v62
	s_delay_alu instid0(VALU_DEP_4) | instskip(SKIP_1) | instid1(VALU_DEP_4)
	v_add_co_ci_u32_e32 v67, vcc_lo, s9, v63, vcc_lo
	v_add_nc_u32_e32 v20, -8, v19
	v_add_co_u32 v70, vcc_lo, s10, v64
	v_add_co_ci_u32_e32 v71, vcc_lo, s11, v65, vcc_lo
	s_clause 0x1
	global_load_b128 v[62:65], v[66:67], off offset:16
	global_load_b128 v[66:69], v[66:67], off
	global_load_b128 v[70:73], v[70:71], off
	v_lshlrev_b64 v[74:75], 4, v[20:21]
	v_add_nc_u32_e32 v20, 4, v86
	s_delay_alu instid0(VALU_DEP_1) | instskip(NEXT) | instid1(VALU_DEP_3)
	v_lshlrev_b64 v[76:77], 4, v[20:21]
	v_add_co_u32 v78, vcc_lo, s8, v74
	s_delay_alu instid0(VALU_DEP_4) | instskip(SKIP_1) | instid1(VALU_DEP_4)
	v_add_co_ci_u32_e32 v79, vcc_lo, s9, v75, vcc_lo
	v_add_nc_u32_e32 v20, -6, v19
	v_add_co_u32 v82, vcc_lo, s10, v76
	v_add_co_ci_u32_e32 v83, vcc_lo, s11, v77, vcc_lo
	s_clause 0x1
	global_load_b128 v[74:77], v[78:79], off offset:16
	global_load_b128 v[78:81], v[78:79], off
	global_load_b128 v[82:85], v[82:83], off
	s_waitcnt vmcnt(12)
	v_fma_f64 v[13:14], v[30:31], v[34:35], v[13:14]
	v_fma_f64 v[10:11], v[32:33], v[34:35], v[11:12]
	;; [unrolled: 1-line block ×4, first 2 shown]
	v_lshlrev_b64 v[34:35], 4, v[20:21]
	v_add_nc_u32_e32 v20, 5, v86
	v_fma_f64 v[32:33], -v[32:33], v[36:37], v[13:14]
	v_fma_f64 v[30:31], v[30:31], v[36:37], v[10:11]
	v_fma_f64 v[87:88], -v[28:29], v[36:37], v[15:16]
	v_fma_f64 v[36:37], v[26:27], v[36:37], v[17:18]
	v_lshlrev_b64 v[10:11], 4, v[20:21]
	v_add_co_u32 v14, vcc_lo, s8, v34
	v_add_co_ci_u32_e32 v15, vcc_lo, s9, v35, vcc_lo
	v_add_nc_u32_e32 v20, -4, v19
	s_delay_alu instid0(VALU_DEP_4)
	v_add_co_u32 v26, vcc_lo, s10, v10
	v_add_co_ci_u32_e32 v27, vcc_lo, s11, v11, vcc_lo
	s_clause 0x1
	global_load_b128 v[10:13], v[14:15], off offset:16
	global_load_b128 v[14:17], v[14:15], off
	global_load_b128 v[26:29], v[26:27], off
	s_waitcnt vmcnt(12)
	v_fma_f64 v[32:33], v[42:43], v[46:47], v[32:33]
	v_fma_f64 v[30:31], v[44:45], v[46:47], v[30:31]
	;; [unrolled: 1-line block ×4, first 2 shown]
	v_lshlrev_b64 v[46:47], 4, v[20:21]
	v_add_nc_u32_e32 v20, 6, v86
	v_fma_f64 v[44:45], -v[44:45], v[48:49], v[32:33]
	v_fma_f64 v[42:43], v[42:43], v[48:49], v[30:31]
	v_fma_f64 v[87:88], -v[40:41], v[48:49], v[34:35]
	v_fma_f64 v[48:49], v[38:39], v[48:49], v[36:37]
	v_lshlrev_b64 v[30:31], 4, v[20:21]
	v_add_co_u32 v34, vcc_lo, s8, v46
	v_add_co_ci_u32_e32 v35, vcc_lo, s9, v47, vcc_lo
	v_add_nc_u32_e32 v20, -2, v19
	s_delay_alu instid0(VALU_DEP_4)
	v_add_co_u32 v38, vcc_lo, s10, v30
	v_add_co_ci_u32_e32 v39, vcc_lo, s11, v31, vcc_lo
	s_clause 0x1
	global_load_b128 v[30:33], v[34:35], off offset:16
	global_load_b128 v[34:37], v[34:35], off
	global_load_b128 v[38:41], v[38:39], off
	s_waitcnt vmcnt(12)
	v_fma_f64 v[44:45], v[54:55], v[58:59], v[44:45]
	v_fma_f64 v[42:43], v[56:57], v[58:59], v[42:43]
	;; [unrolled: 1-line block ×4, first 2 shown]
	v_lshlrev_b64 v[58:59], 4, v[20:21]
	v_add_nc_u32_e32 v20, 7, v86
	v_fma_f64 v[56:57], -v[56:57], v[60:61], v[44:45]
	v_fma_f64 v[54:55], v[54:55], v[60:61], v[42:43]
	v_fma_f64 v[87:88], -v[52:53], v[60:61], v[46:47]
	v_fma_f64 v[60:61], v[50:51], v[60:61], v[48:49]
	v_lshlrev_b64 v[42:43], 4, v[20:21]
	v_add_co_u32 v46, vcc_lo, s8, v58
	v_add_co_ci_u32_e32 v47, vcc_lo, s9, v59, vcc_lo
	v_mov_b32_e32 v20, v21
	s_delay_alu instid0(VALU_DEP_4)
	v_add_co_u32 v50, vcc_lo, s10, v42
	v_add_co_ci_u32_e32 v51, vcc_lo, s11, v43, vcc_lo
	s_clause 0x1
	global_load_b128 v[42:45], v[46:47], off offset:16
	global_load_b128 v[46:49], v[46:47], off
	global_load_b128 v[50:53], v[50:51], off
	s_waitcnt vmcnt(12)
	v_fma_f64 v[58:59], v[66:67], v[70:71], v[56:57]
	v_fma_f64 v[89:90], v[68:69], v[70:71], v[54:55]
	;; [unrolled: 1-line block ×4, first 2 shown]
	v_lshlrev_b64 v[54:55], 4, v[19:20]
	v_add_nc_u32_e32 v19, 0x120, v19
	v_add_nc_u32_e32 v20, 8, v86
	s_delay_alu instid0(VALU_DEP_3) | instskip(NEXT) | instid1(VALU_DEP_4)
	v_add_co_u32 v70, vcc_lo, s8, v54
	v_add_co_ci_u32_e32 v71, vcc_lo, s9, v55, vcc_lo
	global_load_b128 v[54:57], v[70:71], off offset:16
	v_fma_f64 v[68:69], -v[68:69], v[72:73], v[58:59]
	v_fma_f64 v[66:67], v[66:67], v[72:73], v[89:90]
	v_fma_f64 v[87:88], -v[64:65], v[72:73], v[87:88]
	v_fma_f64 v[72:73], v[62:63], v[72:73], v[60:61]
	v_lshlrev_b64 v[58:59], 4, v[20:21]
	s_delay_alu instid0(VALU_DEP_1) | instskip(NEXT) | instid1(VALU_DEP_2)
	v_add_co_u32 v62, vcc_lo, s10, v58
	v_add_co_ci_u32_e32 v63, vcc_lo, s11, v59, vcc_lo
	global_load_b128 v[58:61], v[70:71], off
	global_load_b128 v[62:65], v[62:63], off
	v_cmp_ge_i32_e32 vcc_lo, v22, v24
	s_or_b32 s4, vcc_lo, s4
	s_waitcnt vmcnt(12)
	v_fma_f64 v[68:69], v[78:79], v[82:83], v[68:69]
	v_fma_f64 v[66:67], v[80:81], v[82:83], v[66:67]
	;; [unrolled: 1-line block ×4, first 2 shown]
	s_delay_alu instid0(VALU_DEP_4) | instskip(NEXT) | instid1(VALU_DEP_4)
	v_fma_f64 v[68:69], -v[80:81], v[84:85], v[68:69]
	v_fma_f64 v[66:67], v[78:79], v[84:85], v[66:67]
	s_delay_alu instid0(VALU_DEP_4) | instskip(NEXT) | instid1(VALU_DEP_4)
	v_fma_f64 v[70:71], -v[76:77], v[84:85], v[70:71]
	v_fma_f64 v[72:73], v[74:75], v[84:85], v[72:73]
	s_waitcnt vmcnt(9)
	s_delay_alu instid0(VALU_DEP_4) | instskip(NEXT) | instid1(VALU_DEP_4)
	v_fma_f64 v[68:69], v[14:15], v[26:27], v[68:69]
	v_fma_f64 v[66:67], v[16:17], v[26:27], v[66:67]
	s_delay_alu instid0(VALU_DEP_4) | instskip(NEXT) | instid1(VALU_DEP_4)
	v_fma_f64 v[70:71], v[10:11], v[26:27], v[70:71]
	v_fma_f64 v[26:27], v[12:13], v[26:27], v[72:73]
	s_delay_alu instid0(VALU_DEP_4) | instskip(NEXT) | instid1(VALU_DEP_4)
	v_fma_f64 v[16:17], -v[16:17], v[28:29], v[68:69]
	v_fma_f64 v[14:15], v[14:15], v[28:29], v[66:67]
	s_delay_alu instid0(VALU_DEP_4) | instskip(NEXT) | instid1(VALU_DEP_4)
	v_fma_f64 v[12:13], -v[12:13], v[28:29], v[70:71]
	v_fma_f64 v[10:11], v[10:11], v[28:29], v[26:27]
	s_waitcnt vmcnt(6)
	s_delay_alu instid0(VALU_DEP_4) | instskip(NEXT) | instid1(VALU_DEP_4)
	v_fma_f64 v[16:17], v[34:35], v[38:39], v[16:17]
	v_fma_f64 v[14:15], v[36:37], v[38:39], v[14:15]
	s_delay_alu instid0(VALU_DEP_4) | instskip(NEXT) | instid1(VALU_DEP_4)
	v_fma_f64 v[12:13], v[30:31], v[38:39], v[12:13]
	v_fma_f64 v[10:11], v[32:33], v[38:39], v[10:11]
	;; [unrolled: 13-line block ×4, first 2 shown]
	s_delay_alu instid0(VALU_DEP_4) | instskip(NEXT) | instid1(VALU_DEP_4)
	v_fma_f64 v[13:14], -v[60:61], v[64:65], v[16:17]
	v_fma_f64 v[11:12], v[58:59], v[64:65], v[26:27]
	s_delay_alu instid0(VALU_DEP_4) | instskip(NEXT) | instid1(VALU_DEP_4)
	v_fma_f64 v[15:16], -v[56:57], v[64:65], v[28:29]
	v_fma_f64 v[17:18], v[54:55], v[64:65], v[30:31]
	s_and_not1_b32 exec_lo, exec_lo, s4
	s_cbranch_execnz .LBB265_11
; %bb.12:
	s_or_b32 exec_lo, exec_lo, s4
.LBB265_13:
	s_delay_alu instid0(SALU_CYCLE_1)
	s_or_b32 exec_lo, exec_lo, s1
	s_cbranch_execz .LBB265_15
	s_branch .LBB265_20
.LBB265_14:
                                        ; implicit-def: $vgpr11_vgpr12
                                        ; implicit-def: $vgpr13_vgpr14
                                        ; implicit-def: $vgpr15_vgpr16
                                        ; implicit-def: $vgpr17_vgpr18
.LBB265_15:
	v_mov_b32_e32 v11, 0
	v_mov_b32_e32 v12, 0
	s_delay_alu instid0(VALU_DEP_1)
	v_dual_mov_b32 v14, v12 :: v_dual_mov_b32 v13, v11
	v_dual_mov_b32 v16, v12 :: v_dual_mov_b32 v15, v11
	;; [unrolled: 1-line block ×3, first 2 shown]
	s_and_saveexec_b32 s1, s0
	s_cbranch_execz .LBB265_19
; %bb.16:
	v_mov_b32_e32 v11, 0
	v_dual_mov_b32 v12, 0 :: v_dual_mov_b32 v21, 0
	v_mad_u64_u32 v[19:20], null, v9, 18, 17
	s_mov_b32 s0, 0
	s_delay_alu instid0(VALU_DEP_2)
	v_dual_mov_b32 v14, v12 :: v_dual_mov_b32 v13, v11
	v_dual_mov_b32 v16, v12 :: v_dual_mov_b32 v15, v11
	;; [unrolled: 1-line block ×3, first 2 shown]
.LBB265_17:                             ; =>This Inner Loop Header: Depth=1
	v_ashrrev_i32_e32 v10, 31, v9
	v_subrev_nc_u32_e32 v20, 17, v19
	v_add_nc_u32_e32 v26, -8, v19
	s_delay_alu instid0(VALU_DEP_3) | instskip(NEXT) | instid1(VALU_DEP_3)
	v_lshlrev_b64 v[22:23], 2, v[9:10]
	v_lshlrev_b64 v[28:29], 4, v[20:21]
	v_add_nc_u32_e32 v9, 16, v9
	s_delay_alu instid0(VALU_DEP_3) | instskip(NEXT) | instid1(VALU_DEP_4)
	v_add_co_u32 v22, vcc_lo, s6, v22
	v_add_co_ci_u32_e32 v23, vcc_lo, s7, v23, vcc_lo
	s_delay_alu instid0(VALU_DEP_4)
	v_add_co_u32 v30, vcc_lo, s8, v28
	v_add_co_ci_u32_e32 v31, vcc_lo, s9, v29, vcc_lo
	global_load_b32 v10, v[22:23], off
	v_mov_b32_e32 v23, v21
	s_waitcnt vmcnt(0)
	v_subrev_nc_u32_e32 v10, s12, v10
	s_delay_alu instid0(VALU_DEP_1) | instskip(NEXT) | instid1(VALU_DEP_1)
	v_lshl_add_u32 v22, v10, 3, v10
	v_dual_mov_b32 v27, v21 :: v_dual_add_nc_u32 v20, 1, v22
	s_delay_alu instid0(VALU_DEP_1) | instskip(SKIP_1) | instid1(VALU_DEP_3)
	v_lshlrev_b64 v[26:27], 4, v[26:27]
	v_lshlrev_b64 v[38:39], 4, v[22:23]
	;; [unrolled: 1-line block ×3, first 2 shown]
	v_add_nc_u32_e32 v20, -7, v19
	s_delay_alu instid0(VALU_DEP_4)
	v_add_co_u32 v34, vcc_lo, s8, v26
	v_add_co_ci_u32_e32 v35, vcc_lo, s9, v27, vcc_lo
	v_add_co_u32 v38, vcc_lo, s10, v38
	v_add_co_ci_u32_e32 v39, vcc_lo, s11, v39, vcc_lo
	s_clause 0x2
	global_load_b128 v[26:29], v[30:31], off offset:16
	global_load_b128 v[30:33], v[30:31], off
	global_load_b128 v[34:37], v[34:35], off
	v_lshlrev_b64 v[44:45], 4, v[20:21]
	v_add_co_u32 v42, vcc_lo, s10, v42
	global_load_b128 v[38:41], v[38:39], off
	v_add_co_ci_u32_e32 v43, vcc_lo, s11, v43, vcc_lo
	v_add_co_u32 v46, vcc_lo, s8, v44
	v_add_co_ci_u32_e32 v47, vcc_lo, s9, v45, vcc_lo
	global_load_b128 v[42:45], v[42:43], off
	global_load_b128 v[46:49], v[46:47], off
	v_add_nc_u32_e32 v20, -15, v19
	s_delay_alu instid0(VALU_DEP_1) | instskip(SKIP_1) | instid1(VALU_DEP_1)
	v_lshlrev_b64 v[50:51], 4, v[20:21]
	v_add_nc_u32_e32 v20, 2, v22
	v_lshlrev_b64 v[54:55], 4, v[20:21]
	v_add_nc_u32_e32 v20, -6, v19
	s_delay_alu instid0(VALU_DEP_4) | instskip(SKIP_1) | instid1(VALU_DEP_3)
	v_add_co_u32 v50, vcc_lo, s8, v50
	v_add_co_ci_u32_e32 v51, vcc_lo, s9, v51, vcc_lo
	v_lshlrev_b64 v[56:57], 4, v[20:21]
	v_add_co_u32 v54, vcc_lo, s10, v54
	v_add_co_ci_u32_e32 v55, vcc_lo, s11, v55, vcc_lo
	global_load_b128 v[50:53], v[50:51], off
	v_add_co_u32 v58, vcc_lo, s8, v56
	v_add_co_ci_u32_e32 v59, vcc_lo, s9, v57, vcc_lo
	global_load_b128 v[54:57], v[54:55], off
	global_load_b128 v[58:61], v[58:59], off
	v_add_nc_u32_e32 v20, -14, v19
	s_delay_alu instid0(VALU_DEP_1) | instskip(SKIP_1) | instid1(VALU_DEP_1)
	v_lshlrev_b64 v[62:63], 4, v[20:21]
	v_add_nc_u32_e32 v20, 3, v22
	v_lshlrev_b64 v[64:65], 4, v[20:21]
	v_add_nc_u32_e32 v20, -5, v19
	s_delay_alu instid0(VALU_DEP_4) | instskip(SKIP_1) | instid1(VALU_DEP_3)
	v_add_co_u32 v62, vcc_lo, s8, v62
	v_add_co_ci_u32_e32 v63, vcc_lo, s9, v63, vcc_lo
	v_lshlrev_b64 v[66:67], 4, v[20:21]
	v_add_co_u32 v68, vcc_lo, s10, v64
	v_add_co_ci_u32_e32 v69, vcc_lo, s11, v65, vcc_lo
	v_add_nc_u32_e32 v20, -13, v19
	s_delay_alu instid0(VALU_DEP_4)
	v_add_co_u32 v70, vcc_lo, s8, v66
	v_add_co_ci_u32_e32 v71, vcc_lo, s9, v67, vcc_lo
	global_load_b128 v[62:65], v[62:63], off
	global_load_b128 v[66:69], v[68:69], off
	;; [unrolled: 1-line block ×3, first 2 shown]
	v_lshlrev_b64 v[74:75], 4, v[20:21]
	v_add_nc_u32_e32 v20, 4, v22
	s_delay_alu instid0(VALU_DEP_1) | instskip(SKIP_1) | instid1(VALU_DEP_4)
	v_lshlrev_b64 v[76:77], 4, v[20:21]
	v_add_nc_u32_e32 v20, -4, v19
	v_add_co_u32 v74, vcc_lo, s8, v74
	v_add_co_ci_u32_e32 v75, vcc_lo, s9, v75, vcc_lo
	s_delay_alu instid0(VALU_DEP_3) | instskip(SKIP_3) | instid1(VALU_DEP_4)
	v_lshlrev_b64 v[78:79], 4, v[20:21]
	v_add_co_u32 v80, vcc_lo, s10, v76
	v_add_co_ci_u32_e32 v81, vcc_lo, s11, v77, vcc_lo
	v_add_nc_u32_e32 v20, -12, v19
	v_add_co_u32 v82, vcc_lo, s8, v78
	v_add_co_ci_u32_e32 v83, vcc_lo, s9, v79, vcc_lo
	global_load_b128 v[74:77], v[74:75], off
	global_load_b128 v[78:81], v[80:81], off
	;; [unrolled: 1-line block ×3, first 2 shown]
	s_waitcnt vmcnt(11)
	v_fma_f64 v[13:14], v[30:31], v[38:39], v[13:14]
	v_fma_f64 v[10:11], v[32:33], v[38:39], v[11:12]
	;; [unrolled: 1-line block ×4, first 2 shown]
	v_lshlrev_b64 v[38:39], 4, v[20:21]
	v_add_nc_u32_e32 v20, 5, v22
	s_delay_alu instid0(VALU_DEP_2)
	v_add_co_u32 v12, vcc_lo, s8, v38
	v_fma_f64 v[86:87], -v[32:33], v[40:41], v[13:14]
	v_fma_f64 v[88:89], v[30:31], v[40:41], v[10:11]
	v_fma_f64 v[36:37], -v[36:37], v[40:41], v[15:16]
	v_fma_f64 v[34:35], v[34:35], v[40:41], v[17:18]
	v_lshlrev_b64 v[10:11], 4, v[20:21]
	v_add_nc_u32_e32 v20, -3, v19
	v_add_co_ci_u32_e32 v13, vcc_lo, s9, v39, vcc_lo
	s_delay_alu instid0(VALU_DEP_2) | instskip(NEXT) | instid1(VALU_DEP_4)
	v_lshlrev_b64 v[14:15], 4, v[20:21]
	v_add_co_u32 v16, vcc_lo, s10, v10
	v_add_co_ci_u32_e32 v17, vcc_lo, s11, v11, vcc_lo
	v_add_nc_u32_e32 v20, -11, v19
	s_delay_alu instid0(VALU_DEP_4)
	v_add_co_u32 v30, vcc_lo, s8, v14
	v_add_co_ci_u32_e32 v31, vcc_lo, s9, v15, vcc_lo
	global_load_b128 v[10:13], v[12:13], off
	global_load_b128 v[14:17], v[16:17], off
	;; [unrolled: 1-line block ×3, first 2 shown]
	s_waitcnt vmcnt(13)
	v_fma_f64 v[38:39], v[26:27], v[42:43], v[86:87]
	v_fma_f64 v[40:41], v[28:29], v[42:43], v[88:89]
	s_waitcnt vmcnt(12)
	v_fma_f64 v[36:37], v[46:47], v[42:43], v[36:37]
	v_fma_f64 v[34:35], v[48:49], v[42:43], v[34:35]
	v_lshlrev_b64 v[42:43], 4, v[20:21]
	v_add_nc_u32_e32 v20, 6, v22
	v_fma_f64 v[86:87], -v[28:29], v[44:45], v[38:39]
	v_fma_f64 v[88:89], v[26:27], v[44:45], v[40:41]
	v_fma_f64 v[48:49], -v[48:49], v[44:45], v[36:37]
	v_fma_f64 v[44:45], v[46:47], v[44:45], v[34:35]
	v_lshlrev_b64 v[26:27], 4, v[20:21]
	v_add_nc_u32_e32 v20, -2, v19
	v_add_co_u32 v28, vcc_lo, s8, v42
	v_add_co_ci_u32_e32 v29, vcc_lo, s9, v43, vcc_lo
	s_delay_alu instid0(VALU_DEP_3) | instskip(SKIP_3) | instid1(VALU_DEP_4)
	v_lshlrev_b64 v[34:35], 4, v[20:21]
	v_add_co_u32 v36, vcc_lo, s10, v26
	v_add_co_ci_u32_e32 v37, vcc_lo, s11, v27, vcc_lo
	v_add_nc_u32_e32 v20, -10, v19
	v_add_co_u32 v38, vcc_lo, s8, v34
	v_add_co_ci_u32_e32 v39, vcc_lo, s9, v35, vcc_lo
	global_load_b128 v[26:29], v[28:29], off
	global_load_b128 v[34:37], v[36:37], off
	;; [unrolled: 1-line block ×3, first 2 shown]
	s_waitcnt vmcnt(13)
	v_fma_f64 v[42:43], v[50:51], v[54:55], v[86:87]
	v_fma_f64 v[46:47], v[52:53], v[54:55], v[88:89]
	s_waitcnt vmcnt(12)
	v_fma_f64 v[48:49], v[58:59], v[54:55], v[48:49]
	v_fma_f64 v[44:45], v[60:61], v[54:55], v[44:45]
	v_lshlrev_b64 v[54:55], 4, v[20:21]
	v_add_nc_u32_e32 v20, 7, v22
	v_fma_f64 v[86:87], -v[52:53], v[56:57], v[42:43]
	v_fma_f64 v[88:89], v[50:51], v[56:57], v[46:47]
	v_fma_f64 v[60:61], -v[60:61], v[56:57], v[48:49]
	v_fma_f64 v[56:57], v[58:59], v[56:57], v[44:45]
	v_lshlrev_b64 v[42:43], 4, v[20:21]
	v_add_nc_u32_e32 v20, -1, v19
	v_add_co_u32 v44, vcc_lo, s8, v54
	v_add_co_ci_u32_e32 v45, vcc_lo, s9, v55, vcc_lo
	s_delay_alu instid0(VALU_DEP_3) | instskip(SKIP_3) | instid1(VALU_DEP_4)
	v_lshlrev_b64 v[46:47], 4, v[20:21]
	v_add_co_u32 v48, vcc_lo, s10, v42
	v_add_co_ci_u32_e32 v49, vcc_lo, s11, v43, vcc_lo
	v_mov_b32_e32 v20, v21
	v_add_co_u32 v50, vcc_lo, s8, v46
	v_add_co_ci_u32_e32 v51, vcc_lo, s9, v47, vcc_lo
	global_load_b128 v[42:45], v[44:45], off
	global_load_b128 v[46:49], v[48:49], off
	;; [unrolled: 1-line block ×3, first 2 shown]
	v_lshlrev_b64 v[54:55], 4, v[19:20]
	v_add_nc_u32_e32 v20, -9, v19
	v_add_nc_u32_e32 v19, 0x120, v19
	s_delay_alu instid0(VALU_DEP_3) | instskip(NEXT) | instid1(VALU_DEP_4)
	v_add_co_u32 v54, vcc_lo, s8, v54
	v_add_co_ci_u32_e32 v55, vcc_lo, s9, v55, vcc_lo
	s_waitcnt vmcnt(13)
	v_fma_f64 v[58:59], v[62:63], v[66:67], v[86:87]
	v_fma_f64 v[86:87], v[64:65], v[66:67], v[88:89]
	s_waitcnt vmcnt(12)
	v_fma_f64 v[60:61], v[70:71], v[66:67], v[60:61]
	v_fma_f64 v[66:67], v[72:73], v[66:67], v[56:57]
	v_lshlrev_b64 v[88:89], 4, v[20:21]
	v_add_nc_u32_e32 v20, 8, v22
	global_load_b128 v[54:57], v[54:55], off
	v_lshlrev_b64 v[22:23], 4, v[20:21]
	v_fma_f64 v[90:91], -v[64:65], v[68:69], v[58:59]
	v_fma_f64 v[86:87], v[62:63], v[68:69], v[86:87]
	v_fma_f64 v[72:73], -v[72:73], v[68:69], v[60:61]
	v_fma_f64 v[66:67], v[70:71], v[68:69], v[66:67]
	v_add_co_u32 v58, vcc_lo, s8, v88
	v_add_co_ci_u32_e32 v59, vcc_lo, s9, v89, vcc_lo
	v_add_co_u32 v22, vcc_lo, s10, v22
	v_add_co_ci_u32_e32 v23, vcc_lo, s11, v23, vcc_lo
	global_load_b128 v[58:61], v[58:59], off
	global_load_b128 v[62:65], v[22:23], off
	v_cmp_ge_i32_e32 vcc_lo, v9, v24
	s_or_b32 s0, vcc_lo, s0
	s_waitcnt vmcnt(13)
	v_fma_f64 v[22:23], v[74:75], v[78:79], v[90:91]
	v_fma_f64 v[68:69], v[76:77], v[78:79], v[86:87]
	s_waitcnt vmcnt(12)
	v_fma_f64 v[70:71], v[82:83], v[78:79], v[72:73]
	v_fma_f64 v[66:67], v[84:85], v[78:79], v[66:67]
	s_delay_alu instid0(VALU_DEP_4) | instskip(NEXT) | instid1(VALU_DEP_4)
	v_fma_f64 v[22:23], -v[76:77], v[80:81], v[22:23]
	v_fma_f64 v[68:69], v[74:75], v[80:81], v[68:69]
	s_delay_alu instid0(VALU_DEP_4) | instskip(NEXT) | instid1(VALU_DEP_4)
	v_fma_f64 v[70:71], -v[84:85], v[80:81], v[70:71]
	v_fma_f64 v[66:67], v[82:83], v[80:81], v[66:67]
	s_waitcnt vmcnt(10)
	s_delay_alu instid0(VALU_DEP_4) | instskip(NEXT) | instid1(VALU_DEP_4)
	v_fma_f64 v[22:23], v[10:11], v[14:15], v[22:23]
	v_fma_f64 v[68:69], v[12:13], v[14:15], v[68:69]
	s_waitcnt vmcnt(9)
	s_delay_alu instid0(VALU_DEP_4) | instskip(NEXT) | instid1(VALU_DEP_4)
	v_fma_f64 v[70:71], v[30:31], v[14:15], v[70:71]
	v_fma_f64 v[14:15], v[32:33], v[14:15], v[66:67]
	s_delay_alu instid0(VALU_DEP_4) | instskip(NEXT) | instid1(VALU_DEP_4)
	v_fma_f64 v[12:13], -v[12:13], v[16:17], v[22:23]
	v_fma_f64 v[10:11], v[10:11], v[16:17], v[68:69]
	s_delay_alu instid0(VALU_DEP_4) | instskip(NEXT) | instid1(VALU_DEP_4)
	v_fma_f64 v[22:23], -v[32:33], v[16:17], v[70:71]
	v_fma_f64 v[14:15], v[30:31], v[16:17], v[14:15]
	s_waitcnt vmcnt(7)
	s_delay_alu instid0(VALU_DEP_4) | instskip(NEXT) | instid1(VALU_DEP_4)
	v_fma_f64 v[12:13], v[26:27], v[34:35], v[12:13]
	v_fma_f64 v[10:11], v[28:29], v[34:35], v[10:11]
	s_waitcnt vmcnt(6)
	s_delay_alu instid0(VALU_DEP_4) | instskip(NEXT) | instid1(VALU_DEP_4)
	;; [unrolled: 14-line block ×3, first 2 shown]
	v_fma_f64 v[16:17], v[50:51], v[46:47], v[16:17]
	v_fma_f64 v[14:15], v[52:53], v[46:47], v[14:15]
	s_delay_alu instid0(VALU_DEP_4) | instskip(NEXT) | instid1(VALU_DEP_4)
	v_fma_f64 v[12:13], -v[44:45], v[48:49], v[12:13]
	v_fma_f64 v[10:11], v[42:43], v[48:49], v[10:11]
	s_delay_alu instid0(VALU_DEP_4) | instskip(NEXT) | instid1(VALU_DEP_4)
	v_fma_f64 v[16:17], -v[52:53], v[48:49], v[16:17]
	v_fma_f64 v[14:15], v[50:51], v[48:49], v[14:15]
	s_waitcnt vmcnt(0)
	s_delay_alu instid0(VALU_DEP_4) | instskip(NEXT) | instid1(VALU_DEP_4)
	v_fma_f64 v[12:13], v[58:59], v[62:63], v[12:13]
	v_fma_f64 v[10:11], v[60:61], v[62:63], v[10:11]
	s_delay_alu instid0(VALU_DEP_4) | instskip(NEXT) | instid1(VALU_DEP_4)
	v_fma_f64 v[16:17], v[54:55], v[62:63], v[16:17]
	v_fma_f64 v[22:23], v[56:57], v[62:63], v[14:15]
	s_delay_alu instid0(VALU_DEP_4) | instskip(NEXT) | instid1(VALU_DEP_4)
	v_fma_f64 v[13:14], -v[60:61], v[64:65], v[12:13]
	v_fma_f64 v[11:12], v[58:59], v[64:65], v[10:11]
	s_delay_alu instid0(VALU_DEP_4) | instskip(NEXT) | instid1(VALU_DEP_4)
	v_fma_f64 v[15:16], -v[56:57], v[64:65], v[16:17]
	v_fma_f64 v[17:18], v[54:55], v[64:65], v[22:23]
	s_and_not1_b32 exec_lo, exec_lo, s0
	s_cbranch_execnz .LBB265_17
; %bb.18:
	s_or_b32 exec_lo, exec_lo, s0
.LBB265_19:
	s_delay_alu instid0(SALU_CYCLE_1)
	s_or_b32 exec_lo, exec_lo, s1
.LBB265_20:
	v_mbcnt_lo_u32_b32 v26, -1, 0
	s_delay_alu instid0(VALU_DEP_1) | instskip(NEXT) | instid1(VALU_DEP_1)
	v_xor_b32_e32 v9, 8, v26
	v_cmp_gt_i32_e32 vcc_lo, 32, v9
	v_cndmask_b32_e32 v9, v26, v9, vcc_lo
	s_delay_alu instid0(VALU_DEP_1)
	v_lshlrev_b32_e32 v24, 2, v9
	ds_bpermute_b32 v9, v24, v13
	ds_bpermute_b32 v10, v24, v14
	ds_bpermute_b32 v19, v24, v11
	ds_bpermute_b32 v20, v24, v12
	ds_bpermute_b32 v21, v24, v15
	ds_bpermute_b32 v22, v24, v16
	ds_bpermute_b32 v23, v24, v17
	ds_bpermute_b32 v24, v24, v18
	s_waitcnt lgkmcnt(6)
	v_add_f64 v[9:10], v[13:14], v[9:10]
	s_waitcnt lgkmcnt(4)
	v_add_f64 v[11:12], v[11:12], v[19:20]
	;; [unrolled: 2-line block ×4, first 2 shown]
	v_xor_b32_e32 v17, 4, v26
	s_delay_alu instid0(VALU_DEP_1) | instskip(SKIP_1) | instid1(VALU_DEP_1)
	v_cmp_gt_i32_e32 vcc_lo, 32, v17
	v_cndmask_b32_e32 v17, v26, v17, vcc_lo
	v_lshlrev_b32_e32 v24, 2, v17
	ds_bpermute_b32 v17, v24, v9
	ds_bpermute_b32 v18, v24, v10
	;; [unrolled: 1-line block ×8, first 2 shown]
	s_waitcnt lgkmcnt(6)
	v_add_f64 v[9:10], v[9:10], v[17:18]
	s_waitcnt lgkmcnt(4)
	v_add_f64 v[11:12], v[11:12], v[19:20]
	;; [unrolled: 2-line block ×4, first 2 shown]
	v_xor_b32_e32 v15, 2, v26
	s_delay_alu instid0(VALU_DEP_1) | instskip(SKIP_1) | instid1(VALU_DEP_1)
	v_cmp_gt_i32_e32 vcc_lo, 32, v15
	v_cndmask_b32_e32 v15, v26, v15, vcc_lo
	v_lshlrev_b32_e32 v24, 2, v15
	ds_bpermute_b32 v15, v24, v9
	ds_bpermute_b32 v16, v24, v10
	;; [unrolled: 1-line block ×8, first 2 shown]
	s_waitcnt lgkmcnt(6)
	v_add_f64 v[9:10], v[9:10], v[15:16]
	s_waitcnt lgkmcnt(4)
	v_add_f64 v[15:16], v[11:12], v[19:20]
	s_waitcnt lgkmcnt(2)
	v_add_f64 v[11:12], v[13:14], v[21:22]
	s_waitcnt lgkmcnt(0)
	v_add_f64 v[13:14], v[17:18], v[23:24]
	v_xor_b32_e32 v17, 1, v26
	s_delay_alu instid0(VALU_DEP_1) | instskip(SKIP_2) | instid1(VALU_DEP_2)
	v_cmp_gt_i32_e32 vcc_lo, 32, v17
	v_cndmask_b32_e32 v17, v26, v17, vcc_lo
	v_cmp_eq_u32_e32 vcc_lo, 15, v25
	v_lshlrev_b32_e32 v20, 2, v17
	ds_bpermute_b32 v23, v20, v9
	ds_bpermute_b32 v24, v20, v10
	ds_bpermute_b32 v21, v20, v15
	ds_bpermute_b32 v22, v20, v16
	ds_bpermute_b32 v17, v20, v11
	ds_bpermute_b32 v18, v20, v12
	ds_bpermute_b32 v19, v20, v13
	ds_bpermute_b32 v20, v20, v14
	s_and_b32 exec_lo, exec_lo, vcc_lo
	s_cbranch_execz .LBB265_25
; %bb.21:
	v_cmp_eq_f64_e32 vcc_lo, 0, v[4:5]
	v_cmp_eq_f64_e64 s0, 0, v[6:7]
	s_waitcnt lgkmcnt(6)
	v_add_f64 v[9:10], v[9:10], v[23:24]
	s_waitcnt lgkmcnt(4)
	v_add_f64 v[15:16], v[15:16], v[21:22]
	s_waitcnt lgkmcnt(2)
	v_add_f64 v[11:12], v[11:12], v[17:18]
	s_waitcnt lgkmcnt(0)
	v_add_f64 v[13:14], v[13:14], v[19:20]
	s_load_b64 s[2:3], s[2:3], 0x48
	s_and_b32 s0, vcc_lo, s0
	s_delay_alu instid0(SALU_CYCLE_1) | instskip(NEXT) | instid1(SALU_CYCLE_1)
	s_and_saveexec_b32 s1, s0
	s_xor_b32 s0, exec_lo, s1
	s_cbranch_execz .LBB265_23
; %bb.22:
	s_delay_alu instid0(VALU_DEP_3) | instskip(SKIP_1) | instid1(VALU_DEP_3)
	v_mul_f64 v[4:5], v[15:16], -v[2:3]
	v_mul_f64 v[6:7], v[0:1], v[15:16]
	v_mul_f64 v[15:16], v[13:14], -v[2:3]
	v_mul_f64 v[13:14], v[0:1], v[13:14]
	v_lshlrev_b32_e32 v8, 1, v8
	v_fma_f64 v[4:5], v[0:1], v[9:10], v[4:5]
	v_fma_f64 v[6:7], v[2:3], v[9:10], v[6:7]
	;; [unrolled: 1-line block ×4, first 2 shown]
	v_ashrrev_i32_e32 v9, 31, v8
                                        ; implicit-def: $vgpr15_vgpr16
                                        ; implicit-def: $vgpr11_vgpr12
                                        ; implicit-def: $vgpr13_vgpr14
	s_delay_alu instid0(VALU_DEP_1) | instskip(SKIP_1) | instid1(VALU_DEP_1)
	v_lshlrev_b64 v[8:9], 4, v[8:9]
	s_waitcnt lgkmcnt(0)
	v_add_co_u32 v8, vcc_lo, s2, v8
	s_delay_alu instid0(VALU_DEP_2)
	v_add_co_ci_u32_e32 v9, vcc_lo, s3, v9, vcc_lo
	s_clause 0x1
	global_store_b128 v[8:9], v[4:7], off
	global_store_b128 v[8:9], v[0:3], off offset:16
                                        ; implicit-def: $vgpr0_vgpr1
                                        ; implicit-def: $vgpr2_vgpr3
                                        ; implicit-def: $vgpr4_vgpr5
                                        ; implicit-def: $vgpr6_vgpr7
                                        ; implicit-def: $vgpr8
                                        ; implicit-def: $vgpr9_vgpr10
.LBB265_23:
	s_and_not1_saveexec_b32 s0, s0
	s_cbranch_execz .LBB265_25
; %bb.24:
	v_lshlrev_b32_e32 v17, 1, v8
	s_delay_alu instid0(VALU_DEP_4) | instskip(SKIP_1) | instid1(VALU_DEP_4)
	v_mul_f64 v[27:28], v[15:16], -v[2:3]
	v_mul_f64 v[15:16], v[0:1], v[15:16]
	v_mul_f64 v[29:30], v[13:14], -v[2:3]
	v_mul_f64 v[13:14], v[0:1], v[13:14]
	v_ashrrev_i32_e32 v18, 31, v17
	s_delay_alu instid0(VALU_DEP_1) | instskip(SKIP_1) | instid1(VALU_DEP_1)
	v_lshlrev_b64 v[17:18], 4, v[17:18]
	s_waitcnt lgkmcnt(0)
	v_add_co_u32 v25, vcc_lo, s2, v17
	s_delay_alu instid0(VALU_DEP_2)
	v_add_co_ci_u32_e32 v26, vcc_lo, s3, v18, vcc_lo
	s_clause 0x1
	global_load_b128 v[17:20], v[25:26], off
	global_load_b128 v[21:24], v[25:26], off offset:16
	v_fma_f64 v[27:28], v[0:1], v[9:10], v[27:28]
	v_fma_f64 v[8:9], v[2:3], v[9:10], v[15:16]
	;; [unrolled: 1-line block ×4, first 2 shown]
	s_waitcnt vmcnt(1)
	s_delay_alu instid0(VALU_DEP_4) | instskip(NEXT) | instid1(VALU_DEP_4)
	v_fma_f64 v[10:11], v[4:5], v[17:18], v[27:28]
	v_fma_f64 v[8:9], v[6:7], v[17:18], v[8:9]
	s_waitcnt vmcnt(0)
	s_delay_alu instid0(VALU_DEP_4) | instskip(NEXT) | instid1(VALU_DEP_4)
	v_fma_f64 v[12:13], v[4:5], v[21:22], v[0:1]
	v_fma_f64 v[14:15], v[6:7], v[21:22], v[2:3]
	s_delay_alu instid0(VALU_DEP_4) | instskip(NEXT) | instid1(VALU_DEP_4)
	v_fma_f64 v[0:1], -v[6:7], v[19:20], v[10:11]
	v_fma_f64 v[2:3], v[4:5], v[19:20], v[8:9]
	s_delay_alu instid0(VALU_DEP_4) | instskip(NEXT) | instid1(VALU_DEP_4)
	v_fma_f64 v[6:7], -v[6:7], v[23:24], v[12:13]
	v_fma_f64 v[8:9], v[4:5], v[23:24], v[14:15]
	s_clause 0x1
	global_store_b128 v[25:26], v[0:3], off
	global_store_b128 v[25:26], v[6:9], off offset:16
.LBB265_25:
	s_nop 0
	s_sendmsg sendmsg(MSG_DEALLOC_VGPRS)
	s_endpgm
	.section	.rodata,"a",@progbits
	.p2align	6, 0x0
	.amdhsa_kernel _ZN9rocsparseL19gebsrmvn_2xn_kernelILj128ELj9ELj16E21rocsparse_complex_numIdEEEvi20rocsparse_direction_NS_24const_host_device_scalarIT2_EEPKiS8_PKS5_SA_S6_PS5_21rocsparse_index_base_b
		.amdhsa_group_segment_fixed_size 2048
		.amdhsa_private_segment_fixed_size 0
		.amdhsa_kernarg_size 88
		.amdhsa_user_sgpr_count 15
		.amdhsa_user_sgpr_dispatch_ptr 1
		.amdhsa_user_sgpr_queue_ptr 0
		.amdhsa_user_sgpr_kernarg_segment_ptr 1
		.amdhsa_user_sgpr_dispatch_id 0
		.amdhsa_user_sgpr_private_segment_size 0
		.amdhsa_wavefront_size32 1
		.amdhsa_uses_dynamic_stack 0
		.amdhsa_enable_private_segment 0
		.amdhsa_system_sgpr_workgroup_id_x 1
		.amdhsa_system_sgpr_workgroup_id_y 0
		.amdhsa_system_sgpr_workgroup_id_z 0
		.amdhsa_system_sgpr_workgroup_info 0
		.amdhsa_system_vgpr_workitem_id 2
		.amdhsa_next_free_vgpr 92
		.amdhsa_next_free_sgpr 18
		.amdhsa_reserve_vcc 1
		.amdhsa_float_round_mode_32 0
		.amdhsa_float_round_mode_16_64 0
		.amdhsa_float_denorm_mode_32 3
		.amdhsa_float_denorm_mode_16_64 3
		.amdhsa_dx10_clamp 1
		.amdhsa_ieee_mode 1
		.amdhsa_fp16_overflow 0
		.amdhsa_workgroup_processor_mode 1
		.amdhsa_memory_ordered 1
		.amdhsa_forward_progress 0
		.amdhsa_shared_vgpr_count 0
		.amdhsa_exception_fp_ieee_invalid_op 0
		.amdhsa_exception_fp_denorm_src 0
		.amdhsa_exception_fp_ieee_div_zero 0
		.amdhsa_exception_fp_ieee_overflow 0
		.amdhsa_exception_fp_ieee_underflow 0
		.amdhsa_exception_fp_ieee_inexact 0
		.amdhsa_exception_int_div_zero 0
	.end_amdhsa_kernel
	.section	.text._ZN9rocsparseL19gebsrmvn_2xn_kernelILj128ELj9ELj16E21rocsparse_complex_numIdEEEvi20rocsparse_direction_NS_24const_host_device_scalarIT2_EEPKiS8_PKS5_SA_S6_PS5_21rocsparse_index_base_b,"axG",@progbits,_ZN9rocsparseL19gebsrmvn_2xn_kernelILj128ELj9ELj16E21rocsparse_complex_numIdEEEvi20rocsparse_direction_NS_24const_host_device_scalarIT2_EEPKiS8_PKS5_SA_S6_PS5_21rocsparse_index_base_b,comdat
.Lfunc_end265:
	.size	_ZN9rocsparseL19gebsrmvn_2xn_kernelILj128ELj9ELj16E21rocsparse_complex_numIdEEEvi20rocsparse_direction_NS_24const_host_device_scalarIT2_EEPKiS8_PKS5_SA_S6_PS5_21rocsparse_index_base_b, .Lfunc_end265-_ZN9rocsparseL19gebsrmvn_2xn_kernelILj128ELj9ELj16E21rocsparse_complex_numIdEEEvi20rocsparse_direction_NS_24const_host_device_scalarIT2_EEPKiS8_PKS5_SA_S6_PS5_21rocsparse_index_base_b
                                        ; -- End function
	.section	.AMDGPU.csdata,"",@progbits
; Kernel info:
; codeLenInByte = 4892
; NumSgprs: 20
; NumVgprs: 92
; ScratchSize: 0
; MemoryBound: 0
; FloatMode: 240
; IeeeMode: 1
; LDSByteSize: 2048 bytes/workgroup (compile time only)
; SGPRBlocks: 2
; VGPRBlocks: 11
; NumSGPRsForWavesPerEU: 20
; NumVGPRsForWavesPerEU: 92
; Occupancy: 16
; WaveLimiterHint : 1
; COMPUTE_PGM_RSRC2:SCRATCH_EN: 0
; COMPUTE_PGM_RSRC2:USER_SGPR: 15
; COMPUTE_PGM_RSRC2:TRAP_HANDLER: 0
; COMPUTE_PGM_RSRC2:TGID_X_EN: 1
; COMPUTE_PGM_RSRC2:TGID_Y_EN: 0
; COMPUTE_PGM_RSRC2:TGID_Z_EN: 0
; COMPUTE_PGM_RSRC2:TIDIG_COMP_CNT: 2
	.section	.text._ZN9rocsparseL19gebsrmvn_2xn_kernelILj128ELj9ELj32E21rocsparse_complex_numIdEEEvi20rocsparse_direction_NS_24const_host_device_scalarIT2_EEPKiS8_PKS5_SA_S6_PS5_21rocsparse_index_base_b,"axG",@progbits,_ZN9rocsparseL19gebsrmvn_2xn_kernelILj128ELj9ELj32E21rocsparse_complex_numIdEEEvi20rocsparse_direction_NS_24const_host_device_scalarIT2_EEPKiS8_PKS5_SA_S6_PS5_21rocsparse_index_base_b,comdat
	.globl	_ZN9rocsparseL19gebsrmvn_2xn_kernelILj128ELj9ELj32E21rocsparse_complex_numIdEEEvi20rocsparse_direction_NS_24const_host_device_scalarIT2_EEPKiS8_PKS5_SA_S6_PS5_21rocsparse_index_base_b ; -- Begin function _ZN9rocsparseL19gebsrmvn_2xn_kernelILj128ELj9ELj32E21rocsparse_complex_numIdEEEvi20rocsparse_direction_NS_24const_host_device_scalarIT2_EEPKiS8_PKS5_SA_S6_PS5_21rocsparse_index_base_b
	.p2align	8
	.type	_ZN9rocsparseL19gebsrmvn_2xn_kernelILj128ELj9ELj32E21rocsparse_complex_numIdEEEvi20rocsparse_direction_NS_24const_host_device_scalarIT2_EEPKiS8_PKS5_SA_S6_PS5_21rocsparse_index_base_b,@function
_ZN9rocsparseL19gebsrmvn_2xn_kernelILj128ELj9ELj32E21rocsparse_complex_numIdEEEvi20rocsparse_direction_NS_24const_host_device_scalarIT2_EEPKiS8_PKS5_SA_S6_PS5_21rocsparse_index_base_b: ; @_ZN9rocsparseL19gebsrmvn_2xn_kernelILj128ELj9ELj32E21rocsparse_complex_numIdEEEvi20rocsparse_direction_NS_24const_host_device_scalarIT2_EEPKiS8_PKS5_SA_S6_PS5_21rocsparse_index_base_b
; %bb.0:
	s_load_b64 s[12:13], s[2:3], 0x50
	s_load_b64 s[16:17], s[0:1], 0x4
	s_load_b128 s[8:11], s[2:3], 0x8
	v_bfe_u32 v1, v0, 10, 10
	s_mov_b64 s[0:1], src_shared_base
	s_load_b128 s[4:7], s[2:3], 0x38
	v_and_b32_e32 v10, 0x3ff, v0
	v_bfe_u32 v0, v0, 20, 10
	s_waitcnt lgkmcnt(0)
	s_bitcmp1_b32 s13, 0
	v_mul_u32_u24_e32 v1, s17, v1
	s_cselect_b32 s0, -1, 0
	s_delay_alu instid0(SALU_CYCLE_1)
	s_and_b32 vcc_lo, s0, exec_lo
	s_cselect_b32 s13, s1, s9
	s_lshr_b32 s14, s16, 16
	v_dual_mov_b32 v2, s4 :: v_dual_mov_b32 v3, s5
	s_mul_i32 s14, s14, s17
	v_mov_b32_e32 v6, s13
	v_mad_u32_u24 v1, s14, v10, v1
	s_delay_alu instid0(VALU_DEP_1) | instskip(SKIP_1) | instid1(VALU_DEP_2)
	v_add_lshl_u32 v4, v1, v0, 3
	v_dual_mov_b32 v0, s8 :: v_dual_mov_b32 v1, s9
	v_add_nc_u32_e32 v5, 0x400, v4
	ds_store_2addr_stride64_b64 v4, v[2:3], v[0:1] offset1:2
	v_dual_mov_b32 v2, s10 :: v_dual_mov_b32 v3, s11
	v_cndmask_b32_e64 v5, s8, v5, s0
	s_xor_b32 s10, s0, -1
	flat_load_b64 v[0:1], v[5:6]
	s_cbranch_vccnz .LBB266_2
; %bb.1:
	v_dual_mov_b32 v2, s8 :: v_dual_mov_b32 v3, s9
	flat_load_b64 v[2:3], v[2:3] offset:8
.LBB266_2:
	s_and_b32 s8, s0, exec_lo
	s_cselect_b32 s1, s1, s5
	v_cndmask_b32_e64 v4, s4, v4, s0
	v_dual_mov_b32 v5, s1 :: v_dual_mov_b32 v6, s6
	v_mov_b32_e32 v7, s7
	s_and_not1_b32 vcc_lo, exec_lo, s10
	flat_load_b64 v[4:5], v[4:5]
	s_cbranch_vccnz .LBB266_4
; %bb.3:
	v_dual_mov_b32 v7, s5 :: v_dual_mov_b32 v6, s4
	flat_load_b64 v[6:7], v[6:7] offset:8
.LBB266_4:
	s_waitcnt vmcnt(1) lgkmcnt(1)
	v_cmp_eq_f64_e32 vcc_lo, 0, v[0:1]
	v_cmp_eq_f64_e64 s0, 0, v[2:3]
	s_delay_alu instid0(VALU_DEP_1)
	s_and_b32 s4, vcc_lo, s0
	s_mov_b32 s0, -1
	s_and_saveexec_b32 s1, s4
	s_cbranch_execz .LBB266_6
; %bb.5:
	s_waitcnt vmcnt(0) lgkmcnt(0)
	v_cmp_neq_f64_e32 vcc_lo, 1.0, v[4:5]
	v_cmp_neq_f64_e64 s0, 0, v[6:7]
	s_delay_alu instid0(VALU_DEP_1) | instskip(NEXT) | instid1(SALU_CYCLE_1)
	s_or_b32 s0, vcc_lo, s0
	s_or_not1_b32 s0, s0, exec_lo
.LBB266_6:
	s_or_b32 exec_lo, exec_lo, s1
	s_and_saveexec_b32 s1, s0
	s_cbranch_execz .LBB266_25
; %bb.7:
	s_load_b64 s[0:1], s[2:3], 0x0
	v_lshrrev_b32_e32 v8, 5, v10
	s_delay_alu instid0(VALU_DEP_1) | instskip(SKIP_1) | instid1(VALU_DEP_1)
	v_lshl_or_b32 v8, s15, 2, v8
	s_waitcnt lgkmcnt(0)
	v_cmp_gt_i32_e32 vcc_lo, s0, v8
	s_and_b32 exec_lo, exec_lo, vcc_lo
	s_cbranch_execz .LBB266_25
; %bb.8:
	s_load_b256 s[4:11], s[2:3], 0x18
	v_ashrrev_i32_e32 v9, 31, v8
	v_and_b32_e32 v25, 31, v10
	s_cmp_lg_u32 s1, 0
	s_delay_alu instid0(VALU_DEP_2) | instskip(SKIP_1) | instid1(VALU_DEP_1)
	v_lshlrev_b64 v[11:12], 2, v[8:9]
	s_waitcnt lgkmcnt(0)
	v_add_co_u32 v11, vcc_lo, s4, v11
	s_delay_alu instid0(VALU_DEP_2) | instskip(SKIP_4) | instid1(VALU_DEP_2)
	v_add_co_ci_u32_e32 v12, vcc_lo, s5, v12, vcc_lo
	global_load_b64 v[11:12], v[11:12], off
	s_waitcnt vmcnt(0)
	v_subrev_nc_u32_e32 v9, s12, v11
	v_subrev_nc_u32_e32 v24, s12, v12
	v_add_nc_u32_e32 v9, v9, v25
	s_delay_alu instid0(VALU_DEP_1)
	v_cmp_lt_i32_e64 s0, v9, v24
	s_cbranch_scc0 .LBB266_14
; %bb.9:
	v_mov_b32_e32 v11, 0
	v_mov_b32_e32 v12, 0
	s_delay_alu instid0(VALU_DEP_1)
	v_dual_mov_b32 v14, v12 :: v_dual_mov_b32 v13, v11
	v_dual_mov_b32 v16, v12 :: v_dual_mov_b32 v15, v11
	;; [unrolled: 1-line block ×3, first 2 shown]
	s_and_saveexec_b32 s1, s0
	s_cbranch_execz .LBB266_13
; %bb.10:
	v_dual_mov_b32 v11, 0 :: v_dual_mov_b32 v22, v9
	v_dual_mov_b32 v12, 0 :: v_dual_mov_b32 v21, 0
	v_mad_u64_u32 v[19:20], null, v9, 18, 16
	s_mov_b32 s4, 0
	s_delay_alu instid0(VALU_DEP_2)
	v_dual_mov_b32 v14, v12 :: v_dual_mov_b32 v13, v11
	v_dual_mov_b32 v16, v12 :: v_dual_mov_b32 v15, v11
	;; [unrolled: 1-line block ×3, first 2 shown]
.LBB266_11:                             ; =>This Inner Loop Header: Depth=1
	v_ashrrev_i32_e32 v23, 31, v22
	v_dual_mov_b32 v87, v21 :: v_dual_add_nc_u32 v20, -16, v19
	s_delay_alu instid0(VALU_DEP_2) | instskip(SKIP_1) | instid1(VALU_DEP_2)
	v_lshlrev_b64 v[26:27], 2, v[22:23]
	v_add_nc_u32_e32 v22, 32, v22
	v_add_co_u32 v26, vcc_lo, s6, v26
	s_delay_alu instid0(VALU_DEP_3) | instskip(SKIP_3) | instid1(VALU_DEP_1)
	v_add_co_ci_u32_e32 v27, vcc_lo, s7, v27, vcc_lo
	global_load_b32 v10, v[26:27], off
	v_lshlrev_b64 v[26:27], 4, v[20:21]
	v_add_nc_u32_e32 v20, -14, v19
	v_lshlrev_b64 v[38:39], 4, v[20:21]
	s_delay_alu instid0(VALU_DEP_3) | instskip(NEXT) | instid1(VALU_DEP_4)
	v_add_co_u32 v30, vcc_lo, s8, v26
	v_add_co_ci_u32_e32 v31, vcc_lo, s9, v27, vcc_lo
	global_load_b128 v[26:29], v[30:31], off offset:16
	s_waitcnt vmcnt(1)
	v_subrev_nc_u32_e32 v10, s12, v10
	s_delay_alu instid0(VALU_DEP_1) | instskip(NEXT) | instid1(VALU_DEP_1)
	v_lshl_add_u32 v86, v10, 3, v10
	v_lshlrev_b64 v[32:33], 4, v[86:87]
	v_add_nc_u32_e32 v20, 1, v86
	s_delay_alu instid0(VALU_DEP_1) | instskip(NEXT) | instid1(VALU_DEP_3)
	v_lshlrev_b64 v[44:45], 4, v[20:21]
	v_add_co_u32 v34, vcc_lo, s10, v32
	s_delay_alu instid0(VALU_DEP_4)
	v_add_co_ci_u32_e32 v35, vcc_lo, s11, v33, vcc_lo
	v_add_co_u32 v42, vcc_lo, s8, v38
	global_load_b128 v[30:33], v[30:31], off
	global_load_b128 v[34:37], v[34:35], off
	v_add_co_ci_u32_e32 v43, vcc_lo, s9, v39, vcc_lo
	v_add_co_u32 v46, vcc_lo, s10, v44
	v_add_co_ci_u32_e32 v47, vcc_lo, s11, v45, vcc_lo
	s_clause 0x1
	global_load_b128 v[38:41], v[42:43], off offset:16
	global_load_b128 v[42:45], v[42:43], off
	global_load_b128 v[46:49], v[46:47], off
	v_add_nc_u32_e32 v20, -12, v19
	s_delay_alu instid0(VALU_DEP_1) | instskip(SKIP_1) | instid1(VALU_DEP_1)
	v_lshlrev_b64 v[50:51], 4, v[20:21]
	v_add_nc_u32_e32 v20, 2, v86
	v_lshlrev_b64 v[52:53], 4, v[20:21]
	s_delay_alu instid0(VALU_DEP_3) | instskip(NEXT) | instid1(VALU_DEP_4)
	v_add_co_u32 v54, vcc_lo, s8, v50
	v_add_co_ci_u32_e32 v55, vcc_lo, s9, v51, vcc_lo
	v_add_nc_u32_e32 v20, -10, v19
	s_delay_alu instid0(VALU_DEP_4)
	v_add_co_u32 v58, vcc_lo, s10, v52
	v_add_co_ci_u32_e32 v59, vcc_lo, s11, v53, vcc_lo
	s_clause 0x1
	global_load_b128 v[50:53], v[54:55], off offset:16
	global_load_b128 v[54:57], v[54:55], off
	global_load_b128 v[58:61], v[58:59], off
	v_lshlrev_b64 v[62:63], 4, v[20:21]
	v_add_nc_u32_e32 v20, 3, v86
	s_delay_alu instid0(VALU_DEP_1) | instskip(NEXT) | instid1(VALU_DEP_3)
	v_lshlrev_b64 v[64:65], 4, v[20:21]
	v_add_co_u32 v66, vcc_lo, s8, v62
	s_delay_alu instid0(VALU_DEP_4) | instskip(SKIP_1) | instid1(VALU_DEP_4)
	v_add_co_ci_u32_e32 v67, vcc_lo, s9, v63, vcc_lo
	v_add_nc_u32_e32 v20, -8, v19
	v_add_co_u32 v70, vcc_lo, s10, v64
	v_add_co_ci_u32_e32 v71, vcc_lo, s11, v65, vcc_lo
	s_clause 0x1
	global_load_b128 v[62:65], v[66:67], off offset:16
	global_load_b128 v[66:69], v[66:67], off
	global_load_b128 v[70:73], v[70:71], off
	v_lshlrev_b64 v[74:75], 4, v[20:21]
	v_add_nc_u32_e32 v20, 4, v86
	s_delay_alu instid0(VALU_DEP_1) | instskip(NEXT) | instid1(VALU_DEP_3)
	v_lshlrev_b64 v[76:77], 4, v[20:21]
	v_add_co_u32 v78, vcc_lo, s8, v74
	s_delay_alu instid0(VALU_DEP_4) | instskip(SKIP_1) | instid1(VALU_DEP_4)
	v_add_co_ci_u32_e32 v79, vcc_lo, s9, v75, vcc_lo
	v_add_nc_u32_e32 v20, -6, v19
	v_add_co_u32 v82, vcc_lo, s10, v76
	v_add_co_ci_u32_e32 v83, vcc_lo, s11, v77, vcc_lo
	s_clause 0x1
	global_load_b128 v[74:77], v[78:79], off offset:16
	global_load_b128 v[78:81], v[78:79], off
	global_load_b128 v[82:85], v[82:83], off
	s_waitcnt vmcnt(12)
	v_fma_f64 v[13:14], v[30:31], v[34:35], v[13:14]
	v_fma_f64 v[10:11], v[32:33], v[34:35], v[11:12]
	;; [unrolled: 1-line block ×4, first 2 shown]
	v_lshlrev_b64 v[34:35], 4, v[20:21]
	v_add_nc_u32_e32 v20, 5, v86
	v_fma_f64 v[32:33], -v[32:33], v[36:37], v[13:14]
	v_fma_f64 v[30:31], v[30:31], v[36:37], v[10:11]
	v_fma_f64 v[87:88], -v[28:29], v[36:37], v[15:16]
	v_fma_f64 v[36:37], v[26:27], v[36:37], v[17:18]
	v_lshlrev_b64 v[10:11], 4, v[20:21]
	v_add_co_u32 v14, vcc_lo, s8, v34
	v_add_co_ci_u32_e32 v15, vcc_lo, s9, v35, vcc_lo
	v_add_nc_u32_e32 v20, -4, v19
	s_delay_alu instid0(VALU_DEP_4)
	v_add_co_u32 v26, vcc_lo, s10, v10
	v_add_co_ci_u32_e32 v27, vcc_lo, s11, v11, vcc_lo
	s_clause 0x1
	global_load_b128 v[10:13], v[14:15], off offset:16
	global_load_b128 v[14:17], v[14:15], off
	global_load_b128 v[26:29], v[26:27], off
	s_waitcnt vmcnt(12)
	v_fma_f64 v[32:33], v[42:43], v[46:47], v[32:33]
	v_fma_f64 v[30:31], v[44:45], v[46:47], v[30:31]
	v_fma_f64 v[34:35], v[38:39], v[46:47], v[87:88]
	v_fma_f64 v[36:37], v[40:41], v[46:47], v[36:37]
	v_lshlrev_b64 v[46:47], 4, v[20:21]
	v_add_nc_u32_e32 v20, 6, v86
	v_fma_f64 v[44:45], -v[44:45], v[48:49], v[32:33]
	v_fma_f64 v[42:43], v[42:43], v[48:49], v[30:31]
	v_fma_f64 v[87:88], -v[40:41], v[48:49], v[34:35]
	v_fma_f64 v[48:49], v[38:39], v[48:49], v[36:37]
	v_lshlrev_b64 v[30:31], 4, v[20:21]
	v_add_co_u32 v34, vcc_lo, s8, v46
	v_add_co_ci_u32_e32 v35, vcc_lo, s9, v47, vcc_lo
	v_add_nc_u32_e32 v20, -2, v19
	s_delay_alu instid0(VALU_DEP_4)
	v_add_co_u32 v38, vcc_lo, s10, v30
	v_add_co_ci_u32_e32 v39, vcc_lo, s11, v31, vcc_lo
	s_clause 0x1
	global_load_b128 v[30:33], v[34:35], off offset:16
	global_load_b128 v[34:37], v[34:35], off
	global_load_b128 v[38:41], v[38:39], off
	s_waitcnt vmcnt(12)
	v_fma_f64 v[44:45], v[54:55], v[58:59], v[44:45]
	v_fma_f64 v[42:43], v[56:57], v[58:59], v[42:43]
	;; [unrolled: 1-line block ×4, first 2 shown]
	v_lshlrev_b64 v[58:59], 4, v[20:21]
	v_add_nc_u32_e32 v20, 7, v86
	v_fma_f64 v[56:57], -v[56:57], v[60:61], v[44:45]
	v_fma_f64 v[54:55], v[54:55], v[60:61], v[42:43]
	v_fma_f64 v[87:88], -v[52:53], v[60:61], v[46:47]
	v_fma_f64 v[60:61], v[50:51], v[60:61], v[48:49]
	v_lshlrev_b64 v[42:43], 4, v[20:21]
	v_add_co_u32 v46, vcc_lo, s8, v58
	v_add_co_ci_u32_e32 v47, vcc_lo, s9, v59, vcc_lo
	v_mov_b32_e32 v20, v21
	s_delay_alu instid0(VALU_DEP_4)
	v_add_co_u32 v50, vcc_lo, s10, v42
	v_add_co_ci_u32_e32 v51, vcc_lo, s11, v43, vcc_lo
	s_clause 0x1
	global_load_b128 v[42:45], v[46:47], off offset:16
	global_load_b128 v[46:49], v[46:47], off
	global_load_b128 v[50:53], v[50:51], off
	s_waitcnt vmcnt(12)
	v_fma_f64 v[58:59], v[66:67], v[70:71], v[56:57]
	v_fma_f64 v[89:90], v[68:69], v[70:71], v[54:55]
	;; [unrolled: 1-line block ×4, first 2 shown]
	v_lshlrev_b64 v[54:55], 4, v[19:20]
	v_add_nc_u32_e32 v19, 0x240, v19
	v_add_nc_u32_e32 v20, 8, v86
	s_delay_alu instid0(VALU_DEP_3) | instskip(NEXT) | instid1(VALU_DEP_4)
	v_add_co_u32 v70, vcc_lo, s8, v54
	v_add_co_ci_u32_e32 v71, vcc_lo, s9, v55, vcc_lo
	global_load_b128 v[54:57], v[70:71], off offset:16
	v_fma_f64 v[68:69], -v[68:69], v[72:73], v[58:59]
	v_fma_f64 v[66:67], v[66:67], v[72:73], v[89:90]
	v_fma_f64 v[87:88], -v[64:65], v[72:73], v[87:88]
	v_fma_f64 v[72:73], v[62:63], v[72:73], v[60:61]
	v_lshlrev_b64 v[58:59], 4, v[20:21]
	s_delay_alu instid0(VALU_DEP_1) | instskip(NEXT) | instid1(VALU_DEP_2)
	v_add_co_u32 v62, vcc_lo, s10, v58
	v_add_co_ci_u32_e32 v63, vcc_lo, s11, v59, vcc_lo
	global_load_b128 v[58:61], v[70:71], off
	global_load_b128 v[62:65], v[62:63], off
	v_cmp_ge_i32_e32 vcc_lo, v22, v24
	s_or_b32 s4, vcc_lo, s4
	s_waitcnt vmcnt(12)
	v_fma_f64 v[68:69], v[78:79], v[82:83], v[68:69]
	v_fma_f64 v[66:67], v[80:81], v[82:83], v[66:67]
	;; [unrolled: 1-line block ×4, first 2 shown]
	s_delay_alu instid0(VALU_DEP_4) | instskip(NEXT) | instid1(VALU_DEP_4)
	v_fma_f64 v[68:69], -v[80:81], v[84:85], v[68:69]
	v_fma_f64 v[66:67], v[78:79], v[84:85], v[66:67]
	s_delay_alu instid0(VALU_DEP_4) | instskip(NEXT) | instid1(VALU_DEP_4)
	v_fma_f64 v[70:71], -v[76:77], v[84:85], v[70:71]
	v_fma_f64 v[72:73], v[74:75], v[84:85], v[72:73]
	s_waitcnt vmcnt(9)
	s_delay_alu instid0(VALU_DEP_4) | instskip(NEXT) | instid1(VALU_DEP_4)
	v_fma_f64 v[68:69], v[14:15], v[26:27], v[68:69]
	v_fma_f64 v[66:67], v[16:17], v[26:27], v[66:67]
	s_delay_alu instid0(VALU_DEP_4) | instskip(NEXT) | instid1(VALU_DEP_4)
	v_fma_f64 v[70:71], v[10:11], v[26:27], v[70:71]
	v_fma_f64 v[26:27], v[12:13], v[26:27], v[72:73]
	s_delay_alu instid0(VALU_DEP_4) | instskip(NEXT) | instid1(VALU_DEP_4)
	v_fma_f64 v[16:17], -v[16:17], v[28:29], v[68:69]
	v_fma_f64 v[14:15], v[14:15], v[28:29], v[66:67]
	s_delay_alu instid0(VALU_DEP_4) | instskip(NEXT) | instid1(VALU_DEP_4)
	v_fma_f64 v[12:13], -v[12:13], v[28:29], v[70:71]
	v_fma_f64 v[10:11], v[10:11], v[28:29], v[26:27]
	s_waitcnt vmcnt(6)
	s_delay_alu instid0(VALU_DEP_4) | instskip(NEXT) | instid1(VALU_DEP_4)
	v_fma_f64 v[16:17], v[34:35], v[38:39], v[16:17]
	v_fma_f64 v[14:15], v[36:37], v[38:39], v[14:15]
	s_delay_alu instid0(VALU_DEP_4) | instskip(NEXT) | instid1(VALU_DEP_4)
	v_fma_f64 v[12:13], v[30:31], v[38:39], v[12:13]
	v_fma_f64 v[10:11], v[32:33], v[38:39], v[10:11]
	;; [unrolled: 13-line block ×4, first 2 shown]
	s_delay_alu instid0(VALU_DEP_4) | instskip(NEXT) | instid1(VALU_DEP_4)
	v_fma_f64 v[13:14], -v[60:61], v[64:65], v[16:17]
	v_fma_f64 v[11:12], v[58:59], v[64:65], v[26:27]
	s_delay_alu instid0(VALU_DEP_4) | instskip(NEXT) | instid1(VALU_DEP_4)
	v_fma_f64 v[15:16], -v[56:57], v[64:65], v[28:29]
	v_fma_f64 v[17:18], v[54:55], v[64:65], v[30:31]
	s_and_not1_b32 exec_lo, exec_lo, s4
	s_cbranch_execnz .LBB266_11
; %bb.12:
	s_or_b32 exec_lo, exec_lo, s4
.LBB266_13:
	s_delay_alu instid0(SALU_CYCLE_1)
	s_or_b32 exec_lo, exec_lo, s1
	s_cbranch_execz .LBB266_15
	s_branch .LBB266_20
.LBB266_14:
                                        ; implicit-def: $vgpr11_vgpr12
                                        ; implicit-def: $vgpr13_vgpr14
                                        ; implicit-def: $vgpr15_vgpr16
                                        ; implicit-def: $vgpr17_vgpr18
.LBB266_15:
	v_mov_b32_e32 v11, 0
	v_mov_b32_e32 v12, 0
	s_delay_alu instid0(VALU_DEP_1)
	v_dual_mov_b32 v14, v12 :: v_dual_mov_b32 v13, v11
	v_dual_mov_b32 v16, v12 :: v_dual_mov_b32 v15, v11
	;; [unrolled: 1-line block ×3, first 2 shown]
	s_and_saveexec_b32 s1, s0
	s_cbranch_execz .LBB266_19
; %bb.16:
	v_mov_b32_e32 v11, 0
	v_dual_mov_b32 v12, 0 :: v_dual_mov_b32 v21, 0
	v_mad_u64_u32 v[19:20], null, v9, 18, 17
	s_mov_b32 s0, 0
	s_delay_alu instid0(VALU_DEP_2)
	v_dual_mov_b32 v14, v12 :: v_dual_mov_b32 v13, v11
	v_dual_mov_b32 v16, v12 :: v_dual_mov_b32 v15, v11
	;; [unrolled: 1-line block ×3, first 2 shown]
.LBB266_17:                             ; =>This Inner Loop Header: Depth=1
	v_ashrrev_i32_e32 v10, 31, v9
	v_subrev_nc_u32_e32 v20, 17, v19
	v_add_nc_u32_e32 v26, -8, v19
	s_delay_alu instid0(VALU_DEP_3) | instskip(NEXT) | instid1(VALU_DEP_3)
	v_lshlrev_b64 v[22:23], 2, v[9:10]
	v_lshlrev_b64 v[28:29], 4, v[20:21]
	v_add_nc_u32_e32 v9, 32, v9
	s_delay_alu instid0(VALU_DEP_3) | instskip(NEXT) | instid1(VALU_DEP_4)
	v_add_co_u32 v22, vcc_lo, s6, v22
	v_add_co_ci_u32_e32 v23, vcc_lo, s7, v23, vcc_lo
	s_delay_alu instid0(VALU_DEP_4)
	v_add_co_u32 v30, vcc_lo, s8, v28
	v_add_co_ci_u32_e32 v31, vcc_lo, s9, v29, vcc_lo
	global_load_b32 v10, v[22:23], off
	v_mov_b32_e32 v23, v21
	s_waitcnt vmcnt(0)
	v_subrev_nc_u32_e32 v10, s12, v10
	s_delay_alu instid0(VALU_DEP_1) | instskip(NEXT) | instid1(VALU_DEP_1)
	v_lshl_add_u32 v22, v10, 3, v10
	v_dual_mov_b32 v27, v21 :: v_dual_add_nc_u32 v20, 1, v22
	s_delay_alu instid0(VALU_DEP_1) | instskip(SKIP_1) | instid1(VALU_DEP_3)
	v_lshlrev_b64 v[26:27], 4, v[26:27]
	v_lshlrev_b64 v[38:39], 4, v[22:23]
	;; [unrolled: 1-line block ×3, first 2 shown]
	v_add_nc_u32_e32 v20, -7, v19
	s_delay_alu instid0(VALU_DEP_4)
	v_add_co_u32 v34, vcc_lo, s8, v26
	v_add_co_ci_u32_e32 v35, vcc_lo, s9, v27, vcc_lo
	v_add_co_u32 v38, vcc_lo, s10, v38
	v_add_co_ci_u32_e32 v39, vcc_lo, s11, v39, vcc_lo
	s_clause 0x2
	global_load_b128 v[26:29], v[30:31], off offset:16
	global_load_b128 v[30:33], v[30:31], off
	global_load_b128 v[34:37], v[34:35], off
	v_lshlrev_b64 v[44:45], 4, v[20:21]
	v_add_co_u32 v42, vcc_lo, s10, v42
	global_load_b128 v[38:41], v[38:39], off
	v_add_co_ci_u32_e32 v43, vcc_lo, s11, v43, vcc_lo
	v_add_co_u32 v46, vcc_lo, s8, v44
	v_add_co_ci_u32_e32 v47, vcc_lo, s9, v45, vcc_lo
	global_load_b128 v[42:45], v[42:43], off
	global_load_b128 v[46:49], v[46:47], off
	v_add_nc_u32_e32 v20, -15, v19
	s_delay_alu instid0(VALU_DEP_1) | instskip(SKIP_1) | instid1(VALU_DEP_1)
	v_lshlrev_b64 v[50:51], 4, v[20:21]
	v_add_nc_u32_e32 v20, 2, v22
	v_lshlrev_b64 v[54:55], 4, v[20:21]
	v_add_nc_u32_e32 v20, -6, v19
	s_delay_alu instid0(VALU_DEP_4) | instskip(SKIP_1) | instid1(VALU_DEP_3)
	v_add_co_u32 v50, vcc_lo, s8, v50
	v_add_co_ci_u32_e32 v51, vcc_lo, s9, v51, vcc_lo
	v_lshlrev_b64 v[56:57], 4, v[20:21]
	v_add_co_u32 v54, vcc_lo, s10, v54
	v_add_co_ci_u32_e32 v55, vcc_lo, s11, v55, vcc_lo
	global_load_b128 v[50:53], v[50:51], off
	v_add_co_u32 v58, vcc_lo, s8, v56
	v_add_co_ci_u32_e32 v59, vcc_lo, s9, v57, vcc_lo
	global_load_b128 v[54:57], v[54:55], off
	global_load_b128 v[58:61], v[58:59], off
	v_add_nc_u32_e32 v20, -14, v19
	s_delay_alu instid0(VALU_DEP_1) | instskip(SKIP_1) | instid1(VALU_DEP_1)
	v_lshlrev_b64 v[62:63], 4, v[20:21]
	v_add_nc_u32_e32 v20, 3, v22
	v_lshlrev_b64 v[64:65], 4, v[20:21]
	v_add_nc_u32_e32 v20, -5, v19
	s_delay_alu instid0(VALU_DEP_4) | instskip(SKIP_1) | instid1(VALU_DEP_3)
	v_add_co_u32 v62, vcc_lo, s8, v62
	v_add_co_ci_u32_e32 v63, vcc_lo, s9, v63, vcc_lo
	v_lshlrev_b64 v[66:67], 4, v[20:21]
	v_add_co_u32 v68, vcc_lo, s10, v64
	v_add_co_ci_u32_e32 v69, vcc_lo, s11, v65, vcc_lo
	v_add_nc_u32_e32 v20, -13, v19
	s_delay_alu instid0(VALU_DEP_4)
	v_add_co_u32 v70, vcc_lo, s8, v66
	v_add_co_ci_u32_e32 v71, vcc_lo, s9, v67, vcc_lo
	global_load_b128 v[62:65], v[62:63], off
	global_load_b128 v[66:69], v[68:69], off
	;; [unrolled: 1-line block ×3, first 2 shown]
	v_lshlrev_b64 v[74:75], 4, v[20:21]
	v_add_nc_u32_e32 v20, 4, v22
	s_delay_alu instid0(VALU_DEP_1) | instskip(SKIP_1) | instid1(VALU_DEP_4)
	v_lshlrev_b64 v[76:77], 4, v[20:21]
	v_add_nc_u32_e32 v20, -4, v19
	v_add_co_u32 v74, vcc_lo, s8, v74
	v_add_co_ci_u32_e32 v75, vcc_lo, s9, v75, vcc_lo
	s_delay_alu instid0(VALU_DEP_3) | instskip(SKIP_3) | instid1(VALU_DEP_4)
	v_lshlrev_b64 v[78:79], 4, v[20:21]
	v_add_co_u32 v80, vcc_lo, s10, v76
	v_add_co_ci_u32_e32 v81, vcc_lo, s11, v77, vcc_lo
	v_add_nc_u32_e32 v20, -12, v19
	v_add_co_u32 v82, vcc_lo, s8, v78
	v_add_co_ci_u32_e32 v83, vcc_lo, s9, v79, vcc_lo
	global_load_b128 v[74:77], v[74:75], off
	global_load_b128 v[78:81], v[80:81], off
	;; [unrolled: 1-line block ×3, first 2 shown]
	s_waitcnt vmcnt(11)
	v_fma_f64 v[13:14], v[30:31], v[38:39], v[13:14]
	v_fma_f64 v[10:11], v[32:33], v[38:39], v[11:12]
	;; [unrolled: 1-line block ×4, first 2 shown]
	v_lshlrev_b64 v[38:39], 4, v[20:21]
	v_add_nc_u32_e32 v20, 5, v22
	s_delay_alu instid0(VALU_DEP_2)
	v_add_co_u32 v12, vcc_lo, s8, v38
	v_fma_f64 v[86:87], -v[32:33], v[40:41], v[13:14]
	v_fma_f64 v[88:89], v[30:31], v[40:41], v[10:11]
	v_fma_f64 v[36:37], -v[36:37], v[40:41], v[15:16]
	v_fma_f64 v[34:35], v[34:35], v[40:41], v[17:18]
	v_lshlrev_b64 v[10:11], 4, v[20:21]
	v_add_nc_u32_e32 v20, -3, v19
	v_add_co_ci_u32_e32 v13, vcc_lo, s9, v39, vcc_lo
	s_delay_alu instid0(VALU_DEP_2) | instskip(NEXT) | instid1(VALU_DEP_4)
	v_lshlrev_b64 v[14:15], 4, v[20:21]
	v_add_co_u32 v16, vcc_lo, s10, v10
	v_add_co_ci_u32_e32 v17, vcc_lo, s11, v11, vcc_lo
	v_add_nc_u32_e32 v20, -11, v19
	s_delay_alu instid0(VALU_DEP_4)
	v_add_co_u32 v30, vcc_lo, s8, v14
	v_add_co_ci_u32_e32 v31, vcc_lo, s9, v15, vcc_lo
	global_load_b128 v[10:13], v[12:13], off
	global_load_b128 v[14:17], v[16:17], off
	;; [unrolled: 1-line block ×3, first 2 shown]
	s_waitcnt vmcnt(13)
	v_fma_f64 v[38:39], v[26:27], v[42:43], v[86:87]
	v_fma_f64 v[40:41], v[28:29], v[42:43], v[88:89]
	s_waitcnt vmcnt(12)
	v_fma_f64 v[36:37], v[46:47], v[42:43], v[36:37]
	v_fma_f64 v[34:35], v[48:49], v[42:43], v[34:35]
	v_lshlrev_b64 v[42:43], 4, v[20:21]
	v_add_nc_u32_e32 v20, 6, v22
	v_fma_f64 v[86:87], -v[28:29], v[44:45], v[38:39]
	v_fma_f64 v[88:89], v[26:27], v[44:45], v[40:41]
	v_fma_f64 v[48:49], -v[48:49], v[44:45], v[36:37]
	v_fma_f64 v[44:45], v[46:47], v[44:45], v[34:35]
	v_lshlrev_b64 v[26:27], 4, v[20:21]
	v_add_nc_u32_e32 v20, -2, v19
	v_add_co_u32 v28, vcc_lo, s8, v42
	v_add_co_ci_u32_e32 v29, vcc_lo, s9, v43, vcc_lo
	s_delay_alu instid0(VALU_DEP_3) | instskip(SKIP_3) | instid1(VALU_DEP_4)
	v_lshlrev_b64 v[34:35], 4, v[20:21]
	v_add_co_u32 v36, vcc_lo, s10, v26
	v_add_co_ci_u32_e32 v37, vcc_lo, s11, v27, vcc_lo
	v_add_nc_u32_e32 v20, -10, v19
	v_add_co_u32 v38, vcc_lo, s8, v34
	v_add_co_ci_u32_e32 v39, vcc_lo, s9, v35, vcc_lo
	global_load_b128 v[26:29], v[28:29], off
	global_load_b128 v[34:37], v[36:37], off
	;; [unrolled: 1-line block ×3, first 2 shown]
	s_waitcnt vmcnt(13)
	v_fma_f64 v[42:43], v[50:51], v[54:55], v[86:87]
	v_fma_f64 v[46:47], v[52:53], v[54:55], v[88:89]
	s_waitcnt vmcnt(12)
	v_fma_f64 v[48:49], v[58:59], v[54:55], v[48:49]
	v_fma_f64 v[44:45], v[60:61], v[54:55], v[44:45]
	v_lshlrev_b64 v[54:55], 4, v[20:21]
	v_add_nc_u32_e32 v20, 7, v22
	v_fma_f64 v[86:87], -v[52:53], v[56:57], v[42:43]
	v_fma_f64 v[88:89], v[50:51], v[56:57], v[46:47]
	v_fma_f64 v[60:61], -v[60:61], v[56:57], v[48:49]
	v_fma_f64 v[56:57], v[58:59], v[56:57], v[44:45]
	v_lshlrev_b64 v[42:43], 4, v[20:21]
	v_add_nc_u32_e32 v20, -1, v19
	v_add_co_u32 v44, vcc_lo, s8, v54
	v_add_co_ci_u32_e32 v45, vcc_lo, s9, v55, vcc_lo
	s_delay_alu instid0(VALU_DEP_3) | instskip(SKIP_3) | instid1(VALU_DEP_4)
	v_lshlrev_b64 v[46:47], 4, v[20:21]
	v_add_co_u32 v48, vcc_lo, s10, v42
	v_add_co_ci_u32_e32 v49, vcc_lo, s11, v43, vcc_lo
	v_mov_b32_e32 v20, v21
	v_add_co_u32 v50, vcc_lo, s8, v46
	v_add_co_ci_u32_e32 v51, vcc_lo, s9, v47, vcc_lo
	global_load_b128 v[42:45], v[44:45], off
	global_load_b128 v[46:49], v[48:49], off
	global_load_b128 v[50:53], v[50:51], off
	v_lshlrev_b64 v[54:55], 4, v[19:20]
	v_add_nc_u32_e32 v20, -9, v19
	v_add_nc_u32_e32 v19, 0x240, v19
	s_delay_alu instid0(VALU_DEP_3) | instskip(NEXT) | instid1(VALU_DEP_4)
	v_add_co_u32 v54, vcc_lo, s8, v54
	v_add_co_ci_u32_e32 v55, vcc_lo, s9, v55, vcc_lo
	s_waitcnt vmcnt(13)
	v_fma_f64 v[58:59], v[62:63], v[66:67], v[86:87]
	v_fma_f64 v[86:87], v[64:65], v[66:67], v[88:89]
	s_waitcnt vmcnt(12)
	v_fma_f64 v[60:61], v[70:71], v[66:67], v[60:61]
	v_fma_f64 v[66:67], v[72:73], v[66:67], v[56:57]
	v_lshlrev_b64 v[88:89], 4, v[20:21]
	v_add_nc_u32_e32 v20, 8, v22
	global_load_b128 v[54:57], v[54:55], off
	v_lshlrev_b64 v[22:23], 4, v[20:21]
	v_fma_f64 v[90:91], -v[64:65], v[68:69], v[58:59]
	v_fma_f64 v[86:87], v[62:63], v[68:69], v[86:87]
	v_fma_f64 v[72:73], -v[72:73], v[68:69], v[60:61]
	v_fma_f64 v[66:67], v[70:71], v[68:69], v[66:67]
	v_add_co_u32 v58, vcc_lo, s8, v88
	v_add_co_ci_u32_e32 v59, vcc_lo, s9, v89, vcc_lo
	v_add_co_u32 v22, vcc_lo, s10, v22
	v_add_co_ci_u32_e32 v23, vcc_lo, s11, v23, vcc_lo
	global_load_b128 v[58:61], v[58:59], off
	global_load_b128 v[62:65], v[22:23], off
	v_cmp_ge_i32_e32 vcc_lo, v9, v24
	s_or_b32 s0, vcc_lo, s0
	s_waitcnt vmcnt(13)
	v_fma_f64 v[22:23], v[74:75], v[78:79], v[90:91]
	v_fma_f64 v[68:69], v[76:77], v[78:79], v[86:87]
	s_waitcnt vmcnt(12)
	v_fma_f64 v[70:71], v[82:83], v[78:79], v[72:73]
	v_fma_f64 v[66:67], v[84:85], v[78:79], v[66:67]
	s_delay_alu instid0(VALU_DEP_4) | instskip(NEXT) | instid1(VALU_DEP_4)
	v_fma_f64 v[22:23], -v[76:77], v[80:81], v[22:23]
	v_fma_f64 v[68:69], v[74:75], v[80:81], v[68:69]
	s_delay_alu instid0(VALU_DEP_4) | instskip(NEXT) | instid1(VALU_DEP_4)
	v_fma_f64 v[70:71], -v[84:85], v[80:81], v[70:71]
	v_fma_f64 v[66:67], v[82:83], v[80:81], v[66:67]
	s_waitcnt vmcnt(10)
	s_delay_alu instid0(VALU_DEP_4) | instskip(NEXT) | instid1(VALU_DEP_4)
	v_fma_f64 v[22:23], v[10:11], v[14:15], v[22:23]
	v_fma_f64 v[68:69], v[12:13], v[14:15], v[68:69]
	s_waitcnt vmcnt(9)
	s_delay_alu instid0(VALU_DEP_4) | instskip(NEXT) | instid1(VALU_DEP_4)
	v_fma_f64 v[70:71], v[30:31], v[14:15], v[70:71]
	v_fma_f64 v[14:15], v[32:33], v[14:15], v[66:67]
	s_delay_alu instid0(VALU_DEP_4) | instskip(NEXT) | instid1(VALU_DEP_4)
	v_fma_f64 v[12:13], -v[12:13], v[16:17], v[22:23]
	v_fma_f64 v[10:11], v[10:11], v[16:17], v[68:69]
	s_delay_alu instid0(VALU_DEP_4) | instskip(NEXT) | instid1(VALU_DEP_4)
	v_fma_f64 v[22:23], -v[32:33], v[16:17], v[70:71]
	v_fma_f64 v[14:15], v[30:31], v[16:17], v[14:15]
	s_waitcnt vmcnt(7)
	s_delay_alu instid0(VALU_DEP_4) | instskip(NEXT) | instid1(VALU_DEP_4)
	v_fma_f64 v[12:13], v[26:27], v[34:35], v[12:13]
	v_fma_f64 v[10:11], v[28:29], v[34:35], v[10:11]
	s_waitcnt vmcnt(6)
	s_delay_alu instid0(VALU_DEP_4) | instskip(NEXT) | instid1(VALU_DEP_4)
	;; [unrolled: 14-line block ×3, first 2 shown]
	v_fma_f64 v[16:17], v[50:51], v[46:47], v[16:17]
	v_fma_f64 v[14:15], v[52:53], v[46:47], v[14:15]
	s_delay_alu instid0(VALU_DEP_4) | instskip(NEXT) | instid1(VALU_DEP_4)
	v_fma_f64 v[12:13], -v[44:45], v[48:49], v[12:13]
	v_fma_f64 v[10:11], v[42:43], v[48:49], v[10:11]
	s_delay_alu instid0(VALU_DEP_4) | instskip(NEXT) | instid1(VALU_DEP_4)
	v_fma_f64 v[16:17], -v[52:53], v[48:49], v[16:17]
	v_fma_f64 v[14:15], v[50:51], v[48:49], v[14:15]
	s_waitcnt vmcnt(0)
	s_delay_alu instid0(VALU_DEP_4) | instskip(NEXT) | instid1(VALU_DEP_4)
	v_fma_f64 v[12:13], v[58:59], v[62:63], v[12:13]
	v_fma_f64 v[10:11], v[60:61], v[62:63], v[10:11]
	s_delay_alu instid0(VALU_DEP_4) | instskip(NEXT) | instid1(VALU_DEP_4)
	v_fma_f64 v[16:17], v[54:55], v[62:63], v[16:17]
	v_fma_f64 v[22:23], v[56:57], v[62:63], v[14:15]
	s_delay_alu instid0(VALU_DEP_4) | instskip(NEXT) | instid1(VALU_DEP_4)
	v_fma_f64 v[13:14], -v[60:61], v[64:65], v[12:13]
	v_fma_f64 v[11:12], v[58:59], v[64:65], v[10:11]
	s_delay_alu instid0(VALU_DEP_4) | instskip(NEXT) | instid1(VALU_DEP_4)
	v_fma_f64 v[15:16], -v[56:57], v[64:65], v[16:17]
	v_fma_f64 v[17:18], v[54:55], v[64:65], v[22:23]
	s_and_not1_b32 exec_lo, exec_lo, s0
	s_cbranch_execnz .LBB266_17
; %bb.18:
	s_or_b32 exec_lo, exec_lo, s0
.LBB266_19:
	s_delay_alu instid0(SALU_CYCLE_1)
	s_or_b32 exec_lo, exec_lo, s1
.LBB266_20:
	v_mbcnt_lo_u32_b32 v26, -1, 0
	s_delay_alu instid0(VALU_DEP_1) | instskip(NEXT) | instid1(VALU_DEP_1)
	v_xor_b32_e32 v9, 16, v26
	v_cmp_gt_i32_e32 vcc_lo, 32, v9
	v_cndmask_b32_e32 v9, v26, v9, vcc_lo
	s_delay_alu instid0(VALU_DEP_1)
	v_lshlrev_b32_e32 v24, 2, v9
	ds_bpermute_b32 v9, v24, v13
	ds_bpermute_b32 v10, v24, v14
	;; [unrolled: 1-line block ×8, first 2 shown]
	s_waitcnt lgkmcnt(6)
	v_add_f64 v[9:10], v[13:14], v[9:10]
	s_waitcnt lgkmcnt(4)
	v_add_f64 v[11:12], v[11:12], v[19:20]
	;; [unrolled: 2-line block ×4, first 2 shown]
	v_xor_b32_e32 v17, 8, v26
	s_delay_alu instid0(VALU_DEP_1) | instskip(SKIP_1) | instid1(VALU_DEP_1)
	v_cmp_gt_i32_e32 vcc_lo, 32, v17
	v_cndmask_b32_e32 v17, v26, v17, vcc_lo
	v_lshlrev_b32_e32 v24, 2, v17
	ds_bpermute_b32 v17, v24, v9
	ds_bpermute_b32 v18, v24, v10
	;; [unrolled: 1-line block ×8, first 2 shown]
	s_waitcnt lgkmcnt(6)
	v_add_f64 v[9:10], v[9:10], v[17:18]
	v_xor_b32_e32 v17, 4, v26
	s_waitcnt lgkmcnt(4)
	v_add_f64 v[11:12], v[11:12], v[19:20]
	s_waitcnt lgkmcnt(2)
	v_add_f64 v[13:14], v[13:14], v[21:22]
	;; [unrolled: 2-line block ×3, first 2 shown]
	v_cmp_gt_i32_e32 vcc_lo, 32, v17
	v_cndmask_b32_e32 v17, v26, v17, vcc_lo
	s_delay_alu instid0(VALU_DEP_1)
	v_lshlrev_b32_e32 v24, 2, v17
	ds_bpermute_b32 v17, v24, v9
	ds_bpermute_b32 v18, v24, v10
	;; [unrolled: 1-line block ×8, first 2 shown]
	s_waitcnt lgkmcnt(6)
	v_add_f64 v[9:10], v[9:10], v[17:18]
	s_waitcnt lgkmcnt(4)
	v_add_f64 v[11:12], v[11:12], v[19:20]
	;; [unrolled: 2-line block ×4, first 2 shown]
	v_xor_b32_e32 v15, 2, v26
	s_delay_alu instid0(VALU_DEP_1) | instskip(SKIP_1) | instid1(VALU_DEP_1)
	v_cmp_gt_i32_e32 vcc_lo, 32, v15
	v_cndmask_b32_e32 v15, v26, v15, vcc_lo
	v_lshlrev_b32_e32 v24, 2, v15
	ds_bpermute_b32 v15, v24, v9
	ds_bpermute_b32 v16, v24, v10
	;; [unrolled: 1-line block ×8, first 2 shown]
	s_waitcnt lgkmcnt(6)
	v_add_f64 v[9:10], v[9:10], v[15:16]
	s_waitcnt lgkmcnt(4)
	v_add_f64 v[15:16], v[11:12], v[19:20]
	;; [unrolled: 2-line block ×4, first 2 shown]
	v_xor_b32_e32 v17, 1, v26
	s_delay_alu instid0(VALU_DEP_1) | instskip(SKIP_2) | instid1(VALU_DEP_2)
	v_cmp_gt_i32_e32 vcc_lo, 32, v17
	v_cndmask_b32_e32 v17, v26, v17, vcc_lo
	v_cmp_eq_u32_e32 vcc_lo, 31, v25
	v_lshlrev_b32_e32 v20, 2, v17
	ds_bpermute_b32 v23, v20, v9
	ds_bpermute_b32 v24, v20, v10
	ds_bpermute_b32 v21, v20, v15
	ds_bpermute_b32 v22, v20, v16
	ds_bpermute_b32 v17, v20, v11
	ds_bpermute_b32 v18, v20, v12
	ds_bpermute_b32 v19, v20, v13
	ds_bpermute_b32 v20, v20, v14
	s_and_b32 exec_lo, exec_lo, vcc_lo
	s_cbranch_execz .LBB266_25
; %bb.21:
	v_cmp_eq_f64_e32 vcc_lo, 0, v[4:5]
	v_cmp_eq_f64_e64 s0, 0, v[6:7]
	s_waitcnt lgkmcnt(6)
	v_add_f64 v[9:10], v[9:10], v[23:24]
	s_waitcnt lgkmcnt(4)
	v_add_f64 v[15:16], v[15:16], v[21:22]
	;; [unrolled: 2-line block ×4, first 2 shown]
	s_load_b64 s[2:3], s[2:3], 0x48
	s_and_b32 s0, vcc_lo, s0
	s_delay_alu instid0(SALU_CYCLE_1) | instskip(NEXT) | instid1(SALU_CYCLE_1)
	s_and_saveexec_b32 s1, s0
	s_xor_b32 s0, exec_lo, s1
	s_cbranch_execz .LBB266_23
; %bb.22:
	s_delay_alu instid0(VALU_DEP_3) | instskip(SKIP_1) | instid1(VALU_DEP_3)
	v_mul_f64 v[4:5], v[15:16], -v[2:3]
	v_mul_f64 v[6:7], v[0:1], v[15:16]
	v_mul_f64 v[15:16], v[13:14], -v[2:3]
	v_mul_f64 v[13:14], v[0:1], v[13:14]
	v_lshlrev_b32_e32 v8, 1, v8
	v_fma_f64 v[4:5], v[0:1], v[9:10], v[4:5]
	v_fma_f64 v[6:7], v[2:3], v[9:10], v[6:7]
	;; [unrolled: 1-line block ×4, first 2 shown]
	v_ashrrev_i32_e32 v9, 31, v8
                                        ; implicit-def: $vgpr15_vgpr16
                                        ; implicit-def: $vgpr11_vgpr12
                                        ; implicit-def: $vgpr13_vgpr14
	s_delay_alu instid0(VALU_DEP_1) | instskip(SKIP_1) | instid1(VALU_DEP_1)
	v_lshlrev_b64 v[8:9], 4, v[8:9]
	s_waitcnt lgkmcnt(0)
	v_add_co_u32 v8, vcc_lo, s2, v8
	s_delay_alu instid0(VALU_DEP_2)
	v_add_co_ci_u32_e32 v9, vcc_lo, s3, v9, vcc_lo
	s_clause 0x1
	global_store_b128 v[8:9], v[4:7], off
	global_store_b128 v[8:9], v[0:3], off offset:16
                                        ; implicit-def: $vgpr0_vgpr1
                                        ; implicit-def: $vgpr2_vgpr3
                                        ; implicit-def: $vgpr4_vgpr5
                                        ; implicit-def: $vgpr6_vgpr7
                                        ; implicit-def: $vgpr8
                                        ; implicit-def: $vgpr9_vgpr10
.LBB266_23:
	s_and_not1_saveexec_b32 s0, s0
	s_cbranch_execz .LBB266_25
; %bb.24:
	v_lshlrev_b32_e32 v17, 1, v8
	s_delay_alu instid0(VALU_DEP_4) | instskip(SKIP_1) | instid1(VALU_DEP_4)
	v_mul_f64 v[27:28], v[15:16], -v[2:3]
	v_mul_f64 v[15:16], v[0:1], v[15:16]
	v_mul_f64 v[29:30], v[13:14], -v[2:3]
	v_mul_f64 v[13:14], v[0:1], v[13:14]
	v_ashrrev_i32_e32 v18, 31, v17
	s_delay_alu instid0(VALU_DEP_1) | instskip(SKIP_1) | instid1(VALU_DEP_1)
	v_lshlrev_b64 v[17:18], 4, v[17:18]
	s_waitcnt lgkmcnt(0)
	v_add_co_u32 v25, vcc_lo, s2, v17
	s_delay_alu instid0(VALU_DEP_2)
	v_add_co_ci_u32_e32 v26, vcc_lo, s3, v18, vcc_lo
	s_clause 0x1
	global_load_b128 v[17:20], v[25:26], off
	global_load_b128 v[21:24], v[25:26], off offset:16
	v_fma_f64 v[27:28], v[0:1], v[9:10], v[27:28]
	v_fma_f64 v[8:9], v[2:3], v[9:10], v[15:16]
	;; [unrolled: 1-line block ×4, first 2 shown]
	s_waitcnt vmcnt(1)
	s_delay_alu instid0(VALU_DEP_4) | instskip(NEXT) | instid1(VALU_DEP_4)
	v_fma_f64 v[10:11], v[4:5], v[17:18], v[27:28]
	v_fma_f64 v[8:9], v[6:7], v[17:18], v[8:9]
	s_waitcnt vmcnt(0)
	s_delay_alu instid0(VALU_DEP_4) | instskip(NEXT) | instid1(VALU_DEP_4)
	v_fma_f64 v[12:13], v[4:5], v[21:22], v[0:1]
	v_fma_f64 v[14:15], v[6:7], v[21:22], v[2:3]
	s_delay_alu instid0(VALU_DEP_4) | instskip(NEXT) | instid1(VALU_DEP_4)
	v_fma_f64 v[0:1], -v[6:7], v[19:20], v[10:11]
	v_fma_f64 v[2:3], v[4:5], v[19:20], v[8:9]
	s_delay_alu instid0(VALU_DEP_4) | instskip(NEXT) | instid1(VALU_DEP_4)
	v_fma_f64 v[6:7], -v[6:7], v[23:24], v[12:13]
	v_fma_f64 v[8:9], v[4:5], v[23:24], v[14:15]
	s_clause 0x1
	global_store_b128 v[25:26], v[0:3], off
	global_store_b128 v[25:26], v[6:9], off offset:16
.LBB266_25:
	s_nop 0
	s_sendmsg sendmsg(MSG_DEALLOC_VGPRS)
	s_endpgm
	.section	.rodata,"a",@progbits
	.p2align	6, 0x0
	.amdhsa_kernel _ZN9rocsparseL19gebsrmvn_2xn_kernelILj128ELj9ELj32E21rocsparse_complex_numIdEEEvi20rocsparse_direction_NS_24const_host_device_scalarIT2_EEPKiS8_PKS5_SA_S6_PS5_21rocsparse_index_base_b
		.amdhsa_group_segment_fixed_size 2048
		.amdhsa_private_segment_fixed_size 0
		.amdhsa_kernarg_size 88
		.amdhsa_user_sgpr_count 15
		.amdhsa_user_sgpr_dispatch_ptr 1
		.amdhsa_user_sgpr_queue_ptr 0
		.amdhsa_user_sgpr_kernarg_segment_ptr 1
		.amdhsa_user_sgpr_dispatch_id 0
		.amdhsa_user_sgpr_private_segment_size 0
		.amdhsa_wavefront_size32 1
		.amdhsa_uses_dynamic_stack 0
		.amdhsa_enable_private_segment 0
		.amdhsa_system_sgpr_workgroup_id_x 1
		.amdhsa_system_sgpr_workgroup_id_y 0
		.amdhsa_system_sgpr_workgroup_id_z 0
		.amdhsa_system_sgpr_workgroup_info 0
		.amdhsa_system_vgpr_workitem_id 2
		.amdhsa_next_free_vgpr 92
		.amdhsa_next_free_sgpr 18
		.amdhsa_reserve_vcc 1
		.amdhsa_float_round_mode_32 0
		.amdhsa_float_round_mode_16_64 0
		.amdhsa_float_denorm_mode_32 3
		.amdhsa_float_denorm_mode_16_64 3
		.amdhsa_dx10_clamp 1
		.amdhsa_ieee_mode 1
		.amdhsa_fp16_overflow 0
		.amdhsa_workgroup_processor_mode 1
		.amdhsa_memory_ordered 1
		.amdhsa_forward_progress 0
		.amdhsa_shared_vgpr_count 0
		.amdhsa_exception_fp_ieee_invalid_op 0
		.amdhsa_exception_fp_denorm_src 0
		.amdhsa_exception_fp_ieee_div_zero 0
		.amdhsa_exception_fp_ieee_overflow 0
		.amdhsa_exception_fp_ieee_underflow 0
		.amdhsa_exception_fp_ieee_inexact 0
		.amdhsa_exception_int_div_zero 0
	.end_amdhsa_kernel
	.section	.text._ZN9rocsparseL19gebsrmvn_2xn_kernelILj128ELj9ELj32E21rocsparse_complex_numIdEEEvi20rocsparse_direction_NS_24const_host_device_scalarIT2_EEPKiS8_PKS5_SA_S6_PS5_21rocsparse_index_base_b,"axG",@progbits,_ZN9rocsparseL19gebsrmvn_2xn_kernelILj128ELj9ELj32E21rocsparse_complex_numIdEEEvi20rocsparse_direction_NS_24const_host_device_scalarIT2_EEPKiS8_PKS5_SA_S6_PS5_21rocsparse_index_base_b,comdat
.Lfunc_end266:
	.size	_ZN9rocsparseL19gebsrmvn_2xn_kernelILj128ELj9ELj32E21rocsparse_complex_numIdEEEvi20rocsparse_direction_NS_24const_host_device_scalarIT2_EEPKiS8_PKS5_SA_S6_PS5_21rocsparse_index_base_b, .Lfunc_end266-_ZN9rocsparseL19gebsrmvn_2xn_kernelILj128ELj9ELj32E21rocsparse_complex_numIdEEEvi20rocsparse_direction_NS_24const_host_device_scalarIT2_EEPKiS8_PKS5_SA_S6_PS5_21rocsparse_index_base_b
                                        ; -- End function
	.section	.AMDGPU.csdata,"",@progbits
; Kernel info:
; codeLenInByte = 5024
; NumSgprs: 20
; NumVgprs: 92
; ScratchSize: 0
; MemoryBound: 0
; FloatMode: 240
; IeeeMode: 1
; LDSByteSize: 2048 bytes/workgroup (compile time only)
; SGPRBlocks: 2
; VGPRBlocks: 11
; NumSGPRsForWavesPerEU: 20
; NumVGPRsForWavesPerEU: 92
; Occupancy: 16
; WaveLimiterHint : 1
; COMPUTE_PGM_RSRC2:SCRATCH_EN: 0
; COMPUTE_PGM_RSRC2:USER_SGPR: 15
; COMPUTE_PGM_RSRC2:TRAP_HANDLER: 0
; COMPUTE_PGM_RSRC2:TGID_X_EN: 1
; COMPUTE_PGM_RSRC2:TGID_Y_EN: 0
; COMPUTE_PGM_RSRC2:TGID_Z_EN: 0
; COMPUTE_PGM_RSRC2:TIDIG_COMP_CNT: 2
	.section	.text._ZN9rocsparseL19gebsrmvn_2xn_kernelILj128ELj9ELj64E21rocsparse_complex_numIdEEEvi20rocsparse_direction_NS_24const_host_device_scalarIT2_EEPKiS8_PKS5_SA_S6_PS5_21rocsparse_index_base_b,"axG",@progbits,_ZN9rocsparseL19gebsrmvn_2xn_kernelILj128ELj9ELj64E21rocsparse_complex_numIdEEEvi20rocsparse_direction_NS_24const_host_device_scalarIT2_EEPKiS8_PKS5_SA_S6_PS5_21rocsparse_index_base_b,comdat
	.globl	_ZN9rocsparseL19gebsrmvn_2xn_kernelILj128ELj9ELj64E21rocsparse_complex_numIdEEEvi20rocsparse_direction_NS_24const_host_device_scalarIT2_EEPKiS8_PKS5_SA_S6_PS5_21rocsparse_index_base_b ; -- Begin function _ZN9rocsparseL19gebsrmvn_2xn_kernelILj128ELj9ELj64E21rocsparse_complex_numIdEEEvi20rocsparse_direction_NS_24const_host_device_scalarIT2_EEPKiS8_PKS5_SA_S6_PS5_21rocsparse_index_base_b
	.p2align	8
	.type	_ZN9rocsparseL19gebsrmvn_2xn_kernelILj128ELj9ELj64E21rocsparse_complex_numIdEEEvi20rocsparse_direction_NS_24const_host_device_scalarIT2_EEPKiS8_PKS5_SA_S6_PS5_21rocsparse_index_base_b,@function
_ZN9rocsparseL19gebsrmvn_2xn_kernelILj128ELj9ELj64E21rocsparse_complex_numIdEEEvi20rocsparse_direction_NS_24const_host_device_scalarIT2_EEPKiS8_PKS5_SA_S6_PS5_21rocsparse_index_base_b: ; @_ZN9rocsparseL19gebsrmvn_2xn_kernelILj128ELj9ELj64E21rocsparse_complex_numIdEEEvi20rocsparse_direction_NS_24const_host_device_scalarIT2_EEPKiS8_PKS5_SA_S6_PS5_21rocsparse_index_base_b
; %bb.0:
	s_load_b64 s[12:13], s[2:3], 0x50
	s_load_b64 s[16:17], s[0:1], 0x4
	s_load_b128 s[8:11], s[2:3], 0x8
	v_bfe_u32 v1, v0, 10, 10
	s_mov_b64 s[0:1], src_shared_base
	s_load_b128 s[4:7], s[2:3], 0x38
	v_and_b32_e32 v10, 0x3ff, v0
	v_bfe_u32 v0, v0, 20, 10
	s_waitcnt lgkmcnt(0)
	s_bitcmp1_b32 s13, 0
	v_mul_u32_u24_e32 v1, s17, v1
	s_cselect_b32 s0, -1, 0
	s_delay_alu instid0(SALU_CYCLE_1)
	s_and_b32 vcc_lo, s0, exec_lo
	s_cselect_b32 s13, s1, s9
	s_lshr_b32 s14, s16, 16
	v_dual_mov_b32 v2, s4 :: v_dual_mov_b32 v3, s5
	s_mul_i32 s14, s14, s17
	v_mov_b32_e32 v6, s13
	v_mad_u32_u24 v1, s14, v10, v1
	s_delay_alu instid0(VALU_DEP_1) | instskip(SKIP_1) | instid1(VALU_DEP_2)
	v_add_lshl_u32 v4, v1, v0, 3
	v_dual_mov_b32 v0, s8 :: v_dual_mov_b32 v1, s9
	v_add_nc_u32_e32 v5, 0x400, v4
	ds_store_2addr_stride64_b64 v4, v[2:3], v[0:1] offset1:2
	v_dual_mov_b32 v2, s10 :: v_dual_mov_b32 v3, s11
	v_cndmask_b32_e64 v5, s8, v5, s0
	s_xor_b32 s10, s0, -1
	flat_load_b64 v[0:1], v[5:6]
	s_cbranch_vccnz .LBB267_2
; %bb.1:
	v_dual_mov_b32 v2, s8 :: v_dual_mov_b32 v3, s9
	flat_load_b64 v[2:3], v[2:3] offset:8
.LBB267_2:
	s_and_b32 s8, s0, exec_lo
	s_cselect_b32 s1, s1, s5
	v_cndmask_b32_e64 v4, s4, v4, s0
	v_dual_mov_b32 v5, s1 :: v_dual_mov_b32 v6, s6
	v_mov_b32_e32 v7, s7
	s_and_not1_b32 vcc_lo, exec_lo, s10
	flat_load_b64 v[4:5], v[4:5]
	s_cbranch_vccnz .LBB267_4
; %bb.3:
	v_dual_mov_b32 v7, s5 :: v_dual_mov_b32 v6, s4
	flat_load_b64 v[6:7], v[6:7] offset:8
.LBB267_4:
	s_waitcnt vmcnt(1) lgkmcnt(1)
	v_cmp_eq_f64_e32 vcc_lo, 0, v[0:1]
	v_cmp_eq_f64_e64 s0, 0, v[2:3]
	s_delay_alu instid0(VALU_DEP_1)
	s_and_b32 s4, vcc_lo, s0
	s_mov_b32 s0, -1
	s_and_saveexec_b32 s1, s4
	s_cbranch_execz .LBB267_6
; %bb.5:
	s_waitcnt vmcnt(0) lgkmcnt(0)
	v_cmp_neq_f64_e32 vcc_lo, 1.0, v[4:5]
	v_cmp_neq_f64_e64 s0, 0, v[6:7]
	s_delay_alu instid0(VALU_DEP_1) | instskip(NEXT) | instid1(SALU_CYCLE_1)
	s_or_b32 s0, vcc_lo, s0
	s_or_not1_b32 s0, s0, exec_lo
.LBB267_6:
	s_or_b32 exec_lo, exec_lo, s1
	s_and_saveexec_b32 s1, s0
	s_cbranch_execz .LBB267_25
; %bb.7:
	s_load_b64 s[0:1], s[2:3], 0x0
	v_lshrrev_b32_e32 v8, 6, v10
	s_delay_alu instid0(VALU_DEP_1) | instskip(SKIP_1) | instid1(VALU_DEP_1)
	v_lshl_or_b32 v8, s15, 1, v8
	s_waitcnt lgkmcnt(0)
	v_cmp_gt_i32_e32 vcc_lo, s0, v8
	s_and_b32 exec_lo, exec_lo, vcc_lo
	s_cbranch_execz .LBB267_25
; %bb.8:
	s_load_b256 s[4:11], s[2:3], 0x18
	v_ashrrev_i32_e32 v9, 31, v8
	v_and_b32_e32 v25, 63, v10
	s_cmp_lg_u32 s1, 0
	s_delay_alu instid0(VALU_DEP_2) | instskip(SKIP_1) | instid1(VALU_DEP_1)
	v_lshlrev_b64 v[11:12], 2, v[8:9]
	s_waitcnt lgkmcnt(0)
	v_add_co_u32 v11, vcc_lo, s4, v11
	s_delay_alu instid0(VALU_DEP_2) | instskip(SKIP_4) | instid1(VALU_DEP_2)
	v_add_co_ci_u32_e32 v12, vcc_lo, s5, v12, vcc_lo
	global_load_b64 v[11:12], v[11:12], off
	s_waitcnt vmcnt(0)
	v_subrev_nc_u32_e32 v9, s12, v11
	v_subrev_nc_u32_e32 v24, s12, v12
	v_add_nc_u32_e32 v9, v9, v25
	s_delay_alu instid0(VALU_DEP_1)
	v_cmp_lt_i32_e64 s0, v9, v24
	s_cbranch_scc0 .LBB267_14
; %bb.9:
	v_mov_b32_e32 v11, 0
	v_mov_b32_e32 v12, 0
	s_delay_alu instid0(VALU_DEP_1)
	v_dual_mov_b32 v14, v12 :: v_dual_mov_b32 v13, v11
	v_dual_mov_b32 v16, v12 :: v_dual_mov_b32 v15, v11
	;; [unrolled: 1-line block ×3, first 2 shown]
	s_and_saveexec_b32 s1, s0
	s_cbranch_execz .LBB267_13
; %bb.10:
	v_dual_mov_b32 v11, 0 :: v_dual_mov_b32 v22, v9
	v_dual_mov_b32 v12, 0 :: v_dual_mov_b32 v21, 0
	v_mad_u64_u32 v[19:20], null, v9, 18, 16
	s_mov_b32 s4, 0
	s_delay_alu instid0(VALU_DEP_2)
	v_dual_mov_b32 v14, v12 :: v_dual_mov_b32 v13, v11
	v_dual_mov_b32 v16, v12 :: v_dual_mov_b32 v15, v11
	;; [unrolled: 1-line block ×3, first 2 shown]
.LBB267_11:                             ; =>This Inner Loop Header: Depth=1
	v_ashrrev_i32_e32 v23, 31, v22
	v_dual_mov_b32 v87, v21 :: v_dual_add_nc_u32 v20, -16, v19
	s_delay_alu instid0(VALU_DEP_2) | instskip(SKIP_1) | instid1(VALU_DEP_2)
	v_lshlrev_b64 v[26:27], 2, v[22:23]
	v_add_nc_u32_e32 v22, 64, v22
	v_add_co_u32 v26, vcc_lo, s6, v26
	s_delay_alu instid0(VALU_DEP_3) | instskip(SKIP_3) | instid1(VALU_DEP_1)
	v_add_co_ci_u32_e32 v27, vcc_lo, s7, v27, vcc_lo
	global_load_b32 v10, v[26:27], off
	v_lshlrev_b64 v[26:27], 4, v[20:21]
	v_add_nc_u32_e32 v20, -14, v19
	v_lshlrev_b64 v[38:39], 4, v[20:21]
	s_delay_alu instid0(VALU_DEP_3) | instskip(NEXT) | instid1(VALU_DEP_4)
	v_add_co_u32 v30, vcc_lo, s8, v26
	v_add_co_ci_u32_e32 v31, vcc_lo, s9, v27, vcc_lo
	global_load_b128 v[26:29], v[30:31], off offset:16
	s_waitcnt vmcnt(1)
	v_subrev_nc_u32_e32 v10, s12, v10
	s_delay_alu instid0(VALU_DEP_1) | instskip(NEXT) | instid1(VALU_DEP_1)
	v_lshl_add_u32 v86, v10, 3, v10
	v_lshlrev_b64 v[32:33], 4, v[86:87]
	v_add_nc_u32_e32 v20, 1, v86
	s_delay_alu instid0(VALU_DEP_1) | instskip(NEXT) | instid1(VALU_DEP_3)
	v_lshlrev_b64 v[44:45], 4, v[20:21]
	v_add_co_u32 v34, vcc_lo, s10, v32
	s_delay_alu instid0(VALU_DEP_4)
	v_add_co_ci_u32_e32 v35, vcc_lo, s11, v33, vcc_lo
	v_add_co_u32 v42, vcc_lo, s8, v38
	global_load_b128 v[30:33], v[30:31], off
	global_load_b128 v[34:37], v[34:35], off
	v_add_co_ci_u32_e32 v43, vcc_lo, s9, v39, vcc_lo
	v_add_co_u32 v46, vcc_lo, s10, v44
	v_add_co_ci_u32_e32 v47, vcc_lo, s11, v45, vcc_lo
	s_clause 0x1
	global_load_b128 v[38:41], v[42:43], off offset:16
	global_load_b128 v[42:45], v[42:43], off
	global_load_b128 v[46:49], v[46:47], off
	v_add_nc_u32_e32 v20, -12, v19
	s_delay_alu instid0(VALU_DEP_1) | instskip(SKIP_1) | instid1(VALU_DEP_1)
	v_lshlrev_b64 v[50:51], 4, v[20:21]
	v_add_nc_u32_e32 v20, 2, v86
	v_lshlrev_b64 v[52:53], 4, v[20:21]
	s_delay_alu instid0(VALU_DEP_3) | instskip(NEXT) | instid1(VALU_DEP_4)
	v_add_co_u32 v54, vcc_lo, s8, v50
	v_add_co_ci_u32_e32 v55, vcc_lo, s9, v51, vcc_lo
	v_add_nc_u32_e32 v20, -10, v19
	s_delay_alu instid0(VALU_DEP_4)
	v_add_co_u32 v58, vcc_lo, s10, v52
	v_add_co_ci_u32_e32 v59, vcc_lo, s11, v53, vcc_lo
	s_clause 0x1
	global_load_b128 v[50:53], v[54:55], off offset:16
	global_load_b128 v[54:57], v[54:55], off
	global_load_b128 v[58:61], v[58:59], off
	v_lshlrev_b64 v[62:63], 4, v[20:21]
	v_add_nc_u32_e32 v20, 3, v86
	s_delay_alu instid0(VALU_DEP_1) | instskip(NEXT) | instid1(VALU_DEP_3)
	v_lshlrev_b64 v[64:65], 4, v[20:21]
	v_add_co_u32 v66, vcc_lo, s8, v62
	s_delay_alu instid0(VALU_DEP_4) | instskip(SKIP_1) | instid1(VALU_DEP_4)
	v_add_co_ci_u32_e32 v67, vcc_lo, s9, v63, vcc_lo
	v_add_nc_u32_e32 v20, -8, v19
	v_add_co_u32 v70, vcc_lo, s10, v64
	v_add_co_ci_u32_e32 v71, vcc_lo, s11, v65, vcc_lo
	s_clause 0x1
	global_load_b128 v[62:65], v[66:67], off offset:16
	global_load_b128 v[66:69], v[66:67], off
	global_load_b128 v[70:73], v[70:71], off
	v_lshlrev_b64 v[74:75], 4, v[20:21]
	v_add_nc_u32_e32 v20, 4, v86
	s_delay_alu instid0(VALU_DEP_1) | instskip(NEXT) | instid1(VALU_DEP_3)
	v_lshlrev_b64 v[76:77], 4, v[20:21]
	v_add_co_u32 v78, vcc_lo, s8, v74
	s_delay_alu instid0(VALU_DEP_4) | instskip(SKIP_1) | instid1(VALU_DEP_4)
	v_add_co_ci_u32_e32 v79, vcc_lo, s9, v75, vcc_lo
	v_add_nc_u32_e32 v20, -6, v19
	v_add_co_u32 v82, vcc_lo, s10, v76
	v_add_co_ci_u32_e32 v83, vcc_lo, s11, v77, vcc_lo
	s_clause 0x1
	global_load_b128 v[74:77], v[78:79], off offset:16
	global_load_b128 v[78:81], v[78:79], off
	global_load_b128 v[82:85], v[82:83], off
	s_waitcnt vmcnt(12)
	v_fma_f64 v[13:14], v[30:31], v[34:35], v[13:14]
	v_fma_f64 v[10:11], v[32:33], v[34:35], v[11:12]
	;; [unrolled: 1-line block ×4, first 2 shown]
	v_lshlrev_b64 v[34:35], 4, v[20:21]
	v_add_nc_u32_e32 v20, 5, v86
	v_fma_f64 v[32:33], -v[32:33], v[36:37], v[13:14]
	v_fma_f64 v[30:31], v[30:31], v[36:37], v[10:11]
	v_fma_f64 v[87:88], -v[28:29], v[36:37], v[15:16]
	v_fma_f64 v[36:37], v[26:27], v[36:37], v[17:18]
	v_lshlrev_b64 v[10:11], 4, v[20:21]
	v_add_co_u32 v14, vcc_lo, s8, v34
	v_add_co_ci_u32_e32 v15, vcc_lo, s9, v35, vcc_lo
	v_add_nc_u32_e32 v20, -4, v19
	s_delay_alu instid0(VALU_DEP_4)
	v_add_co_u32 v26, vcc_lo, s10, v10
	v_add_co_ci_u32_e32 v27, vcc_lo, s11, v11, vcc_lo
	s_clause 0x1
	global_load_b128 v[10:13], v[14:15], off offset:16
	global_load_b128 v[14:17], v[14:15], off
	global_load_b128 v[26:29], v[26:27], off
	s_waitcnt vmcnt(12)
	v_fma_f64 v[32:33], v[42:43], v[46:47], v[32:33]
	v_fma_f64 v[30:31], v[44:45], v[46:47], v[30:31]
	;; [unrolled: 1-line block ×4, first 2 shown]
	v_lshlrev_b64 v[46:47], 4, v[20:21]
	v_add_nc_u32_e32 v20, 6, v86
	v_fma_f64 v[44:45], -v[44:45], v[48:49], v[32:33]
	v_fma_f64 v[42:43], v[42:43], v[48:49], v[30:31]
	v_fma_f64 v[87:88], -v[40:41], v[48:49], v[34:35]
	v_fma_f64 v[48:49], v[38:39], v[48:49], v[36:37]
	v_lshlrev_b64 v[30:31], 4, v[20:21]
	v_add_co_u32 v34, vcc_lo, s8, v46
	v_add_co_ci_u32_e32 v35, vcc_lo, s9, v47, vcc_lo
	v_add_nc_u32_e32 v20, -2, v19
	s_delay_alu instid0(VALU_DEP_4)
	v_add_co_u32 v38, vcc_lo, s10, v30
	v_add_co_ci_u32_e32 v39, vcc_lo, s11, v31, vcc_lo
	s_clause 0x1
	global_load_b128 v[30:33], v[34:35], off offset:16
	global_load_b128 v[34:37], v[34:35], off
	global_load_b128 v[38:41], v[38:39], off
	s_waitcnt vmcnt(12)
	v_fma_f64 v[44:45], v[54:55], v[58:59], v[44:45]
	v_fma_f64 v[42:43], v[56:57], v[58:59], v[42:43]
	;; [unrolled: 1-line block ×4, first 2 shown]
	v_lshlrev_b64 v[58:59], 4, v[20:21]
	v_add_nc_u32_e32 v20, 7, v86
	v_fma_f64 v[56:57], -v[56:57], v[60:61], v[44:45]
	v_fma_f64 v[54:55], v[54:55], v[60:61], v[42:43]
	v_fma_f64 v[87:88], -v[52:53], v[60:61], v[46:47]
	v_fma_f64 v[60:61], v[50:51], v[60:61], v[48:49]
	v_lshlrev_b64 v[42:43], 4, v[20:21]
	v_add_co_u32 v46, vcc_lo, s8, v58
	v_add_co_ci_u32_e32 v47, vcc_lo, s9, v59, vcc_lo
	v_mov_b32_e32 v20, v21
	s_delay_alu instid0(VALU_DEP_4)
	v_add_co_u32 v50, vcc_lo, s10, v42
	v_add_co_ci_u32_e32 v51, vcc_lo, s11, v43, vcc_lo
	s_clause 0x1
	global_load_b128 v[42:45], v[46:47], off offset:16
	global_load_b128 v[46:49], v[46:47], off
	global_load_b128 v[50:53], v[50:51], off
	s_waitcnt vmcnt(12)
	v_fma_f64 v[58:59], v[66:67], v[70:71], v[56:57]
	v_fma_f64 v[89:90], v[68:69], v[70:71], v[54:55]
	;; [unrolled: 1-line block ×4, first 2 shown]
	v_lshlrev_b64 v[54:55], 4, v[19:20]
	v_add_nc_u32_e32 v19, 0x480, v19
	v_add_nc_u32_e32 v20, 8, v86
	s_delay_alu instid0(VALU_DEP_3) | instskip(NEXT) | instid1(VALU_DEP_4)
	v_add_co_u32 v70, vcc_lo, s8, v54
	v_add_co_ci_u32_e32 v71, vcc_lo, s9, v55, vcc_lo
	global_load_b128 v[54:57], v[70:71], off offset:16
	v_fma_f64 v[68:69], -v[68:69], v[72:73], v[58:59]
	v_fma_f64 v[66:67], v[66:67], v[72:73], v[89:90]
	v_fma_f64 v[87:88], -v[64:65], v[72:73], v[87:88]
	v_fma_f64 v[72:73], v[62:63], v[72:73], v[60:61]
	v_lshlrev_b64 v[58:59], 4, v[20:21]
	s_delay_alu instid0(VALU_DEP_1) | instskip(NEXT) | instid1(VALU_DEP_2)
	v_add_co_u32 v62, vcc_lo, s10, v58
	v_add_co_ci_u32_e32 v63, vcc_lo, s11, v59, vcc_lo
	global_load_b128 v[58:61], v[70:71], off
	global_load_b128 v[62:65], v[62:63], off
	v_cmp_ge_i32_e32 vcc_lo, v22, v24
	s_or_b32 s4, vcc_lo, s4
	s_waitcnt vmcnt(12)
	v_fma_f64 v[68:69], v[78:79], v[82:83], v[68:69]
	v_fma_f64 v[66:67], v[80:81], v[82:83], v[66:67]
	;; [unrolled: 1-line block ×4, first 2 shown]
	s_delay_alu instid0(VALU_DEP_4) | instskip(NEXT) | instid1(VALU_DEP_4)
	v_fma_f64 v[68:69], -v[80:81], v[84:85], v[68:69]
	v_fma_f64 v[66:67], v[78:79], v[84:85], v[66:67]
	s_delay_alu instid0(VALU_DEP_4) | instskip(NEXT) | instid1(VALU_DEP_4)
	v_fma_f64 v[70:71], -v[76:77], v[84:85], v[70:71]
	v_fma_f64 v[72:73], v[74:75], v[84:85], v[72:73]
	s_waitcnt vmcnt(9)
	s_delay_alu instid0(VALU_DEP_4) | instskip(NEXT) | instid1(VALU_DEP_4)
	v_fma_f64 v[68:69], v[14:15], v[26:27], v[68:69]
	v_fma_f64 v[66:67], v[16:17], v[26:27], v[66:67]
	s_delay_alu instid0(VALU_DEP_4) | instskip(NEXT) | instid1(VALU_DEP_4)
	v_fma_f64 v[70:71], v[10:11], v[26:27], v[70:71]
	v_fma_f64 v[26:27], v[12:13], v[26:27], v[72:73]
	s_delay_alu instid0(VALU_DEP_4) | instskip(NEXT) | instid1(VALU_DEP_4)
	v_fma_f64 v[16:17], -v[16:17], v[28:29], v[68:69]
	v_fma_f64 v[14:15], v[14:15], v[28:29], v[66:67]
	s_delay_alu instid0(VALU_DEP_4) | instskip(NEXT) | instid1(VALU_DEP_4)
	v_fma_f64 v[12:13], -v[12:13], v[28:29], v[70:71]
	v_fma_f64 v[10:11], v[10:11], v[28:29], v[26:27]
	s_waitcnt vmcnt(6)
	s_delay_alu instid0(VALU_DEP_4) | instskip(NEXT) | instid1(VALU_DEP_4)
	v_fma_f64 v[16:17], v[34:35], v[38:39], v[16:17]
	v_fma_f64 v[14:15], v[36:37], v[38:39], v[14:15]
	s_delay_alu instid0(VALU_DEP_4) | instskip(NEXT) | instid1(VALU_DEP_4)
	v_fma_f64 v[12:13], v[30:31], v[38:39], v[12:13]
	v_fma_f64 v[10:11], v[32:33], v[38:39], v[10:11]
	;; [unrolled: 13-line block ×4, first 2 shown]
	s_delay_alu instid0(VALU_DEP_4) | instskip(NEXT) | instid1(VALU_DEP_4)
	v_fma_f64 v[13:14], -v[60:61], v[64:65], v[16:17]
	v_fma_f64 v[11:12], v[58:59], v[64:65], v[26:27]
	s_delay_alu instid0(VALU_DEP_4) | instskip(NEXT) | instid1(VALU_DEP_4)
	v_fma_f64 v[15:16], -v[56:57], v[64:65], v[28:29]
	v_fma_f64 v[17:18], v[54:55], v[64:65], v[30:31]
	s_and_not1_b32 exec_lo, exec_lo, s4
	s_cbranch_execnz .LBB267_11
; %bb.12:
	s_or_b32 exec_lo, exec_lo, s4
.LBB267_13:
	s_delay_alu instid0(SALU_CYCLE_1)
	s_or_b32 exec_lo, exec_lo, s1
	s_cbranch_execz .LBB267_15
	s_branch .LBB267_20
.LBB267_14:
                                        ; implicit-def: $vgpr11_vgpr12
                                        ; implicit-def: $vgpr13_vgpr14
                                        ; implicit-def: $vgpr15_vgpr16
                                        ; implicit-def: $vgpr17_vgpr18
.LBB267_15:
	v_mov_b32_e32 v11, 0
	v_mov_b32_e32 v12, 0
	s_delay_alu instid0(VALU_DEP_1)
	v_dual_mov_b32 v14, v12 :: v_dual_mov_b32 v13, v11
	v_dual_mov_b32 v16, v12 :: v_dual_mov_b32 v15, v11
	;; [unrolled: 1-line block ×3, first 2 shown]
	s_and_saveexec_b32 s1, s0
	s_cbranch_execz .LBB267_19
; %bb.16:
	v_mov_b32_e32 v11, 0
	v_dual_mov_b32 v12, 0 :: v_dual_mov_b32 v21, 0
	v_mad_u64_u32 v[19:20], null, v9, 18, 17
	s_mov_b32 s0, 0
	s_delay_alu instid0(VALU_DEP_2)
	v_dual_mov_b32 v14, v12 :: v_dual_mov_b32 v13, v11
	v_dual_mov_b32 v16, v12 :: v_dual_mov_b32 v15, v11
	;; [unrolled: 1-line block ×3, first 2 shown]
.LBB267_17:                             ; =>This Inner Loop Header: Depth=1
	v_ashrrev_i32_e32 v10, 31, v9
	v_subrev_nc_u32_e32 v20, 17, v19
	v_add_nc_u32_e32 v26, -8, v19
	s_delay_alu instid0(VALU_DEP_3) | instskip(NEXT) | instid1(VALU_DEP_3)
	v_lshlrev_b64 v[22:23], 2, v[9:10]
	v_lshlrev_b64 v[28:29], 4, v[20:21]
	v_add_nc_u32_e32 v9, 64, v9
	s_delay_alu instid0(VALU_DEP_3) | instskip(NEXT) | instid1(VALU_DEP_4)
	v_add_co_u32 v22, vcc_lo, s6, v22
	v_add_co_ci_u32_e32 v23, vcc_lo, s7, v23, vcc_lo
	s_delay_alu instid0(VALU_DEP_4)
	v_add_co_u32 v30, vcc_lo, s8, v28
	v_add_co_ci_u32_e32 v31, vcc_lo, s9, v29, vcc_lo
	global_load_b32 v10, v[22:23], off
	v_mov_b32_e32 v23, v21
	s_waitcnt vmcnt(0)
	v_subrev_nc_u32_e32 v10, s12, v10
	s_delay_alu instid0(VALU_DEP_1) | instskip(NEXT) | instid1(VALU_DEP_1)
	v_lshl_add_u32 v22, v10, 3, v10
	v_dual_mov_b32 v27, v21 :: v_dual_add_nc_u32 v20, 1, v22
	s_delay_alu instid0(VALU_DEP_1) | instskip(SKIP_1) | instid1(VALU_DEP_3)
	v_lshlrev_b64 v[26:27], 4, v[26:27]
	v_lshlrev_b64 v[38:39], 4, v[22:23]
	;; [unrolled: 1-line block ×3, first 2 shown]
	v_add_nc_u32_e32 v20, -7, v19
	s_delay_alu instid0(VALU_DEP_4)
	v_add_co_u32 v34, vcc_lo, s8, v26
	v_add_co_ci_u32_e32 v35, vcc_lo, s9, v27, vcc_lo
	v_add_co_u32 v38, vcc_lo, s10, v38
	v_add_co_ci_u32_e32 v39, vcc_lo, s11, v39, vcc_lo
	s_clause 0x2
	global_load_b128 v[26:29], v[30:31], off offset:16
	global_load_b128 v[30:33], v[30:31], off
	global_load_b128 v[34:37], v[34:35], off
	v_lshlrev_b64 v[44:45], 4, v[20:21]
	v_add_co_u32 v42, vcc_lo, s10, v42
	global_load_b128 v[38:41], v[38:39], off
	v_add_co_ci_u32_e32 v43, vcc_lo, s11, v43, vcc_lo
	v_add_co_u32 v46, vcc_lo, s8, v44
	v_add_co_ci_u32_e32 v47, vcc_lo, s9, v45, vcc_lo
	global_load_b128 v[42:45], v[42:43], off
	global_load_b128 v[46:49], v[46:47], off
	v_add_nc_u32_e32 v20, -15, v19
	s_delay_alu instid0(VALU_DEP_1) | instskip(SKIP_1) | instid1(VALU_DEP_1)
	v_lshlrev_b64 v[50:51], 4, v[20:21]
	v_add_nc_u32_e32 v20, 2, v22
	v_lshlrev_b64 v[54:55], 4, v[20:21]
	v_add_nc_u32_e32 v20, -6, v19
	s_delay_alu instid0(VALU_DEP_4) | instskip(SKIP_1) | instid1(VALU_DEP_3)
	v_add_co_u32 v50, vcc_lo, s8, v50
	v_add_co_ci_u32_e32 v51, vcc_lo, s9, v51, vcc_lo
	v_lshlrev_b64 v[56:57], 4, v[20:21]
	v_add_co_u32 v54, vcc_lo, s10, v54
	v_add_co_ci_u32_e32 v55, vcc_lo, s11, v55, vcc_lo
	global_load_b128 v[50:53], v[50:51], off
	v_add_co_u32 v58, vcc_lo, s8, v56
	v_add_co_ci_u32_e32 v59, vcc_lo, s9, v57, vcc_lo
	global_load_b128 v[54:57], v[54:55], off
	global_load_b128 v[58:61], v[58:59], off
	v_add_nc_u32_e32 v20, -14, v19
	s_delay_alu instid0(VALU_DEP_1) | instskip(SKIP_1) | instid1(VALU_DEP_1)
	v_lshlrev_b64 v[62:63], 4, v[20:21]
	v_add_nc_u32_e32 v20, 3, v22
	v_lshlrev_b64 v[64:65], 4, v[20:21]
	v_add_nc_u32_e32 v20, -5, v19
	s_delay_alu instid0(VALU_DEP_4) | instskip(SKIP_1) | instid1(VALU_DEP_3)
	v_add_co_u32 v62, vcc_lo, s8, v62
	v_add_co_ci_u32_e32 v63, vcc_lo, s9, v63, vcc_lo
	v_lshlrev_b64 v[66:67], 4, v[20:21]
	v_add_co_u32 v68, vcc_lo, s10, v64
	v_add_co_ci_u32_e32 v69, vcc_lo, s11, v65, vcc_lo
	v_add_nc_u32_e32 v20, -13, v19
	s_delay_alu instid0(VALU_DEP_4)
	v_add_co_u32 v70, vcc_lo, s8, v66
	v_add_co_ci_u32_e32 v71, vcc_lo, s9, v67, vcc_lo
	global_load_b128 v[62:65], v[62:63], off
	global_load_b128 v[66:69], v[68:69], off
	;; [unrolled: 1-line block ×3, first 2 shown]
	v_lshlrev_b64 v[74:75], 4, v[20:21]
	v_add_nc_u32_e32 v20, 4, v22
	s_delay_alu instid0(VALU_DEP_1) | instskip(SKIP_1) | instid1(VALU_DEP_4)
	v_lshlrev_b64 v[76:77], 4, v[20:21]
	v_add_nc_u32_e32 v20, -4, v19
	v_add_co_u32 v74, vcc_lo, s8, v74
	v_add_co_ci_u32_e32 v75, vcc_lo, s9, v75, vcc_lo
	s_delay_alu instid0(VALU_DEP_3) | instskip(SKIP_3) | instid1(VALU_DEP_4)
	v_lshlrev_b64 v[78:79], 4, v[20:21]
	v_add_co_u32 v80, vcc_lo, s10, v76
	v_add_co_ci_u32_e32 v81, vcc_lo, s11, v77, vcc_lo
	v_add_nc_u32_e32 v20, -12, v19
	v_add_co_u32 v82, vcc_lo, s8, v78
	v_add_co_ci_u32_e32 v83, vcc_lo, s9, v79, vcc_lo
	global_load_b128 v[74:77], v[74:75], off
	global_load_b128 v[78:81], v[80:81], off
	;; [unrolled: 1-line block ×3, first 2 shown]
	s_waitcnt vmcnt(11)
	v_fma_f64 v[13:14], v[30:31], v[38:39], v[13:14]
	v_fma_f64 v[10:11], v[32:33], v[38:39], v[11:12]
	;; [unrolled: 1-line block ×4, first 2 shown]
	v_lshlrev_b64 v[38:39], 4, v[20:21]
	v_add_nc_u32_e32 v20, 5, v22
	s_delay_alu instid0(VALU_DEP_2)
	v_add_co_u32 v12, vcc_lo, s8, v38
	v_fma_f64 v[86:87], -v[32:33], v[40:41], v[13:14]
	v_fma_f64 v[88:89], v[30:31], v[40:41], v[10:11]
	v_fma_f64 v[36:37], -v[36:37], v[40:41], v[15:16]
	v_fma_f64 v[34:35], v[34:35], v[40:41], v[17:18]
	v_lshlrev_b64 v[10:11], 4, v[20:21]
	v_add_nc_u32_e32 v20, -3, v19
	v_add_co_ci_u32_e32 v13, vcc_lo, s9, v39, vcc_lo
	s_delay_alu instid0(VALU_DEP_2) | instskip(NEXT) | instid1(VALU_DEP_4)
	v_lshlrev_b64 v[14:15], 4, v[20:21]
	v_add_co_u32 v16, vcc_lo, s10, v10
	v_add_co_ci_u32_e32 v17, vcc_lo, s11, v11, vcc_lo
	v_add_nc_u32_e32 v20, -11, v19
	s_delay_alu instid0(VALU_DEP_4)
	v_add_co_u32 v30, vcc_lo, s8, v14
	v_add_co_ci_u32_e32 v31, vcc_lo, s9, v15, vcc_lo
	global_load_b128 v[10:13], v[12:13], off
	global_load_b128 v[14:17], v[16:17], off
	;; [unrolled: 1-line block ×3, first 2 shown]
	s_waitcnt vmcnt(13)
	v_fma_f64 v[38:39], v[26:27], v[42:43], v[86:87]
	v_fma_f64 v[40:41], v[28:29], v[42:43], v[88:89]
	s_waitcnt vmcnt(12)
	v_fma_f64 v[36:37], v[46:47], v[42:43], v[36:37]
	v_fma_f64 v[34:35], v[48:49], v[42:43], v[34:35]
	v_lshlrev_b64 v[42:43], 4, v[20:21]
	v_add_nc_u32_e32 v20, 6, v22
	v_fma_f64 v[86:87], -v[28:29], v[44:45], v[38:39]
	v_fma_f64 v[88:89], v[26:27], v[44:45], v[40:41]
	v_fma_f64 v[48:49], -v[48:49], v[44:45], v[36:37]
	v_fma_f64 v[44:45], v[46:47], v[44:45], v[34:35]
	v_lshlrev_b64 v[26:27], 4, v[20:21]
	v_add_nc_u32_e32 v20, -2, v19
	v_add_co_u32 v28, vcc_lo, s8, v42
	v_add_co_ci_u32_e32 v29, vcc_lo, s9, v43, vcc_lo
	s_delay_alu instid0(VALU_DEP_3) | instskip(SKIP_3) | instid1(VALU_DEP_4)
	v_lshlrev_b64 v[34:35], 4, v[20:21]
	v_add_co_u32 v36, vcc_lo, s10, v26
	v_add_co_ci_u32_e32 v37, vcc_lo, s11, v27, vcc_lo
	v_add_nc_u32_e32 v20, -10, v19
	v_add_co_u32 v38, vcc_lo, s8, v34
	v_add_co_ci_u32_e32 v39, vcc_lo, s9, v35, vcc_lo
	global_load_b128 v[26:29], v[28:29], off
	global_load_b128 v[34:37], v[36:37], off
	;; [unrolled: 1-line block ×3, first 2 shown]
	s_waitcnt vmcnt(13)
	v_fma_f64 v[42:43], v[50:51], v[54:55], v[86:87]
	v_fma_f64 v[46:47], v[52:53], v[54:55], v[88:89]
	s_waitcnt vmcnt(12)
	v_fma_f64 v[48:49], v[58:59], v[54:55], v[48:49]
	v_fma_f64 v[44:45], v[60:61], v[54:55], v[44:45]
	v_lshlrev_b64 v[54:55], 4, v[20:21]
	v_add_nc_u32_e32 v20, 7, v22
	v_fma_f64 v[86:87], -v[52:53], v[56:57], v[42:43]
	v_fma_f64 v[88:89], v[50:51], v[56:57], v[46:47]
	v_fma_f64 v[60:61], -v[60:61], v[56:57], v[48:49]
	v_fma_f64 v[56:57], v[58:59], v[56:57], v[44:45]
	v_lshlrev_b64 v[42:43], 4, v[20:21]
	v_add_nc_u32_e32 v20, -1, v19
	v_add_co_u32 v44, vcc_lo, s8, v54
	v_add_co_ci_u32_e32 v45, vcc_lo, s9, v55, vcc_lo
	s_delay_alu instid0(VALU_DEP_3) | instskip(SKIP_3) | instid1(VALU_DEP_4)
	v_lshlrev_b64 v[46:47], 4, v[20:21]
	v_add_co_u32 v48, vcc_lo, s10, v42
	v_add_co_ci_u32_e32 v49, vcc_lo, s11, v43, vcc_lo
	v_mov_b32_e32 v20, v21
	v_add_co_u32 v50, vcc_lo, s8, v46
	v_add_co_ci_u32_e32 v51, vcc_lo, s9, v47, vcc_lo
	global_load_b128 v[42:45], v[44:45], off
	global_load_b128 v[46:49], v[48:49], off
	;; [unrolled: 1-line block ×3, first 2 shown]
	v_lshlrev_b64 v[54:55], 4, v[19:20]
	v_add_nc_u32_e32 v20, -9, v19
	v_add_nc_u32_e32 v19, 0x480, v19
	s_delay_alu instid0(VALU_DEP_3) | instskip(NEXT) | instid1(VALU_DEP_4)
	v_add_co_u32 v54, vcc_lo, s8, v54
	v_add_co_ci_u32_e32 v55, vcc_lo, s9, v55, vcc_lo
	s_waitcnt vmcnt(13)
	v_fma_f64 v[58:59], v[62:63], v[66:67], v[86:87]
	v_fma_f64 v[86:87], v[64:65], v[66:67], v[88:89]
	s_waitcnt vmcnt(12)
	v_fma_f64 v[60:61], v[70:71], v[66:67], v[60:61]
	v_fma_f64 v[66:67], v[72:73], v[66:67], v[56:57]
	v_lshlrev_b64 v[88:89], 4, v[20:21]
	v_add_nc_u32_e32 v20, 8, v22
	global_load_b128 v[54:57], v[54:55], off
	v_lshlrev_b64 v[22:23], 4, v[20:21]
	v_fma_f64 v[90:91], -v[64:65], v[68:69], v[58:59]
	v_fma_f64 v[86:87], v[62:63], v[68:69], v[86:87]
	v_fma_f64 v[72:73], -v[72:73], v[68:69], v[60:61]
	v_fma_f64 v[66:67], v[70:71], v[68:69], v[66:67]
	v_add_co_u32 v58, vcc_lo, s8, v88
	v_add_co_ci_u32_e32 v59, vcc_lo, s9, v89, vcc_lo
	v_add_co_u32 v22, vcc_lo, s10, v22
	v_add_co_ci_u32_e32 v23, vcc_lo, s11, v23, vcc_lo
	global_load_b128 v[58:61], v[58:59], off
	global_load_b128 v[62:65], v[22:23], off
	v_cmp_ge_i32_e32 vcc_lo, v9, v24
	s_or_b32 s0, vcc_lo, s0
	s_waitcnt vmcnt(13)
	v_fma_f64 v[22:23], v[74:75], v[78:79], v[90:91]
	v_fma_f64 v[68:69], v[76:77], v[78:79], v[86:87]
	s_waitcnt vmcnt(12)
	v_fma_f64 v[70:71], v[82:83], v[78:79], v[72:73]
	v_fma_f64 v[66:67], v[84:85], v[78:79], v[66:67]
	s_delay_alu instid0(VALU_DEP_4) | instskip(NEXT) | instid1(VALU_DEP_4)
	v_fma_f64 v[22:23], -v[76:77], v[80:81], v[22:23]
	v_fma_f64 v[68:69], v[74:75], v[80:81], v[68:69]
	s_delay_alu instid0(VALU_DEP_4) | instskip(NEXT) | instid1(VALU_DEP_4)
	v_fma_f64 v[70:71], -v[84:85], v[80:81], v[70:71]
	v_fma_f64 v[66:67], v[82:83], v[80:81], v[66:67]
	s_waitcnt vmcnt(10)
	s_delay_alu instid0(VALU_DEP_4) | instskip(NEXT) | instid1(VALU_DEP_4)
	v_fma_f64 v[22:23], v[10:11], v[14:15], v[22:23]
	v_fma_f64 v[68:69], v[12:13], v[14:15], v[68:69]
	s_waitcnt vmcnt(9)
	s_delay_alu instid0(VALU_DEP_4) | instskip(NEXT) | instid1(VALU_DEP_4)
	v_fma_f64 v[70:71], v[30:31], v[14:15], v[70:71]
	v_fma_f64 v[14:15], v[32:33], v[14:15], v[66:67]
	s_delay_alu instid0(VALU_DEP_4) | instskip(NEXT) | instid1(VALU_DEP_4)
	v_fma_f64 v[12:13], -v[12:13], v[16:17], v[22:23]
	v_fma_f64 v[10:11], v[10:11], v[16:17], v[68:69]
	s_delay_alu instid0(VALU_DEP_4) | instskip(NEXT) | instid1(VALU_DEP_4)
	v_fma_f64 v[22:23], -v[32:33], v[16:17], v[70:71]
	v_fma_f64 v[14:15], v[30:31], v[16:17], v[14:15]
	s_waitcnt vmcnt(7)
	s_delay_alu instid0(VALU_DEP_4) | instskip(NEXT) | instid1(VALU_DEP_4)
	v_fma_f64 v[12:13], v[26:27], v[34:35], v[12:13]
	v_fma_f64 v[10:11], v[28:29], v[34:35], v[10:11]
	s_waitcnt vmcnt(6)
	s_delay_alu instid0(VALU_DEP_4) | instskip(NEXT) | instid1(VALU_DEP_4)
	v_fma_f64 v[16:17], v[38:39], v[34:35], v[22:23]
	v_fma_f64 v[14:15], v[40:41], v[34:35], v[14:15]
	s_delay_alu instid0(VALU_DEP_4) | instskip(NEXT) | instid1(VALU_DEP_4)
	v_fma_f64 v[12:13], -v[28:29], v[36:37], v[12:13]
	v_fma_f64 v[10:11], v[26:27], v[36:37], v[10:11]
	s_delay_alu instid0(VALU_DEP_4) | instskip(NEXT) | instid1(VALU_DEP_4)
	v_fma_f64 v[16:17], -v[40:41], v[36:37], v[16:17]
	v_fma_f64 v[14:15], v[38:39], v[36:37], v[14:15]
	s_waitcnt vmcnt(4)
	s_delay_alu instid0(VALU_DEP_4) | instskip(NEXT) | instid1(VALU_DEP_4)
	v_fma_f64 v[12:13], v[42:43], v[46:47], v[12:13]
	v_fma_f64 v[10:11], v[44:45], v[46:47], v[10:11]
	s_waitcnt vmcnt(3)
	s_delay_alu instid0(VALU_DEP_4) | instskip(NEXT) | instid1(VALU_DEP_4)
	v_fma_f64 v[16:17], v[50:51], v[46:47], v[16:17]
	v_fma_f64 v[14:15], v[52:53], v[46:47], v[14:15]
	s_delay_alu instid0(VALU_DEP_4) | instskip(NEXT) | instid1(VALU_DEP_4)
	v_fma_f64 v[12:13], -v[44:45], v[48:49], v[12:13]
	v_fma_f64 v[10:11], v[42:43], v[48:49], v[10:11]
	s_delay_alu instid0(VALU_DEP_4) | instskip(NEXT) | instid1(VALU_DEP_4)
	v_fma_f64 v[16:17], -v[52:53], v[48:49], v[16:17]
	v_fma_f64 v[14:15], v[50:51], v[48:49], v[14:15]
	s_waitcnt vmcnt(0)
	s_delay_alu instid0(VALU_DEP_4) | instskip(NEXT) | instid1(VALU_DEP_4)
	v_fma_f64 v[12:13], v[58:59], v[62:63], v[12:13]
	v_fma_f64 v[10:11], v[60:61], v[62:63], v[10:11]
	s_delay_alu instid0(VALU_DEP_4) | instskip(NEXT) | instid1(VALU_DEP_4)
	v_fma_f64 v[16:17], v[54:55], v[62:63], v[16:17]
	v_fma_f64 v[22:23], v[56:57], v[62:63], v[14:15]
	s_delay_alu instid0(VALU_DEP_4) | instskip(NEXT) | instid1(VALU_DEP_4)
	v_fma_f64 v[13:14], -v[60:61], v[64:65], v[12:13]
	v_fma_f64 v[11:12], v[58:59], v[64:65], v[10:11]
	s_delay_alu instid0(VALU_DEP_4) | instskip(NEXT) | instid1(VALU_DEP_4)
	v_fma_f64 v[15:16], -v[56:57], v[64:65], v[16:17]
	v_fma_f64 v[17:18], v[54:55], v[64:65], v[22:23]
	s_and_not1_b32 exec_lo, exec_lo, s0
	s_cbranch_execnz .LBB267_17
; %bb.18:
	s_or_b32 exec_lo, exec_lo, s0
.LBB267_19:
	s_delay_alu instid0(SALU_CYCLE_1)
	s_or_b32 exec_lo, exec_lo, s1
.LBB267_20:
	v_mbcnt_lo_u32_b32 v26, -1, 0
	s_delay_alu instid0(VALU_DEP_1) | instskip(NEXT) | instid1(VALU_DEP_1)
	v_or_b32_e32 v9, 32, v26
	v_cmp_gt_i32_e32 vcc_lo, 32, v9
	v_cndmask_b32_e32 v9, v26, v9, vcc_lo
	s_delay_alu instid0(VALU_DEP_1)
	v_lshlrev_b32_e32 v24, 2, v9
	ds_bpermute_b32 v9, v24, v13
	ds_bpermute_b32 v10, v24, v14
	ds_bpermute_b32 v19, v24, v11
	ds_bpermute_b32 v20, v24, v12
	ds_bpermute_b32 v21, v24, v15
	ds_bpermute_b32 v22, v24, v16
	ds_bpermute_b32 v23, v24, v17
	ds_bpermute_b32 v24, v24, v18
	s_waitcnt lgkmcnt(6)
	v_add_f64 v[9:10], v[13:14], v[9:10]
	s_waitcnt lgkmcnt(4)
	v_add_f64 v[11:12], v[11:12], v[19:20]
	;; [unrolled: 2-line block ×4, first 2 shown]
	v_xor_b32_e32 v17, 16, v26
	s_delay_alu instid0(VALU_DEP_1) | instskip(SKIP_1) | instid1(VALU_DEP_1)
	v_cmp_gt_i32_e32 vcc_lo, 32, v17
	v_cndmask_b32_e32 v17, v26, v17, vcc_lo
	v_lshlrev_b32_e32 v24, 2, v17
	ds_bpermute_b32 v17, v24, v9
	ds_bpermute_b32 v18, v24, v10
	;; [unrolled: 1-line block ×8, first 2 shown]
	s_waitcnt lgkmcnt(6)
	v_add_f64 v[9:10], v[9:10], v[17:18]
	v_xor_b32_e32 v17, 8, v26
	s_waitcnt lgkmcnt(4)
	v_add_f64 v[11:12], v[11:12], v[19:20]
	s_waitcnt lgkmcnt(2)
	v_add_f64 v[13:14], v[13:14], v[21:22]
	s_waitcnt lgkmcnt(0)
	v_add_f64 v[15:16], v[15:16], v[23:24]
	v_cmp_gt_i32_e32 vcc_lo, 32, v17
	v_cndmask_b32_e32 v17, v26, v17, vcc_lo
	s_delay_alu instid0(VALU_DEP_1)
	v_lshlrev_b32_e32 v24, 2, v17
	ds_bpermute_b32 v17, v24, v9
	ds_bpermute_b32 v18, v24, v10
	;; [unrolled: 1-line block ×8, first 2 shown]
	s_waitcnt lgkmcnt(6)
	v_add_f64 v[9:10], v[9:10], v[17:18]
	v_xor_b32_e32 v17, 4, v26
	s_waitcnt lgkmcnt(4)
	v_add_f64 v[11:12], v[11:12], v[19:20]
	s_waitcnt lgkmcnt(2)
	v_add_f64 v[13:14], v[13:14], v[21:22]
	;; [unrolled: 2-line block ×3, first 2 shown]
	v_cmp_gt_i32_e32 vcc_lo, 32, v17
	v_cndmask_b32_e32 v17, v26, v17, vcc_lo
	s_delay_alu instid0(VALU_DEP_1)
	v_lshlrev_b32_e32 v24, 2, v17
	ds_bpermute_b32 v17, v24, v9
	ds_bpermute_b32 v18, v24, v10
	;; [unrolled: 1-line block ×8, first 2 shown]
	s_waitcnt lgkmcnt(6)
	v_add_f64 v[9:10], v[9:10], v[17:18]
	s_waitcnt lgkmcnt(4)
	v_add_f64 v[11:12], v[11:12], v[19:20]
	s_waitcnt lgkmcnt(2)
	v_add_f64 v[13:14], v[13:14], v[21:22]
	s_waitcnt lgkmcnt(0)
	v_add_f64 v[17:18], v[15:16], v[23:24]
	v_xor_b32_e32 v15, 2, v26
	s_delay_alu instid0(VALU_DEP_1) | instskip(SKIP_1) | instid1(VALU_DEP_1)
	v_cmp_gt_i32_e32 vcc_lo, 32, v15
	v_cndmask_b32_e32 v15, v26, v15, vcc_lo
	v_lshlrev_b32_e32 v24, 2, v15
	ds_bpermute_b32 v15, v24, v9
	ds_bpermute_b32 v16, v24, v10
	;; [unrolled: 1-line block ×8, first 2 shown]
	s_waitcnt lgkmcnt(6)
	v_add_f64 v[9:10], v[9:10], v[15:16]
	s_waitcnt lgkmcnt(4)
	v_add_f64 v[15:16], v[11:12], v[19:20]
	;; [unrolled: 2-line block ×4, first 2 shown]
	v_xor_b32_e32 v17, 1, v26
	s_delay_alu instid0(VALU_DEP_1) | instskip(SKIP_2) | instid1(VALU_DEP_2)
	v_cmp_gt_i32_e32 vcc_lo, 32, v17
	v_cndmask_b32_e32 v17, v26, v17, vcc_lo
	v_cmp_eq_u32_e32 vcc_lo, 63, v25
	v_lshlrev_b32_e32 v20, 2, v17
	ds_bpermute_b32 v23, v20, v9
	ds_bpermute_b32 v24, v20, v10
	;; [unrolled: 1-line block ×8, first 2 shown]
	s_and_b32 exec_lo, exec_lo, vcc_lo
	s_cbranch_execz .LBB267_25
; %bb.21:
	v_cmp_eq_f64_e32 vcc_lo, 0, v[4:5]
	v_cmp_eq_f64_e64 s0, 0, v[6:7]
	s_waitcnt lgkmcnt(6)
	v_add_f64 v[9:10], v[9:10], v[23:24]
	s_waitcnt lgkmcnt(4)
	v_add_f64 v[15:16], v[15:16], v[21:22]
	;; [unrolled: 2-line block ×4, first 2 shown]
	s_load_b64 s[2:3], s[2:3], 0x48
	s_and_b32 s0, vcc_lo, s0
	s_delay_alu instid0(SALU_CYCLE_1) | instskip(NEXT) | instid1(SALU_CYCLE_1)
	s_and_saveexec_b32 s1, s0
	s_xor_b32 s0, exec_lo, s1
	s_cbranch_execz .LBB267_23
; %bb.22:
	s_delay_alu instid0(VALU_DEP_3) | instskip(SKIP_1) | instid1(VALU_DEP_3)
	v_mul_f64 v[4:5], v[15:16], -v[2:3]
	v_mul_f64 v[6:7], v[0:1], v[15:16]
	v_mul_f64 v[15:16], v[13:14], -v[2:3]
	v_mul_f64 v[13:14], v[0:1], v[13:14]
	v_lshlrev_b32_e32 v8, 1, v8
	v_fma_f64 v[4:5], v[0:1], v[9:10], v[4:5]
	v_fma_f64 v[6:7], v[2:3], v[9:10], v[6:7]
	v_fma_f64 v[0:1], v[0:1], v[11:12], v[15:16]
	v_fma_f64 v[2:3], v[2:3], v[11:12], v[13:14]
	v_ashrrev_i32_e32 v9, 31, v8
                                        ; implicit-def: $vgpr15_vgpr16
                                        ; implicit-def: $vgpr11_vgpr12
                                        ; implicit-def: $vgpr13_vgpr14
	s_delay_alu instid0(VALU_DEP_1) | instskip(SKIP_1) | instid1(VALU_DEP_1)
	v_lshlrev_b64 v[8:9], 4, v[8:9]
	s_waitcnt lgkmcnt(0)
	v_add_co_u32 v8, vcc_lo, s2, v8
	s_delay_alu instid0(VALU_DEP_2)
	v_add_co_ci_u32_e32 v9, vcc_lo, s3, v9, vcc_lo
	s_clause 0x1
	global_store_b128 v[8:9], v[4:7], off
	global_store_b128 v[8:9], v[0:3], off offset:16
                                        ; implicit-def: $vgpr0_vgpr1
                                        ; implicit-def: $vgpr2_vgpr3
                                        ; implicit-def: $vgpr4_vgpr5
                                        ; implicit-def: $vgpr6_vgpr7
                                        ; implicit-def: $vgpr8
                                        ; implicit-def: $vgpr9_vgpr10
.LBB267_23:
	s_and_not1_saveexec_b32 s0, s0
	s_cbranch_execz .LBB267_25
; %bb.24:
	v_lshlrev_b32_e32 v17, 1, v8
	s_delay_alu instid0(VALU_DEP_4) | instskip(SKIP_1) | instid1(VALU_DEP_4)
	v_mul_f64 v[27:28], v[15:16], -v[2:3]
	v_mul_f64 v[15:16], v[0:1], v[15:16]
	v_mul_f64 v[29:30], v[13:14], -v[2:3]
	v_mul_f64 v[13:14], v[0:1], v[13:14]
	v_ashrrev_i32_e32 v18, 31, v17
	s_delay_alu instid0(VALU_DEP_1) | instskip(SKIP_1) | instid1(VALU_DEP_1)
	v_lshlrev_b64 v[17:18], 4, v[17:18]
	s_waitcnt lgkmcnt(0)
	v_add_co_u32 v25, vcc_lo, s2, v17
	s_delay_alu instid0(VALU_DEP_2)
	v_add_co_ci_u32_e32 v26, vcc_lo, s3, v18, vcc_lo
	s_clause 0x1
	global_load_b128 v[17:20], v[25:26], off
	global_load_b128 v[21:24], v[25:26], off offset:16
	v_fma_f64 v[27:28], v[0:1], v[9:10], v[27:28]
	v_fma_f64 v[8:9], v[2:3], v[9:10], v[15:16]
	;; [unrolled: 1-line block ×4, first 2 shown]
	s_waitcnt vmcnt(1)
	s_delay_alu instid0(VALU_DEP_4) | instskip(NEXT) | instid1(VALU_DEP_4)
	v_fma_f64 v[10:11], v[4:5], v[17:18], v[27:28]
	v_fma_f64 v[8:9], v[6:7], v[17:18], v[8:9]
	s_waitcnt vmcnt(0)
	s_delay_alu instid0(VALU_DEP_4) | instskip(NEXT) | instid1(VALU_DEP_4)
	v_fma_f64 v[12:13], v[4:5], v[21:22], v[0:1]
	v_fma_f64 v[14:15], v[6:7], v[21:22], v[2:3]
	s_delay_alu instid0(VALU_DEP_4) | instskip(NEXT) | instid1(VALU_DEP_4)
	v_fma_f64 v[0:1], -v[6:7], v[19:20], v[10:11]
	v_fma_f64 v[2:3], v[4:5], v[19:20], v[8:9]
	s_delay_alu instid0(VALU_DEP_4) | instskip(NEXT) | instid1(VALU_DEP_4)
	v_fma_f64 v[6:7], -v[6:7], v[23:24], v[12:13]
	v_fma_f64 v[8:9], v[4:5], v[23:24], v[14:15]
	s_clause 0x1
	global_store_b128 v[25:26], v[0:3], off
	global_store_b128 v[25:26], v[6:9], off offset:16
.LBB267_25:
	s_nop 0
	s_sendmsg sendmsg(MSG_DEALLOC_VGPRS)
	s_endpgm
	.section	.rodata,"a",@progbits
	.p2align	6, 0x0
	.amdhsa_kernel _ZN9rocsparseL19gebsrmvn_2xn_kernelILj128ELj9ELj64E21rocsparse_complex_numIdEEEvi20rocsparse_direction_NS_24const_host_device_scalarIT2_EEPKiS8_PKS5_SA_S6_PS5_21rocsparse_index_base_b
		.amdhsa_group_segment_fixed_size 2048
		.amdhsa_private_segment_fixed_size 0
		.amdhsa_kernarg_size 88
		.amdhsa_user_sgpr_count 15
		.amdhsa_user_sgpr_dispatch_ptr 1
		.amdhsa_user_sgpr_queue_ptr 0
		.amdhsa_user_sgpr_kernarg_segment_ptr 1
		.amdhsa_user_sgpr_dispatch_id 0
		.amdhsa_user_sgpr_private_segment_size 0
		.amdhsa_wavefront_size32 1
		.amdhsa_uses_dynamic_stack 0
		.amdhsa_enable_private_segment 0
		.amdhsa_system_sgpr_workgroup_id_x 1
		.amdhsa_system_sgpr_workgroup_id_y 0
		.amdhsa_system_sgpr_workgroup_id_z 0
		.amdhsa_system_sgpr_workgroup_info 0
		.amdhsa_system_vgpr_workitem_id 2
		.amdhsa_next_free_vgpr 92
		.amdhsa_next_free_sgpr 18
		.amdhsa_reserve_vcc 1
		.amdhsa_float_round_mode_32 0
		.amdhsa_float_round_mode_16_64 0
		.amdhsa_float_denorm_mode_32 3
		.amdhsa_float_denorm_mode_16_64 3
		.amdhsa_dx10_clamp 1
		.amdhsa_ieee_mode 1
		.amdhsa_fp16_overflow 0
		.amdhsa_workgroup_processor_mode 1
		.amdhsa_memory_ordered 1
		.amdhsa_forward_progress 0
		.amdhsa_shared_vgpr_count 0
		.amdhsa_exception_fp_ieee_invalid_op 0
		.amdhsa_exception_fp_denorm_src 0
		.amdhsa_exception_fp_ieee_div_zero 0
		.amdhsa_exception_fp_ieee_overflow 0
		.amdhsa_exception_fp_ieee_underflow 0
		.amdhsa_exception_fp_ieee_inexact 0
		.amdhsa_exception_int_div_zero 0
	.end_amdhsa_kernel
	.section	.text._ZN9rocsparseL19gebsrmvn_2xn_kernelILj128ELj9ELj64E21rocsparse_complex_numIdEEEvi20rocsparse_direction_NS_24const_host_device_scalarIT2_EEPKiS8_PKS5_SA_S6_PS5_21rocsparse_index_base_b,"axG",@progbits,_ZN9rocsparseL19gebsrmvn_2xn_kernelILj128ELj9ELj64E21rocsparse_complex_numIdEEEvi20rocsparse_direction_NS_24const_host_device_scalarIT2_EEPKiS8_PKS5_SA_S6_PS5_21rocsparse_index_base_b,comdat
.Lfunc_end267:
	.size	_ZN9rocsparseL19gebsrmvn_2xn_kernelILj128ELj9ELj64E21rocsparse_complex_numIdEEEvi20rocsparse_direction_NS_24const_host_device_scalarIT2_EEPKiS8_PKS5_SA_S6_PS5_21rocsparse_index_base_b, .Lfunc_end267-_ZN9rocsparseL19gebsrmvn_2xn_kernelILj128ELj9ELj64E21rocsparse_complex_numIdEEEvi20rocsparse_direction_NS_24const_host_device_scalarIT2_EEPKiS8_PKS5_SA_S6_PS5_21rocsparse_index_base_b
                                        ; -- End function
	.section	.AMDGPU.csdata,"",@progbits
; Kernel info:
; codeLenInByte = 5156
; NumSgprs: 20
; NumVgprs: 92
; ScratchSize: 0
; MemoryBound: 0
; FloatMode: 240
; IeeeMode: 1
; LDSByteSize: 2048 bytes/workgroup (compile time only)
; SGPRBlocks: 2
; VGPRBlocks: 11
; NumSGPRsForWavesPerEU: 20
; NumVGPRsForWavesPerEU: 92
; Occupancy: 16
; WaveLimiterHint : 1
; COMPUTE_PGM_RSRC2:SCRATCH_EN: 0
; COMPUTE_PGM_RSRC2:USER_SGPR: 15
; COMPUTE_PGM_RSRC2:TRAP_HANDLER: 0
; COMPUTE_PGM_RSRC2:TGID_X_EN: 1
; COMPUTE_PGM_RSRC2:TGID_Y_EN: 0
; COMPUTE_PGM_RSRC2:TGID_Z_EN: 0
; COMPUTE_PGM_RSRC2:TIDIG_COMP_CNT: 2
	.section	.text._ZN9rocsparseL19gebsrmvn_2xn_kernelILj128ELj10ELj4E21rocsparse_complex_numIdEEEvi20rocsparse_direction_NS_24const_host_device_scalarIT2_EEPKiS8_PKS5_SA_S6_PS5_21rocsparse_index_base_b,"axG",@progbits,_ZN9rocsparseL19gebsrmvn_2xn_kernelILj128ELj10ELj4E21rocsparse_complex_numIdEEEvi20rocsparse_direction_NS_24const_host_device_scalarIT2_EEPKiS8_PKS5_SA_S6_PS5_21rocsparse_index_base_b,comdat
	.globl	_ZN9rocsparseL19gebsrmvn_2xn_kernelILj128ELj10ELj4E21rocsparse_complex_numIdEEEvi20rocsparse_direction_NS_24const_host_device_scalarIT2_EEPKiS8_PKS5_SA_S6_PS5_21rocsparse_index_base_b ; -- Begin function _ZN9rocsparseL19gebsrmvn_2xn_kernelILj128ELj10ELj4E21rocsparse_complex_numIdEEEvi20rocsparse_direction_NS_24const_host_device_scalarIT2_EEPKiS8_PKS5_SA_S6_PS5_21rocsparse_index_base_b
	.p2align	8
	.type	_ZN9rocsparseL19gebsrmvn_2xn_kernelILj128ELj10ELj4E21rocsparse_complex_numIdEEEvi20rocsparse_direction_NS_24const_host_device_scalarIT2_EEPKiS8_PKS5_SA_S6_PS5_21rocsparse_index_base_b,@function
_ZN9rocsparseL19gebsrmvn_2xn_kernelILj128ELj10ELj4E21rocsparse_complex_numIdEEEvi20rocsparse_direction_NS_24const_host_device_scalarIT2_EEPKiS8_PKS5_SA_S6_PS5_21rocsparse_index_base_b: ; @_ZN9rocsparseL19gebsrmvn_2xn_kernelILj128ELj10ELj4E21rocsparse_complex_numIdEEEvi20rocsparse_direction_NS_24const_host_device_scalarIT2_EEPKiS8_PKS5_SA_S6_PS5_21rocsparse_index_base_b
; %bb.0:
	s_load_b64 s[12:13], s[2:3], 0x50
	s_load_b64 s[16:17], s[0:1], 0x4
	s_load_b128 s[8:11], s[2:3], 0x8
	v_bfe_u32 v1, v0, 10, 10
	s_mov_b64 s[0:1], src_shared_base
	s_load_b128 s[4:7], s[2:3], 0x38
	v_and_b32_e32 v12, 0x3ff, v0
	v_bfe_u32 v0, v0, 20, 10
	s_waitcnt lgkmcnt(0)
	s_bitcmp1_b32 s13, 0
	v_mul_u32_u24_e32 v1, s17, v1
	s_cselect_b32 s0, -1, 0
	s_delay_alu instid0(SALU_CYCLE_1)
	s_and_b32 vcc_lo, s0, exec_lo
	s_cselect_b32 s13, s1, s9
	s_lshr_b32 s14, s16, 16
	v_dual_mov_b32 v2, s4 :: v_dual_mov_b32 v3, s5
	s_mul_i32 s14, s14, s17
	v_mov_b32_e32 v6, s13
	v_mad_u32_u24 v1, s14, v12, v1
	s_delay_alu instid0(VALU_DEP_1) | instskip(SKIP_1) | instid1(VALU_DEP_2)
	v_add_lshl_u32 v4, v1, v0, 3
	v_dual_mov_b32 v0, s8 :: v_dual_mov_b32 v1, s9
	v_add_nc_u32_e32 v5, 0x400, v4
	ds_store_2addr_stride64_b64 v4, v[2:3], v[0:1] offset1:2
	v_dual_mov_b32 v2, s10 :: v_dual_mov_b32 v3, s11
	v_cndmask_b32_e64 v5, s8, v5, s0
	s_xor_b32 s10, s0, -1
	flat_load_b64 v[0:1], v[5:6]
	s_cbranch_vccnz .LBB268_2
; %bb.1:
	v_dual_mov_b32 v2, s8 :: v_dual_mov_b32 v3, s9
	flat_load_b64 v[2:3], v[2:3] offset:8
.LBB268_2:
	s_and_b32 s8, s0, exec_lo
	s_cselect_b32 s1, s1, s5
	v_cndmask_b32_e64 v4, s4, v4, s0
	v_dual_mov_b32 v5, s1 :: v_dual_mov_b32 v6, s6
	v_mov_b32_e32 v7, s7
	s_and_not1_b32 vcc_lo, exec_lo, s10
	flat_load_b64 v[4:5], v[4:5]
	s_cbranch_vccnz .LBB268_4
; %bb.3:
	v_dual_mov_b32 v7, s5 :: v_dual_mov_b32 v6, s4
	flat_load_b64 v[6:7], v[6:7] offset:8
.LBB268_4:
	s_waitcnt vmcnt(1) lgkmcnt(1)
	v_cmp_eq_f64_e32 vcc_lo, 0, v[0:1]
	v_cmp_eq_f64_e64 s0, 0, v[2:3]
	s_delay_alu instid0(VALU_DEP_1)
	s_and_b32 s4, vcc_lo, s0
	s_mov_b32 s0, -1
	s_and_saveexec_b32 s1, s4
	s_cbranch_execz .LBB268_6
; %bb.5:
	s_waitcnt vmcnt(0) lgkmcnt(0)
	v_cmp_neq_f64_e32 vcc_lo, 1.0, v[4:5]
	v_cmp_neq_f64_e64 s0, 0, v[6:7]
	s_delay_alu instid0(VALU_DEP_1) | instskip(NEXT) | instid1(SALU_CYCLE_1)
	s_or_b32 s0, vcc_lo, s0
	s_or_not1_b32 s0, s0, exec_lo
.LBB268_6:
	s_or_b32 exec_lo, exec_lo, s1
	s_and_saveexec_b32 s1, s0
	s_cbranch_execz .LBB268_29
; %bb.7:
	s_load_b64 s[0:1], s[2:3], 0x0
	v_lshrrev_b32_e32 v8, 2, v12
	s_delay_alu instid0(VALU_DEP_1) | instskip(SKIP_1) | instid1(VALU_DEP_1)
	v_lshl_or_b32 v8, s15, 5, v8
	s_waitcnt lgkmcnt(0)
	v_cmp_gt_i32_e32 vcc_lo, s0, v8
	s_and_b32 exec_lo, exec_lo, vcc_lo
	s_cbranch_execz .LBB268_29
; %bb.8:
	s_load_b256 s[4:11], s[2:3], 0x18
	v_ashrrev_i32_e32 v9, 31, v8
	v_and_b32_e32 v25, 3, v12
	s_cmp_lg_u32 s1, 0
	s_delay_alu instid0(VALU_DEP_2) | instskip(SKIP_1) | instid1(VALU_DEP_1)
	v_lshlrev_b64 v[9:10], 2, v[8:9]
	s_waitcnt lgkmcnt(0)
	v_add_co_u32 v9, vcc_lo, s4, v9
	s_delay_alu instid0(VALU_DEP_2) | instskip(SKIP_4) | instid1(VALU_DEP_2)
	v_add_co_ci_u32_e32 v10, vcc_lo, s5, v10, vcc_lo
	global_load_b64 v[10:11], v[9:10], off
	s_waitcnt vmcnt(0)
	v_subrev_nc_u32_e32 v9, s12, v10
	v_subrev_nc_u32_e32 v23, s12, v11
	v_add_nc_u32_e32 v9, v9, v25
	s_delay_alu instid0(VALU_DEP_1)
	v_cmp_lt_i32_e64 s0, v9, v23
	s_cbranch_scc0 .LBB268_16
; %bb.9:
	v_mov_b32_e32 v11, 0
	v_mov_b32_e32 v12, 0
	s_delay_alu instid0(VALU_DEP_1)
	v_dual_mov_b32 v18, v12 :: v_dual_mov_b32 v17, v11
	v_dual_mov_b32 v16, v12 :: v_dual_mov_b32 v15, v11
	;; [unrolled: 1-line block ×3, first 2 shown]
	s_and_saveexec_b32 s1, s0
	s_cbranch_execz .LBB268_15
; %bb.10:
	v_dual_mov_b32 v11, 0 :: v_dual_mov_b32 v20, 0
	v_dual_mov_b32 v12, 0 :: v_dual_mov_b32 v21, v9
	v_mul_lo_u32 v24, v9, 20
	s_mov_b32 s4, 0
	s_delay_alu instid0(VALU_DEP_2)
	v_dual_mov_b32 v18, v12 :: v_dual_mov_b32 v17, v11
	v_dual_mov_b32 v16, v12 :: v_dual_mov_b32 v15, v11
	;; [unrolled: 1-line block ×3, first 2 shown]
.LBB268_11:                             ; =>This Loop Header: Depth=1
                                        ;     Child Loop BB268_12 Depth 2
	v_ashrrev_i32_e32 v22, 31, v21
	s_mov_b32 s5, 0
	s_delay_alu instid0(VALU_DEP_1) | instskip(NEXT) | instid1(VALU_DEP_1)
	v_lshlrev_b64 v[26:27], 2, v[21:22]
	v_add_co_u32 v26, vcc_lo, s6, v26
	s_delay_alu instid0(VALU_DEP_2) | instskip(SKIP_3) | instid1(VALU_DEP_1)
	v_add_co_ci_u32_e32 v27, vcc_lo, s7, v27, vcc_lo
	global_load_b32 v19, v[26:27], off
	s_waitcnt vmcnt(0)
	v_subrev_nc_u32_e32 v19, s12, v19
	v_mul_lo_u32 v22, v19, 10
	v_mov_b32_e32 v19, v24
.LBB268_12:                             ;   Parent Loop BB268_11 Depth=1
                                        ; =>  This Inner Loop Header: Depth=2
	s_delay_alu instid0(VALU_DEP_2) | instskip(NEXT) | instid1(VALU_DEP_2)
	v_dual_mov_b32 v27, v20 :: v_dual_add_nc_u32 v26, s5, v22
	v_lshlrev_b64 v[28:29], 4, v[19:20]
	v_add_nc_u32_e32 v19, 4, v19
	s_add_i32 s5, s5, 2
	s_delay_alu instid0(VALU_DEP_3) | instskip(SKIP_1) | instid1(VALU_DEP_3)
	v_lshlrev_b64 v[26:27], 4, v[26:27]
	s_cmp_eq_u32 s5, 10
	v_add_co_u32 v46, vcc_lo, s8, v28
	v_add_co_ci_u32_e32 v47, vcc_lo, s9, v29, vcc_lo
	s_delay_alu instid0(VALU_DEP_3) | instskip(NEXT) | instid1(VALU_DEP_4)
	v_add_co_u32 v38, vcc_lo, s10, v26
	v_add_co_ci_u32_e32 v39, vcc_lo, s11, v27, vcc_lo
	s_clause 0x1
	global_load_b128 v[26:29], v[46:47], off offset:16
	global_load_b128 v[30:33], v[46:47], off
	s_clause 0x1
	global_load_b128 v[34:37], v[38:39], off
	global_load_b128 v[38:41], v[38:39], off offset:16
	s_clause 0x1
	global_load_b128 v[42:45], v[46:47], off offset:32
	global_load_b128 v[46:49], v[46:47], off offset:48
	s_waitcnt vmcnt(3)
	v_fma_f64 v[17:18], v[30:31], v[34:35], v[17:18]
	v_fma_f64 v[11:12], v[32:33], v[34:35], v[11:12]
	;; [unrolled: 1-line block ×4, first 2 shown]
	s_delay_alu instid0(VALU_DEP_4) | instskip(NEXT) | instid1(VALU_DEP_4)
	v_fma_f64 v[17:18], -v[32:33], v[36:37], v[17:18]
	v_fma_f64 v[11:12], v[30:31], v[36:37], v[11:12]
	s_delay_alu instid0(VALU_DEP_4) | instskip(NEXT) | instid1(VALU_DEP_4)
	v_fma_f64 v[15:16], -v[28:29], v[36:37], v[15:16]
	v_fma_f64 v[13:14], v[26:27], v[36:37], v[13:14]
	s_waitcnt vmcnt(1)
	s_delay_alu instid0(VALU_DEP_4) | instskip(NEXT) | instid1(VALU_DEP_4)
	v_fma_f64 v[17:18], v[42:43], v[38:39], v[17:18]
	v_fma_f64 v[11:12], v[44:45], v[38:39], v[11:12]
	s_waitcnt vmcnt(0)
	s_delay_alu instid0(VALU_DEP_4) | instskip(NEXT) | instid1(VALU_DEP_4)
	v_fma_f64 v[15:16], v[46:47], v[38:39], v[15:16]
	v_fma_f64 v[13:14], v[48:49], v[38:39], v[13:14]
	s_delay_alu instid0(VALU_DEP_4) | instskip(NEXT) | instid1(VALU_DEP_4)
	v_fma_f64 v[17:18], -v[44:45], v[40:41], v[17:18]
	v_fma_f64 v[11:12], v[42:43], v[40:41], v[11:12]
	s_delay_alu instid0(VALU_DEP_4) | instskip(NEXT) | instid1(VALU_DEP_4)
	v_fma_f64 v[15:16], -v[48:49], v[40:41], v[15:16]
	v_fma_f64 v[13:14], v[46:47], v[40:41], v[13:14]
	s_cbranch_scc0 .LBB268_12
; %bb.13:                               ;   in Loop: Header=BB268_11 Depth=1
	v_add_nc_u32_e32 v21, 4, v21
	v_add_nc_u32_e32 v24, 0x50, v24
	s_delay_alu instid0(VALU_DEP_2) | instskip(SKIP_1) | instid1(SALU_CYCLE_1)
	v_cmp_ge_i32_e32 vcc_lo, v21, v23
	s_or_b32 s4, vcc_lo, s4
	s_and_not1_b32 exec_lo, exec_lo, s4
	s_cbranch_execnz .LBB268_11
; %bb.14:
	s_or_b32 exec_lo, exec_lo, s4
.LBB268_15:
	s_delay_alu instid0(SALU_CYCLE_1)
	s_or_b32 exec_lo, exec_lo, s1
	s_cbranch_execz .LBB268_17
	s_branch .LBB268_24
.LBB268_16:
                                        ; implicit-def: $vgpr11_vgpr12
                                        ; implicit-def: $vgpr17_vgpr18
                                        ; implicit-def: $vgpr15_vgpr16
                                        ; implicit-def: $vgpr13_vgpr14
.LBB268_17:
	v_mov_b32_e32 v11, 0
	v_mov_b32_e32 v12, 0
	s_delay_alu instid0(VALU_DEP_1)
	v_dual_mov_b32 v18, v12 :: v_dual_mov_b32 v17, v11
	v_dual_mov_b32 v16, v12 :: v_dual_mov_b32 v15, v11
	;; [unrolled: 1-line block ×3, first 2 shown]
	s_and_saveexec_b32 s1, s0
	s_cbranch_execz .LBB268_23
; %bb.18:
	v_mul_lo_u32 v10, v10, 20
	v_dual_mov_b32 v11, 0 :: v_dual_mov_b32 v20, 0
	v_mov_b32_e32 v12, 0
	v_mul_lo_u32 v21, v9, 20
	s_mul_i32 s0, s12, 20
	s_delay_alu instid0(VALU_DEP_2) | instskip(SKIP_3) | instid1(VALU_DEP_3)
	v_dual_mov_b32 v18, v12 :: v_dual_mov_b32 v17, v11
	v_mad_u32_u24 v10, v25, 20, v10
	v_dual_mov_b32 v16, v12 :: v_dual_mov_b32 v15, v11
	v_dual_mov_b32 v14, v12 :: v_dual_mov_b32 v13, v11
	v_subrev_nc_u32_e32 v22, s0, v10
	s_mov_b32 s0, 0
.LBB268_19:                             ; =>This Loop Header: Depth=1
                                        ;     Child Loop BB268_20 Depth 2
	v_ashrrev_i32_e32 v10, 31, v9
	s_mov_b32 s4, 0
	s_delay_alu instid0(VALU_DEP_1) | instskip(NEXT) | instid1(VALU_DEP_1)
	v_lshlrev_b64 v[26:27], 2, v[9:10]
	v_add_co_u32 v26, vcc_lo, s6, v26
	s_delay_alu instid0(VALU_DEP_2) | instskip(SKIP_3) | instid1(VALU_DEP_1)
	v_add_co_ci_u32_e32 v27, vcc_lo, s7, v27, vcc_lo
	global_load_b32 v10, v[26:27], off
	s_waitcnt vmcnt(0)
	v_subrev_nc_u32_e32 v10, s12, v10
	v_mul_lo_u32 v10, v10, 10
.LBB268_20:                             ;   Parent Loop BB268_19 Depth=1
                                        ; =>  This Inner Loop Header: Depth=2
	v_add_nc_u32_e32 v19, s4, v22
	s_delay_alu instid0(VALU_DEP_1) | instskip(NEXT) | instid1(VALU_DEP_3)
	v_lshlrev_b64 v[26:27], 4, v[19:20]
	v_add_nc_u32_e32 v19, s4, v10
	s_delay_alu instid0(VALU_DEP_1) | instskip(SKIP_1) | instid1(VALU_DEP_4)
	v_lshlrev_b64 v[30:31], 4, v[19:20]
	v_add3_u32 v19, v21, s4, 10
	v_add_co_u32 v32, vcc_lo, s8, v26
	v_add_co_ci_u32_e32 v33, vcc_lo, s9, v27, vcc_lo
	s_delay_alu instid0(VALU_DEP_3)
	v_lshlrev_b64 v[34:35], 4, v[19:20]
	v_add_co_u32 v38, vcc_lo, s10, v30
	v_add_co_ci_u32_e32 v39, vcc_lo, s11, v31, vcc_lo
	global_load_b128 v[26:29], v[32:33], off offset:16
	v_add_co_u32 v46, vcc_lo, s8, v34
	v_add_co_ci_u32_e32 v47, vcc_lo, s9, v35, vcc_lo
	global_load_b128 v[30:33], v[32:33], off
	s_clause 0x1
	global_load_b128 v[34:37], v[38:39], off
	global_load_b128 v[38:41], v[38:39], off offset:16
	s_clause 0x1
	global_load_b128 v[42:45], v[46:47], off
	global_load_b128 v[46:49], v[46:47], off offset:16
	s_add_i32 s4, s4, 2
	s_delay_alu instid0(SALU_CYCLE_1)
	s_cmp_eq_u32 s4, 10
	s_waitcnt vmcnt(3)
	v_fma_f64 v[17:18], v[30:31], v[34:35], v[17:18]
	v_fma_f64 v[11:12], v[32:33], v[34:35], v[11:12]
	s_waitcnt vmcnt(1)
	v_fma_f64 v[15:16], v[42:43], v[34:35], v[15:16]
	v_fma_f64 v[13:14], v[44:45], v[34:35], v[13:14]
	s_delay_alu instid0(VALU_DEP_4) | instskip(NEXT) | instid1(VALU_DEP_4)
	v_fma_f64 v[17:18], -v[32:33], v[36:37], v[17:18]
	v_fma_f64 v[11:12], v[30:31], v[36:37], v[11:12]
	s_delay_alu instid0(VALU_DEP_4) | instskip(NEXT) | instid1(VALU_DEP_4)
	v_fma_f64 v[15:16], -v[44:45], v[36:37], v[15:16]
	v_fma_f64 v[13:14], v[42:43], v[36:37], v[13:14]
	s_delay_alu instid0(VALU_DEP_4) | instskip(NEXT) | instid1(VALU_DEP_4)
	v_fma_f64 v[17:18], v[26:27], v[38:39], v[17:18]
	v_fma_f64 v[11:12], v[28:29], v[38:39], v[11:12]
	s_waitcnt vmcnt(0)
	s_delay_alu instid0(VALU_DEP_4) | instskip(NEXT) | instid1(VALU_DEP_4)
	v_fma_f64 v[15:16], v[46:47], v[38:39], v[15:16]
	v_fma_f64 v[13:14], v[48:49], v[38:39], v[13:14]
	s_delay_alu instid0(VALU_DEP_4) | instskip(NEXT) | instid1(VALU_DEP_4)
	v_fma_f64 v[17:18], -v[28:29], v[40:41], v[17:18]
	v_fma_f64 v[11:12], v[26:27], v[40:41], v[11:12]
	s_delay_alu instid0(VALU_DEP_4) | instskip(NEXT) | instid1(VALU_DEP_4)
	v_fma_f64 v[15:16], -v[48:49], v[40:41], v[15:16]
	v_fma_f64 v[13:14], v[46:47], v[40:41], v[13:14]
	s_cbranch_scc0 .LBB268_20
; %bb.21:                               ;   in Loop: Header=BB268_19 Depth=1
	v_add_nc_u32_e32 v9, 4, v9
	v_add_nc_u32_e32 v21, 0x50, v21
	v_add_nc_u32_e32 v22, 0x50, v22
	s_delay_alu instid0(VALU_DEP_3) | instskip(SKIP_1) | instid1(SALU_CYCLE_1)
	v_cmp_ge_i32_e32 vcc_lo, v9, v23
	s_or_b32 s0, vcc_lo, s0
	s_and_not1_b32 exec_lo, exec_lo, s0
	s_cbranch_execnz .LBB268_19
; %bb.22:
	s_or_b32 exec_lo, exec_lo, s0
.LBB268_23:
	s_delay_alu instid0(SALU_CYCLE_1)
	s_or_b32 exec_lo, exec_lo, s1
.LBB268_24:
	v_mbcnt_lo_u32_b32 v26, -1, 0
	s_delay_alu instid0(VALU_DEP_1) | instskip(NEXT) | instid1(VALU_DEP_1)
	v_xor_b32_e32 v9, 2, v26
	v_cmp_gt_i32_e32 vcc_lo, 32, v9
	v_cndmask_b32_e32 v9, v26, v9, vcc_lo
	s_delay_alu instid0(VALU_DEP_1)
	v_lshlrev_b32_e32 v24, 2, v9
	ds_bpermute_b32 v9, v24, v17
	ds_bpermute_b32 v10, v24, v18
	;; [unrolled: 1-line block ×6, first 2 shown]
	s_waitcnt lgkmcnt(4)
	v_add_f64 v[9:10], v[17:18], v[9:10]
	s_waitcnt lgkmcnt(2)
	v_add_f64 v[17:18], v[11:12], v[19:20]
	;; [unrolled: 2-line block ×3, first 2 shown]
	v_xor_b32_e32 v15, 1, v26
	s_delay_alu instid0(VALU_DEP_1)
	v_cmp_gt_i32_e32 vcc_lo, 32, v15
	v_cndmask_b32_e32 v15, v26, v15, vcc_lo
	ds_bpermute_b32 v23, v24, v13
	ds_bpermute_b32 v24, v24, v14
	v_cmp_eq_u32_e32 vcc_lo, 3, v25
	v_lshlrev_b32_e32 v22, 2, v15
	s_waitcnt lgkmcnt(0)
	v_add_f64 v[13:14], v[13:14], v[23:24]
	ds_bpermute_b32 v23, v22, v9
	ds_bpermute_b32 v24, v22, v10
	;; [unrolled: 1-line block ×8, first 2 shown]
	s_and_b32 exec_lo, exec_lo, vcc_lo
	s_cbranch_execz .LBB268_29
; %bb.25:
	v_cmp_eq_f64_e32 vcc_lo, 0, v[4:5]
	v_cmp_eq_f64_e64 s0, 0, v[6:7]
	s_waitcnt lgkmcnt(6)
	v_add_f64 v[9:10], v[9:10], v[23:24]
	s_waitcnt lgkmcnt(4)
	v_add_f64 v[15:16], v[17:18], v[15:16]
	;; [unrolled: 2-line block ×4, first 2 shown]
	s_load_b64 s[2:3], s[2:3], 0x48
	s_and_b32 s0, vcc_lo, s0
	s_delay_alu instid0(SALU_CYCLE_1) | instskip(NEXT) | instid1(SALU_CYCLE_1)
	s_and_saveexec_b32 s1, s0
	s_xor_b32 s0, exec_lo, s1
	s_cbranch_execz .LBB268_27
; %bb.26:
	s_delay_alu instid0(VALU_DEP_3) | instskip(SKIP_1) | instid1(VALU_DEP_3)
	v_mul_f64 v[4:5], v[15:16], -v[2:3]
	v_mul_f64 v[6:7], v[0:1], v[15:16]
	v_mul_f64 v[15:16], v[13:14], -v[2:3]
	v_mul_f64 v[13:14], v[0:1], v[13:14]
	v_lshlrev_b32_e32 v8, 1, v8
	v_fma_f64 v[4:5], v[0:1], v[9:10], v[4:5]
	v_fma_f64 v[6:7], v[2:3], v[9:10], v[6:7]
	;; [unrolled: 1-line block ×4, first 2 shown]
	v_ashrrev_i32_e32 v9, 31, v8
                                        ; implicit-def: $vgpr15_vgpr16
                                        ; implicit-def: $vgpr11_vgpr12
                                        ; implicit-def: $vgpr13_vgpr14
	s_delay_alu instid0(VALU_DEP_1) | instskip(SKIP_1) | instid1(VALU_DEP_1)
	v_lshlrev_b64 v[8:9], 4, v[8:9]
	s_waitcnt lgkmcnt(0)
	v_add_co_u32 v8, vcc_lo, s2, v8
	s_delay_alu instid0(VALU_DEP_2)
	v_add_co_ci_u32_e32 v9, vcc_lo, s3, v9, vcc_lo
	s_clause 0x1
	global_store_b128 v[8:9], v[4:7], off
	global_store_b128 v[8:9], v[0:3], off offset:16
                                        ; implicit-def: $vgpr0_vgpr1
                                        ; implicit-def: $vgpr2_vgpr3
                                        ; implicit-def: $vgpr4_vgpr5
                                        ; implicit-def: $vgpr6_vgpr7
                                        ; implicit-def: $vgpr8
                                        ; implicit-def: $vgpr9_vgpr10
.LBB268_27:
	s_and_not1_saveexec_b32 s0, s0
	s_cbranch_execz .LBB268_29
; %bb.28:
	v_lshlrev_b32_e32 v17, 1, v8
	s_delay_alu instid0(VALU_DEP_4) | instskip(SKIP_1) | instid1(VALU_DEP_4)
	v_mul_f64 v[27:28], v[15:16], -v[2:3]
	v_mul_f64 v[15:16], v[0:1], v[15:16]
	v_mul_f64 v[29:30], v[13:14], -v[2:3]
	v_mul_f64 v[13:14], v[0:1], v[13:14]
	v_ashrrev_i32_e32 v18, 31, v17
	s_delay_alu instid0(VALU_DEP_1) | instskip(SKIP_1) | instid1(VALU_DEP_1)
	v_lshlrev_b64 v[17:18], 4, v[17:18]
	s_waitcnt lgkmcnt(0)
	v_add_co_u32 v25, vcc_lo, s2, v17
	s_delay_alu instid0(VALU_DEP_2)
	v_add_co_ci_u32_e32 v26, vcc_lo, s3, v18, vcc_lo
	s_clause 0x1
	global_load_b128 v[17:20], v[25:26], off
	global_load_b128 v[21:24], v[25:26], off offset:16
	v_fma_f64 v[27:28], v[0:1], v[9:10], v[27:28]
	v_fma_f64 v[8:9], v[2:3], v[9:10], v[15:16]
	;; [unrolled: 1-line block ×4, first 2 shown]
	s_waitcnt vmcnt(1)
	s_delay_alu instid0(VALU_DEP_4) | instskip(NEXT) | instid1(VALU_DEP_4)
	v_fma_f64 v[10:11], v[4:5], v[17:18], v[27:28]
	v_fma_f64 v[8:9], v[6:7], v[17:18], v[8:9]
	s_waitcnt vmcnt(0)
	s_delay_alu instid0(VALU_DEP_4) | instskip(NEXT) | instid1(VALU_DEP_4)
	v_fma_f64 v[12:13], v[4:5], v[21:22], v[0:1]
	v_fma_f64 v[14:15], v[6:7], v[21:22], v[2:3]
	s_delay_alu instid0(VALU_DEP_4) | instskip(NEXT) | instid1(VALU_DEP_4)
	v_fma_f64 v[0:1], -v[6:7], v[19:20], v[10:11]
	v_fma_f64 v[2:3], v[4:5], v[19:20], v[8:9]
	s_delay_alu instid0(VALU_DEP_4) | instskip(NEXT) | instid1(VALU_DEP_4)
	v_fma_f64 v[6:7], -v[6:7], v[23:24], v[12:13]
	v_fma_f64 v[8:9], v[4:5], v[23:24], v[14:15]
	s_clause 0x1
	global_store_b128 v[25:26], v[0:3], off
	global_store_b128 v[25:26], v[6:9], off offset:16
.LBB268_29:
	s_nop 0
	s_sendmsg sendmsg(MSG_DEALLOC_VGPRS)
	s_endpgm
	.section	.rodata,"a",@progbits
	.p2align	6, 0x0
	.amdhsa_kernel _ZN9rocsparseL19gebsrmvn_2xn_kernelILj128ELj10ELj4E21rocsparse_complex_numIdEEEvi20rocsparse_direction_NS_24const_host_device_scalarIT2_EEPKiS8_PKS5_SA_S6_PS5_21rocsparse_index_base_b
		.amdhsa_group_segment_fixed_size 2048
		.amdhsa_private_segment_fixed_size 0
		.amdhsa_kernarg_size 88
		.amdhsa_user_sgpr_count 15
		.amdhsa_user_sgpr_dispatch_ptr 1
		.amdhsa_user_sgpr_queue_ptr 0
		.amdhsa_user_sgpr_kernarg_segment_ptr 1
		.amdhsa_user_sgpr_dispatch_id 0
		.amdhsa_user_sgpr_private_segment_size 0
		.amdhsa_wavefront_size32 1
		.amdhsa_uses_dynamic_stack 0
		.amdhsa_enable_private_segment 0
		.amdhsa_system_sgpr_workgroup_id_x 1
		.amdhsa_system_sgpr_workgroup_id_y 0
		.amdhsa_system_sgpr_workgroup_id_z 0
		.amdhsa_system_sgpr_workgroup_info 0
		.amdhsa_system_vgpr_workitem_id 2
		.amdhsa_next_free_vgpr 50
		.amdhsa_next_free_sgpr 18
		.amdhsa_reserve_vcc 1
		.amdhsa_float_round_mode_32 0
		.amdhsa_float_round_mode_16_64 0
		.amdhsa_float_denorm_mode_32 3
		.amdhsa_float_denorm_mode_16_64 3
		.amdhsa_dx10_clamp 1
		.amdhsa_ieee_mode 1
		.amdhsa_fp16_overflow 0
		.amdhsa_workgroup_processor_mode 1
		.amdhsa_memory_ordered 1
		.amdhsa_forward_progress 0
		.amdhsa_shared_vgpr_count 0
		.amdhsa_exception_fp_ieee_invalid_op 0
		.amdhsa_exception_fp_denorm_src 0
		.amdhsa_exception_fp_ieee_div_zero 0
		.amdhsa_exception_fp_ieee_overflow 0
		.amdhsa_exception_fp_ieee_underflow 0
		.amdhsa_exception_fp_ieee_inexact 0
		.amdhsa_exception_int_div_zero 0
	.end_amdhsa_kernel
	.section	.text._ZN9rocsparseL19gebsrmvn_2xn_kernelILj128ELj10ELj4E21rocsparse_complex_numIdEEEvi20rocsparse_direction_NS_24const_host_device_scalarIT2_EEPKiS8_PKS5_SA_S6_PS5_21rocsparse_index_base_b,"axG",@progbits,_ZN9rocsparseL19gebsrmvn_2xn_kernelILj128ELj10ELj4E21rocsparse_complex_numIdEEEvi20rocsparse_direction_NS_24const_host_device_scalarIT2_EEPKiS8_PKS5_SA_S6_PS5_21rocsparse_index_base_b,comdat
.Lfunc_end268:
	.size	_ZN9rocsparseL19gebsrmvn_2xn_kernelILj128ELj10ELj4E21rocsparse_complex_numIdEEEvi20rocsparse_direction_NS_24const_host_device_scalarIT2_EEPKiS8_PKS5_SA_S6_PS5_21rocsparse_index_base_b, .Lfunc_end268-_ZN9rocsparseL19gebsrmvn_2xn_kernelILj128ELj10ELj4E21rocsparse_complex_numIdEEEvi20rocsparse_direction_NS_24const_host_device_scalarIT2_EEPKiS8_PKS5_SA_S6_PS5_21rocsparse_index_base_b
                                        ; -- End function
	.section	.AMDGPU.csdata,"",@progbits
; Kernel info:
; codeLenInByte = 2252
; NumSgprs: 20
; NumVgprs: 50
; ScratchSize: 0
; MemoryBound: 0
; FloatMode: 240
; IeeeMode: 1
; LDSByteSize: 2048 bytes/workgroup (compile time only)
; SGPRBlocks: 2
; VGPRBlocks: 6
; NumSGPRsForWavesPerEU: 20
; NumVGPRsForWavesPerEU: 50
; Occupancy: 16
; WaveLimiterHint : 1
; COMPUTE_PGM_RSRC2:SCRATCH_EN: 0
; COMPUTE_PGM_RSRC2:USER_SGPR: 15
; COMPUTE_PGM_RSRC2:TRAP_HANDLER: 0
; COMPUTE_PGM_RSRC2:TGID_X_EN: 1
; COMPUTE_PGM_RSRC2:TGID_Y_EN: 0
; COMPUTE_PGM_RSRC2:TGID_Z_EN: 0
; COMPUTE_PGM_RSRC2:TIDIG_COMP_CNT: 2
	.section	.text._ZN9rocsparseL19gebsrmvn_2xn_kernelILj128ELj10ELj8E21rocsparse_complex_numIdEEEvi20rocsparse_direction_NS_24const_host_device_scalarIT2_EEPKiS8_PKS5_SA_S6_PS5_21rocsparse_index_base_b,"axG",@progbits,_ZN9rocsparseL19gebsrmvn_2xn_kernelILj128ELj10ELj8E21rocsparse_complex_numIdEEEvi20rocsparse_direction_NS_24const_host_device_scalarIT2_EEPKiS8_PKS5_SA_S6_PS5_21rocsparse_index_base_b,comdat
	.globl	_ZN9rocsparseL19gebsrmvn_2xn_kernelILj128ELj10ELj8E21rocsparse_complex_numIdEEEvi20rocsparse_direction_NS_24const_host_device_scalarIT2_EEPKiS8_PKS5_SA_S6_PS5_21rocsparse_index_base_b ; -- Begin function _ZN9rocsparseL19gebsrmvn_2xn_kernelILj128ELj10ELj8E21rocsparse_complex_numIdEEEvi20rocsparse_direction_NS_24const_host_device_scalarIT2_EEPKiS8_PKS5_SA_S6_PS5_21rocsparse_index_base_b
	.p2align	8
	.type	_ZN9rocsparseL19gebsrmvn_2xn_kernelILj128ELj10ELj8E21rocsparse_complex_numIdEEEvi20rocsparse_direction_NS_24const_host_device_scalarIT2_EEPKiS8_PKS5_SA_S6_PS5_21rocsparse_index_base_b,@function
_ZN9rocsparseL19gebsrmvn_2xn_kernelILj128ELj10ELj8E21rocsparse_complex_numIdEEEvi20rocsparse_direction_NS_24const_host_device_scalarIT2_EEPKiS8_PKS5_SA_S6_PS5_21rocsparse_index_base_b: ; @_ZN9rocsparseL19gebsrmvn_2xn_kernelILj128ELj10ELj8E21rocsparse_complex_numIdEEEvi20rocsparse_direction_NS_24const_host_device_scalarIT2_EEPKiS8_PKS5_SA_S6_PS5_21rocsparse_index_base_b
; %bb.0:
	s_load_b64 s[12:13], s[2:3], 0x50
	s_load_b64 s[16:17], s[0:1], 0x4
	s_load_b128 s[8:11], s[2:3], 0x8
	v_bfe_u32 v1, v0, 10, 10
	s_mov_b64 s[0:1], src_shared_base
	s_load_b128 s[4:7], s[2:3], 0x38
	v_and_b32_e32 v10, 0x3ff, v0
	v_bfe_u32 v0, v0, 20, 10
	s_waitcnt lgkmcnt(0)
	s_bitcmp1_b32 s13, 0
	v_mul_u32_u24_e32 v1, s17, v1
	s_cselect_b32 s0, -1, 0
	s_delay_alu instid0(SALU_CYCLE_1)
	s_and_b32 vcc_lo, s0, exec_lo
	s_cselect_b32 s13, s1, s9
	s_lshr_b32 s14, s16, 16
	v_dual_mov_b32 v2, s4 :: v_dual_mov_b32 v3, s5
	s_mul_i32 s14, s14, s17
	v_mov_b32_e32 v6, s13
	v_mad_u32_u24 v1, s14, v10, v1
	s_delay_alu instid0(VALU_DEP_1) | instskip(SKIP_1) | instid1(VALU_DEP_2)
	v_add_lshl_u32 v4, v1, v0, 3
	v_dual_mov_b32 v0, s8 :: v_dual_mov_b32 v1, s9
	v_add_nc_u32_e32 v5, 0x400, v4
	ds_store_2addr_stride64_b64 v4, v[2:3], v[0:1] offset1:2
	v_dual_mov_b32 v2, s10 :: v_dual_mov_b32 v3, s11
	v_cndmask_b32_e64 v5, s8, v5, s0
	s_xor_b32 s10, s0, -1
	flat_load_b64 v[0:1], v[5:6]
	s_cbranch_vccnz .LBB269_2
; %bb.1:
	v_dual_mov_b32 v2, s8 :: v_dual_mov_b32 v3, s9
	flat_load_b64 v[2:3], v[2:3] offset:8
.LBB269_2:
	s_and_b32 s8, s0, exec_lo
	s_cselect_b32 s1, s1, s5
	v_cndmask_b32_e64 v4, s4, v4, s0
	v_dual_mov_b32 v5, s1 :: v_dual_mov_b32 v6, s6
	v_mov_b32_e32 v7, s7
	s_and_not1_b32 vcc_lo, exec_lo, s10
	flat_load_b64 v[4:5], v[4:5]
	s_cbranch_vccnz .LBB269_4
; %bb.3:
	v_dual_mov_b32 v7, s5 :: v_dual_mov_b32 v6, s4
	flat_load_b64 v[6:7], v[6:7] offset:8
.LBB269_4:
	s_waitcnt vmcnt(1) lgkmcnt(1)
	v_cmp_eq_f64_e32 vcc_lo, 0, v[0:1]
	v_cmp_eq_f64_e64 s0, 0, v[2:3]
	s_delay_alu instid0(VALU_DEP_1)
	s_and_b32 s4, vcc_lo, s0
	s_mov_b32 s0, -1
	s_and_saveexec_b32 s1, s4
	s_cbranch_execz .LBB269_6
; %bb.5:
	s_waitcnt vmcnt(0) lgkmcnt(0)
	v_cmp_neq_f64_e32 vcc_lo, 1.0, v[4:5]
	v_cmp_neq_f64_e64 s0, 0, v[6:7]
	s_delay_alu instid0(VALU_DEP_1) | instskip(NEXT) | instid1(SALU_CYCLE_1)
	s_or_b32 s0, vcc_lo, s0
	s_or_not1_b32 s0, s0, exec_lo
.LBB269_6:
	s_or_b32 exec_lo, exec_lo, s1
	s_and_saveexec_b32 s1, s0
	s_cbranch_execz .LBB269_29
; %bb.7:
	s_load_b64 s[0:1], s[2:3], 0x0
	v_lshrrev_b32_e32 v8, 3, v10
	s_delay_alu instid0(VALU_DEP_1) | instskip(SKIP_1) | instid1(VALU_DEP_1)
	v_lshl_or_b32 v8, s15, 4, v8
	s_waitcnt lgkmcnt(0)
	v_cmp_gt_i32_e32 vcc_lo, s0, v8
	s_and_b32 exec_lo, exec_lo, vcc_lo
	s_cbranch_execz .LBB269_29
; %bb.8:
	s_load_b256 s[4:11], s[2:3], 0x18
	v_ashrrev_i32_e32 v9, 31, v8
	v_and_b32_e32 v25, 7, v10
	s_cmp_lg_u32 s1, 0
	s_delay_alu instid0(VALU_DEP_2) | instskip(SKIP_1) | instid1(VALU_DEP_1)
	v_lshlrev_b64 v[11:12], 2, v[8:9]
	s_waitcnt lgkmcnt(0)
	v_add_co_u32 v11, vcc_lo, s4, v11
	s_delay_alu instid0(VALU_DEP_2) | instskip(SKIP_4) | instid1(VALU_DEP_2)
	v_add_co_ci_u32_e32 v12, vcc_lo, s5, v12, vcc_lo
	global_load_b64 v[12:13], v[11:12], off
	s_waitcnt vmcnt(0)
	v_subrev_nc_u32_e32 v9, s12, v12
	v_subrev_nc_u32_e32 v23, s12, v13
	v_add_nc_u32_e32 v11, v9, v25
	s_delay_alu instid0(VALU_DEP_1)
	v_cmp_lt_i32_e64 s0, v11, v23
	s_cbranch_scc0 .LBB269_16
; %bb.9:
	v_mov_b32_e32 v9, 0
	v_mov_b32_e32 v10, 0
	s_delay_alu instid0(VALU_DEP_1)
	v_dual_mov_b32 v18, v10 :: v_dual_mov_b32 v17, v9
	v_dual_mov_b32 v16, v10 :: v_dual_mov_b32 v15, v9
	;; [unrolled: 1-line block ×3, first 2 shown]
	s_and_saveexec_b32 s1, s0
	s_cbranch_execz .LBB269_15
; %bb.10:
	v_dual_mov_b32 v9, 0 :: v_dual_mov_b32 v20, 0
	v_dual_mov_b32 v10, 0 :: v_dual_mov_b32 v21, v11
	v_mul_lo_u32 v24, v11, 20
	s_mov_b32 s4, 0
	s_delay_alu instid0(VALU_DEP_2)
	v_dual_mov_b32 v18, v10 :: v_dual_mov_b32 v17, v9
	v_dual_mov_b32 v16, v10 :: v_dual_mov_b32 v15, v9
	;; [unrolled: 1-line block ×3, first 2 shown]
.LBB269_11:                             ; =>This Loop Header: Depth=1
                                        ;     Child Loop BB269_12 Depth 2
	v_ashrrev_i32_e32 v22, 31, v21
	s_mov_b32 s5, 0
	s_delay_alu instid0(VALU_DEP_1) | instskip(NEXT) | instid1(VALU_DEP_1)
	v_lshlrev_b64 v[26:27], 2, v[21:22]
	v_add_co_u32 v26, vcc_lo, s6, v26
	s_delay_alu instid0(VALU_DEP_2) | instskip(SKIP_3) | instid1(VALU_DEP_1)
	v_add_co_ci_u32_e32 v27, vcc_lo, s7, v27, vcc_lo
	global_load_b32 v19, v[26:27], off
	s_waitcnt vmcnt(0)
	v_subrev_nc_u32_e32 v19, s12, v19
	v_mul_lo_u32 v22, v19, 10
	v_mov_b32_e32 v19, v24
.LBB269_12:                             ;   Parent Loop BB269_11 Depth=1
                                        ; =>  This Inner Loop Header: Depth=2
	s_delay_alu instid0(VALU_DEP_2) | instskip(NEXT) | instid1(VALU_DEP_2)
	v_dual_mov_b32 v27, v20 :: v_dual_add_nc_u32 v26, s5, v22
	v_lshlrev_b64 v[28:29], 4, v[19:20]
	v_add_nc_u32_e32 v19, 4, v19
	s_add_i32 s5, s5, 2
	s_delay_alu instid0(VALU_DEP_3) | instskip(SKIP_1) | instid1(VALU_DEP_3)
	v_lshlrev_b64 v[26:27], 4, v[26:27]
	s_cmp_eq_u32 s5, 10
	v_add_co_u32 v46, vcc_lo, s8, v28
	v_add_co_ci_u32_e32 v47, vcc_lo, s9, v29, vcc_lo
	s_delay_alu instid0(VALU_DEP_3) | instskip(NEXT) | instid1(VALU_DEP_4)
	v_add_co_u32 v38, vcc_lo, s10, v26
	v_add_co_ci_u32_e32 v39, vcc_lo, s11, v27, vcc_lo
	s_clause 0x1
	global_load_b128 v[26:29], v[46:47], off offset:16
	global_load_b128 v[30:33], v[46:47], off
	s_clause 0x1
	global_load_b128 v[34:37], v[38:39], off
	global_load_b128 v[38:41], v[38:39], off offset:16
	s_clause 0x1
	global_load_b128 v[42:45], v[46:47], off offset:32
	global_load_b128 v[46:49], v[46:47], off offset:48
	s_waitcnt vmcnt(3)
	v_fma_f64 v[17:18], v[30:31], v[34:35], v[17:18]
	v_fma_f64 v[9:10], v[32:33], v[34:35], v[9:10]
	;; [unrolled: 1-line block ×4, first 2 shown]
	s_delay_alu instid0(VALU_DEP_4) | instskip(NEXT) | instid1(VALU_DEP_4)
	v_fma_f64 v[17:18], -v[32:33], v[36:37], v[17:18]
	v_fma_f64 v[9:10], v[30:31], v[36:37], v[9:10]
	s_delay_alu instid0(VALU_DEP_4) | instskip(NEXT) | instid1(VALU_DEP_4)
	v_fma_f64 v[15:16], -v[28:29], v[36:37], v[15:16]
	v_fma_f64 v[13:14], v[26:27], v[36:37], v[13:14]
	s_waitcnt vmcnt(1)
	s_delay_alu instid0(VALU_DEP_4) | instskip(NEXT) | instid1(VALU_DEP_4)
	v_fma_f64 v[17:18], v[42:43], v[38:39], v[17:18]
	v_fma_f64 v[9:10], v[44:45], v[38:39], v[9:10]
	s_waitcnt vmcnt(0)
	s_delay_alu instid0(VALU_DEP_4) | instskip(NEXT) | instid1(VALU_DEP_4)
	v_fma_f64 v[15:16], v[46:47], v[38:39], v[15:16]
	v_fma_f64 v[13:14], v[48:49], v[38:39], v[13:14]
	s_delay_alu instid0(VALU_DEP_4) | instskip(NEXT) | instid1(VALU_DEP_4)
	v_fma_f64 v[17:18], -v[44:45], v[40:41], v[17:18]
	v_fma_f64 v[9:10], v[42:43], v[40:41], v[9:10]
	s_delay_alu instid0(VALU_DEP_4) | instskip(NEXT) | instid1(VALU_DEP_4)
	v_fma_f64 v[15:16], -v[48:49], v[40:41], v[15:16]
	v_fma_f64 v[13:14], v[46:47], v[40:41], v[13:14]
	s_cbranch_scc0 .LBB269_12
; %bb.13:                               ;   in Loop: Header=BB269_11 Depth=1
	v_add_nc_u32_e32 v21, 8, v21
	v_add_nc_u32_e32 v24, 0xa0, v24
	s_delay_alu instid0(VALU_DEP_2) | instskip(SKIP_1) | instid1(SALU_CYCLE_1)
	v_cmp_ge_i32_e32 vcc_lo, v21, v23
	s_or_b32 s4, vcc_lo, s4
	s_and_not1_b32 exec_lo, exec_lo, s4
	s_cbranch_execnz .LBB269_11
; %bb.14:
	s_or_b32 exec_lo, exec_lo, s4
.LBB269_15:
	s_delay_alu instid0(SALU_CYCLE_1)
	s_or_b32 exec_lo, exec_lo, s1
	s_cbranch_execz .LBB269_17
	s_branch .LBB269_24
.LBB269_16:
                                        ; implicit-def: $vgpr9_vgpr10
                                        ; implicit-def: $vgpr17_vgpr18
                                        ; implicit-def: $vgpr15_vgpr16
                                        ; implicit-def: $vgpr13_vgpr14
.LBB269_17:
	v_mov_b32_e32 v9, 0
	v_mov_b32_e32 v10, 0
	s_delay_alu instid0(VALU_DEP_1)
	v_dual_mov_b32 v18, v10 :: v_dual_mov_b32 v17, v9
	v_dual_mov_b32 v16, v10 :: v_dual_mov_b32 v15, v9
	;; [unrolled: 1-line block ×3, first 2 shown]
	s_and_saveexec_b32 s1, s0
	s_cbranch_execz .LBB269_23
; %bb.18:
	v_mul_lo_u32 v12, v12, 20
	v_dual_mov_b32 v9, 0 :: v_dual_mov_b32 v20, 0
	v_mov_b32_e32 v10, 0
	v_mul_lo_u32 v21, v11, 20
	s_mul_i32 s0, s12, 20
	s_delay_alu instid0(VALU_DEP_2) | instskip(SKIP_3) | instid1(VALU_DEP_3)
	v_dual_mov_b32 v18, v10 :: v_dual_mov_b32 v17, v9
	v_mad_u32_u24 v12, v25, 20, v12
	v_dual_mov_b32 v16, v10 :: v_dual_mov_b32 v15, v9
	v_dual_mov_b32 v14, v10 :: v_dual_mov_b32 v13, v9
	v_subrev_nc_u32_e32 v22, s0, v12
	s_mov_b32 s0, 0
.LBB269_19:                             ; =>This Loop Header: Depth=1
                                        ;     Child Loop BB269_20 Depth 2
	v_ashrrev_i32_e32 v12, 31, v11
	s_mov_b32 s4, 0
	s_delay_alu instid0(VALU_DEP_1) | instskip(NEXT) | instid1(VALU_DEP_1)
	v_lshlrev_b64 v[26:27], 2, v[11:12]
	v_add_co_u32 v26, vcc_lo, s6, v26
	s_delay_alu instid0(VALU_DEP_2) | instskip(SKIP_3) | instid1(VALU_DEP_1)
	v_add_co_ci_u32_e32 v27, vcc_lo, s7, v27, vcc_lo
	global_load_b32 v12, v[26:27], off
	s_waitcnt vmcnt(0)
	v_subrev_nc_u32_e32 v12, s12, v12
	v_mul_lo_u32 v12, v12, 10
.LBB269_20:                             ;   Parent Loop BB269_19 Depth=1
                                        ; =>  This Inner Loop Header: Depth=2
	v_add_nc_u32_e32 v19, s4, v22
	s_delay_alu instid0(VALU_DEP_1) | instskip(NEXT) | instid1(VALU_DEP_3)
	v_lshlrev_b64 v[26:27], 4, v[19:20]
	v_add_nc_u32_e32 v19, s4, v12
	s_delay_alu instid0(VALU_DEP_1) | instskip(SKIP_1) | instid1(VALU_DEP_4)
	v_lshlrev_b64 v[30:31], 4, v[19:20]
	v_add3_u32 v19, v21, s4, 10
	v_add_co_u32 v32, vcc_lo, s8, v26
	v_add_co_ci_u32_e32 v33, vcc_lo, s9, v27, vcc_lo
	s_delay_alu instid0(VALU_DEP_3)
	v_lshlrev_b64 v[34:35], 4, v[19:20]
	v_add_co_u32 v38, vcc_lo, s10, v30
	v_add_co_ci_u32_e32 v39, vcc_lo, s11, v31, vcc_lo
	global_load_b128 v[26:29], v[32:33], off offset:16
	v_add_co_u32 v46, vcc_lo, s8, v34
	v_add_co_ci_u32_e32 v47, vcc_lo, s9, v35, vcc_lo
	global_load_b128 v[30:33], v[32:33], off
	s_clause 0x1
	global_load_b128 v[34:37], v[38:39], off
	global_load_b128 v[38:41], v[38:39], off offset:16
	s_clause 0x1
	global_load_b128 v[42:45], v[46:47], off
	global_load_b128 v[46:49], v[46:47], off offset:16
	s_add_i32 s4, s4, 2
	s_delay_alu instid0(SALU_CYCLE_1)
	s_cmp_eq_u32 s4, 10
	s_waitcnt vmcnt(3)
	v_fma_f64 v[17:18], v[30:31], v[34:35], v[17:18]
	v_fma_f64 v[9:10], v[32:33], v[34:35], v[9:10]
	s_waitcnt vmcnt(1)
	v_fma_f64 v[15:16], v[42:43], v[34:35], v[15:16]
	v_fma_f64 v[13:14], v[44:45], v[34:35], v[13:14]
	s_delay_alu instid0(VALU_DEP_4) | instskip(NEXT) | instid1(VALU_DEP_4)
	v_fma_f64 v[17:18], -v[32:33], v[36:37], v[17:18]
	v_fma_f64 v[9:10], v[30:31], v[36:37], v[9:10]
	s_delay_alu instid0(VALU_DEP_4) | instskip(NEXT) | instid1(VALU_DEP_4)
	v_fma_f64 v[15:16], -v[44:45], v[36:37], v[15:16]
	v_fma_f64 v[13:14], v[42:43], v[36:37], v[13:14]
	s_delay_alu instid0(VALU_DEP_4) | instskip(NEXT) | instid1(VALU_DEP_4)
	v_fma_f64 v[17:18], v[26:27], v[38:39], v[17:18]
	v_fma_f64 v[9:10], v[28:29], v[38:39], v[9:10]
	s_waitcnt vmcnt(0)
	s_delay_alu instid0(VALU_DEP_4) | instskip(NEXT) | instid1(VALU_DEP_4)
	v_fma_f64 v[15:16], v[46:47], v[38:39], v[15:16]
	v_fma_f64 v[13:14], v[48:49], v[38:39], v[13:14]
	s_delay_alu instid0(VALU_DEP_4) | instskip(NEXT) | instid1(VALU_DEP_4)
	v_fma_f64 v[17:18], -v[28:29], v[40:41], v[17:18]
	v_fma_f64 v[9:10], v[26:27], v[40:41], v[9:10]
	s_delay_alu instid0(VALU_DEP_4) | instskip(NEXT) | instid1(VALU_DEP_4)
	v_fma_f64 v[15:16], -v[48:49], v[40:41], v[15:16]
	v_fma_f64 v[13:14], v[46:47], v[40:41], v[13:14]
	s_cbranch_scc0 .LBB269_20
; %bb.21:                               ;   in Loop: Header=BB269_19 Depth=1
	v_add_nc_u32_e32 v11, 8, v11
	v_add_nc_u32_e32 v21, 0xa0, v21
	v_add_nc_u32_e32 v22, 0xa0, v22
	s_delay_alu instid0(VALU_DEP_3) | instskip(SKIP_1) | instid1(SALU_CYCLE_1)
	v_cmp_ge_i32_e32 vcc_lo, v11, v23
	s_or_b32 s0, vcc_lo, s0
	s_and_not1_b32 exec_lo, exec_lo, s0
	s_cbranch_execnz .LBB269_19
; %bb.22:
	s_or_b32 exec_lo, exec_lo, s0
.LBB269_23:
	s_delay_alu instid0(SALU_CYCLE_1)
	s_or_b32 exec_lo, exec_lo, s1
.LBB269_24:
	v_mbcnt_lo_u32_b32 v26, -1, 0
	s_delay_alu instid0(VALU_DEP_1) | instskip(NEXT) | instid1(VALU_DEP_1)
	v_xor_b32_e32 v11, 4, v26
	v_cmp_gt_i32_e32 vcc_lo, 32, v11
	v_cndmask_b32_e32 v11, v26, v11, vcc_lo
	s_delay_alu instid0(VALU_DEP_1)
	v_lshlrev_b32_e32 v24, 2, v11
	ds_bpermute_b32 v11, v24, v17
	ds_bpermute_b32 v12, v24, v18
	;; [unrolled: 1-line block ×4, first 2 shown]
	s_waitcnt lgkmcnt(2)
	v_add_f64 v[11:12], v[17:18], v[11:12]
	s_waitcnt lgkmcnt(0)
	v_add_f64 v[17:18], v[9:10], v[19:20]
	v_xor_b32_e32 v9, 2, v26
	s_delay_alu instid0(VALU_DEP_1)
	v_cmp_gt_i32_e32 vcc_lo, 32, v9
	v_cndmask_b32_e32 v9, v26, v9, vcc_lo
	ds_bpermute_b32 v21, v24, v15
	ds_bpermute_b32 v22, v24, v16
	ds_bpermute_b32 v23, v24, v13
	ds_bpermute_b32 v24, v24, v14
	s_waitcnt lgkmcnt(2)
	v_add_f64 v[19:20], v[15:16], v[21:22]
	s_waitcnt lgkmcnt(0)
	v_add_f64 v[13:14], v[13:14], v[23:24]
	v_lshlrev_b32_e32 v24, 2, v9
	ds_bpermute_b32 v9, v24, v11
	ds_bpermute_b32 v10, v24, v12
	;; [unrolled: 1-line block ×4, first 2 shown]
	s_waitcnt lgkmcnt(2)
	v_add_f64 v[9:10], v[11:12], v[9:10]
	s_waitcnt lgkmcnt(0)
	v_add_f64 v[15:16], v[17:18], v[15:16]
	v_xor_b32_e32 v17, 1, v26
	s_delay_alu instid0(VALU_DEP_1)
	v_cmp_gt_i32_e32 vcc_lo, 32, v17
	ds_bpermute_b32 v21, v24, v19
	ds_bpermute_b32 v22, v24, v20
	;; [unrolled: 1-line block ×4, first 2 shown]
	v_cndmask_b32_e32 v17, v26, v17, vcc_lo
	v_cmp_eq_u32_e32 vcc_lo, 7, v25
	s_waitcnt lgkmcnt(2)
	v_add_f64 v[11:12], v[19:20], v[21:22]
	s_delay_alu instid0(VALU_DEP_3)
	v_lshlrev_b32_e32 v20, 2, v17
	s_waitcnt lgkmcnt(0)
	v_add_f64 v[13:14], v[13:14], v[23:24]
	ds_bpermute_b32 v23, v20, v9
	ds_bpermute_b32 v24, v20, v10
	;; [unrolled: 1-line block ×8, first 2 shown]
	s_and_b32 exec_lo, exec_lo, vcc_lo
	s_cbranch_execz .LBB269_29
; %bb.25:
	v_cmp_eq_f64_e32 vcc_lo, 0, v[4:5]
	v_cmp_eq_f64_e64 s0, 0, v[6:7]
	s_waitcnt lgkmcnt(6)
	v_add_f64 v[9:10], v[9:10], v[23:24]
	s_waitcnt lgkmcnt(4)
	v_add_f64 v[15:16], v[15:16], v[21:22]
	;; [unrolled: 2-line block ×4, first 2 shown]
	s_load_b64 s[2:3], s[2:3], 0x48
	s_and_b32 s0, vcc_lo, s0
	s_delay_alu instid0(SALU_CYCLE_1) | instskip(NEXT) | instid1(SALU_CYCLE_1)
	s_and_saveexec_b32 s1, s0
	s_xor_b32 s0, exec_lo, s1
	s_cbranch_execz .LBB269_27
; %bb.26:
	s_delay_alu instid0(VALU_DEP_3) | instskip(SKIP_1) | instid1(VALU_DEP_3)
	v_mul_f64 v[4:5], v[15:16], -v[2:3]
	v_mul_f64 v[6:7], v[0:1], v[15:16]
	v_mul_f64 v[15:16], v[13:14], -v[2:3]
	v_mul_f64 v[13:14], v[0:1], v[13:14]
	v_lshlrev_b32_e32 v8, 1, v8
	v_fma_f64 v[4:5], v[0:1], v[9:10], v[4:5]
	v_fma_f64 v[6:7], v[2:3], v[9:10], v[6:7]
	;; [unrolled: 1-line block ×4, first 2 shown]
	v_ashrrev_i32_e32 v9, 31, v8
                                        ; implicit-def: $vgpr15_vgpr16
                                        ; implicit-def: $vgpr11_vgpr12
                                        ; implicit-def: $vgpr13_vgpr14
	s_delay_alu instid0(VALU_DEP_1) | instskip(SKIP_1) | instid1(VALU_DEP_1)
	v_lshlrev_b64 v[8:9], 4, v[8:9]
	s_waitcnt lgkmcnt(0)
	v_add_co_u32 v8, vcc_lo, s2, v8
	s_delay_alu instid0(VALU_DEP_2)
	v_add_co_ci_u32_e32 v9, vcc_lo, s3, v9, vcc_lo
	s_clause 0x1
	global_store_b128 v[8:9], v[4:7], off
	global_store_b128 v[8:9], v[0:3], off offset:16
                                        ; implicit-def: $vgpr0_vgpr1
                                        ; implicit-def: $vgpr2_vgpr3
                                        ; implicit-def: $vgpr4_vgpr5
                                        ; implicit-def: $vgpr6_vgpr7
                                        ; implicit-def: $vgpr8
                                        ; implicit-def: $vgpr9_vgpr10
.LBB269_27:
	s_and_not1_saveexec_b32 s0, s0
	s_cbranch_execz .LBB269_29
; %bb.28:
	v_lshlrev_b32_e32 v17, 1, v8
	s_delay_alu instid0(VALU_DEP_4) | instskip(SKIP_1) | instid1(VALU_DEP_4)
	v_mul_f64 v[27:28], v[15:16], -v[2:3]
	v_mul_f64 v[15:16], v[0:1], v[15:16]
	v_mul_f64 v[29:30], v[13:14], -v[2:3]
	v_mul_f64 v[13:14], v[0:1], v[13:14]
	v_ashrrev_i32_e32 v18, 31, v17
	s_delay_alu instid0(VALU_DEP_1) | instskip(SKIP_1) | instid1(VALU_DEP_1)
	v_lshlrev_b64 v[17:18], 4, v[17:18]
	s_waitcnt lgkmcnt(0)
	v_add_co_u32 v25, vcc_lo, s2, v17
	s_delay_alu instid0(VALU_DEP_2)
	v_add_co_ci_u32_e32 v26, vcc_lo, s3, v18, vcc_lo
	s_clause 0x1
	global_load_b128 v[17:20], v[25:26], off
	global_load_b128 v[21:24], v[25:26], off offset:16
	v_fma_f64 v[27:28], v[0:1], v[9:10], v[27:28]
	v_fma_f64 v[8:9], v[2:3], v[9:10], v[15:16]
	;; [unrolled: 1-line block ×4, first 2 shown]
	s_waitcnt vmcnt(1)
	s_delay_alu instid0(VALU_DEP_4) | instskip(NEXT) | instid1(VALU_DEP_4)
	v_fma_f64 v[10:11], v[4:5], v[17:18], v[27:28]
	v_fma_f64 v[8:9], v[6:7], v[17:18], v[8:9]
	s_waitcnt vmcnt(0)
	s_delay_alu instid0(VALU_DEP_4) | instskip(NEXT) | instid1(VALU_DEP_4)
	v_fma_f64 v[12:13], v[4:5], v[21:22], v[0:1]
	v_fma_f64 v[14:15], v[6:7], v[21:22], v[2:3]
	s_delay_alu instid0(VALU_DEP_4) | instskip(NEXT) | instid1(VALU_DEP_4)
	v_fma_f64 v[0:1], -v[6:7], v[19:20], v[10:11]
	v_fma_f64 v[2:3], v[4:5], v[19:20], v[8:9]
	s_delay_alu instid0(VALU_DEP_4) | instskip(NEXT) | instid1(VALU_DEP_4)
	v_fma_f64 v[6:7], -v[6:7], v[23:24], v[12:13]
	v_fma_f64 v[8:9], v[4:5], v[23:24], v[14:15]
	s_clause 0x1
	global_store_b128 v[25:26], v[0:3], off
	global_store_b128 v[25:26], v[6:9], off offset:16
.LBB269_29:
	s_nop 0
	s_sendmsg sendmsg(MSG_DEALLOC_VGPRS)
	s_endpgm
	.section	.rodata,"a",@progbits
	.p2align	6, 0x0
	.amdhsa_kernel _ZN9rocsparseL19gebsrmvn_2xn_kernelILj128ELj10ELj8E21rocsparse_complex_numIdEEEvi20rocsparse_direction_NS_24const_host_device_scalarIT2_EEPKiS8_PKS5_SA_S6_PS5_21rocsparse_index_base_b
		.amdhsa_group_segment_fixed_size 2048
		.amdhsa_private_segment_fixed_size 0
		.amdhsa_kernarg_size 88
		.amdhsa_user_sgpr_count 15
		.amdhsa_user_sgpr_dispatch_ptr 1
		.amdhsa_user_sgpr_queue_ptr 0
		.amdhsa_user_sgpr_kernarg_segment_ptr 1
		.amdhsa_user_sgpr_dispatch_id 0
		.amdhsa_user_sgpr_private_segment_size 0
		.amdhsa_wavefront_size32 1
		.amdhsa_uses_dynamic_stack 0
		.amdhsa_enable_private_segment 0
		.amdhsa_system_sgpr_workgroup_id_x 1
		.amdhsa_system_sgpr_workgroup_id_y 0
		.amdhsa_system_sgpr_workgroup_id_z 0
		.amdhsa_system_sgpr_workgroup_info 0
		.amdhsa_system_vgpr_workitem_id 2
		.amdhsa_next_free_vgpr 50
		.amdhsa_next_free_sgpr 18
		.amdhsa_reserve_vcc 1
		.amdhsa_float_round_mode_32 0
		.amdhsa_float_round_mode_16_64 0
		.amdhsa_float_denorm_mode_32 3
		.amdhsa_float_denorm_mode_16_64 3
		.amdhsa_dx10_clamp 1
		.amdhsa_ieee_mode 1
		.amdhsa_fp16_overflow 0
		.amdhsa_workgroup_processor_mode 1
		.amdhsa_memory_ordered 1
		.amdhsa_forward_progress 0
		.amdhsa_shared_vgpr_count 0
		.amdhsa_exception_fp_ieee_invalid_op 0
		.amdhsa_exception_fp_denorm_src 0
		.amdhsa_exception_fp_ieee_div_zero 0
		.amdhsa_exception_fp_ieee_overflow 0
		.amdhsa_exception_fp_ieee_underflow 0
		.amdhsa_exception_fp_ieee_inexact 0
		.amdhsa_exception_int_div_zero 0
	.end_amdhsa_kernel
	.section	.text._ZN9rocsparseL19gebsrmvn_2xn_kernelILj128ELj10ELj8E21rocsparse_complex_numIdEEEvi20rocsparse_direction_NS_24const_host_device_scalarIT2_EEPKiS8_PKS5_SA_S6_PS5_21rocsparse_index_base_b,"axG",@progbits,_ZN9rocsparseL19gebsrmvn_2xn_kernelILj128ELj10ELj8E21rocsparse_complex_numIdEEEvi20rocsparse_direction_NS_24const_host_device_scalarIT2_EEPKiS8_PKS5_SA_S6_PS5_21rocsparse_index_base_b,comdat
.Lfunc_end269:
	.size	_ZN9rocsparseL19gebsrmvn_2xn_kernelILj128ELj10ELj8E21rocsparse_complex_numIdEEEvi20rocsparse_direction_NS_24const_host_device_scalarIT2_EEPKiS8_PKS5_SA_S6_PS5_21rocsparse_index_base_b, .Lfunc_end269-_ZN9rocsparseL19gebsrmvn_2xn_kernelILj128ELj10ELj8E21rocsparse_complex_numIdEEEvi20rocsparse_direction_NS_24const_host_device_scalarIT2_EEPKiS8_PKS5_SA_S6_PS5_21rocsparse_index_base_b
                                        ; -- End function
	.section	.AMDGPU.csdata,"",@progbits
; Kernel info:
; codeLenInByte = 2388
; NumSgprs: 20
; NumVgprs: 50
; ScratchSize: 0
; MemoryBound: 0
; FloatMode: 240
; IeeeMode: 1
; LDSByteSize: 2048 bytes/workgroup (compile time only)
; SGPRBlocks: 2
; VGPRBlocks: 6
; NumSGPRsForWavesPerEU: 20
; NumVGPRsForWavesPerEU: 50
; Occupancy: 16
; WaveLimiterHint : 1
; COMPUTE_PGM_RSRC2:SCRATCH_EN: 0
; COMPUTE_PGM_RSRC2:USER_SGPR: 15
; COMPUTE_PGM_RSRC2:TRAP_HANDLER: 0
; COMPUTE_PGM_RSRC2:TGID_X_EN: 1
; COMPUTE_PGM_RSRC2:TGID_Y_EN: 0
; COMPUTE_PGM_RSRC2:TGID_Z_EN: 0
; COMPUTE_PGM_RSRC2:TIDIG_COMP_CNT: 2
	.section	.text._ZN9rocsparseL19gebsrmvn_2xn_kernelILj128ELj10ELj16E21rocsparse_complex_numIdEEEvi20rocsparse_direction_NS_24const_host_device_scalarIT2_EEPKiS8_PKS5_SA_S6_PS5_21rocsparse_index_base_b,"axG",@progbits,_ZN9rocsparseL19gebsrmvn_2xn_kernelILj128ELj10ELj16E21rocsparse_complex_numIdEEEvi20rocsparse_direction_NS_24const_host_device_scalarIT2_EEPKiS8_PKS5_SA_S6_PS5_21rocsparse_index_base_b,comdat
	.globl	_ZN9rocsparseL19gebsrmvn_2xn_kernelILj128ELj10ELj16E21rocsparse_complex_numIdEEEvi20rocsparse_direction_NS_24const_host_device_scalarIT2_EEPKiS8_PKS5_SA_S6_PS5_21rocsparse_index_base_b ; -- Begin function _ZN9rocsparseL19gebsrmvn_2xn_kernelILj128ELj10ELj16E21rocsparse_complex_numIdEEEvi20rocsparse_direction_NS_24const_host_device_scalarIT2_EEPKiS8_PKS5_SA_S6_PS5_21rocsparse_index_base_b
	.p2align	8
	.type	_ZN9rocsparseL19gebsrmvn_2xn_kernelILj128ELj10ELj16E21rocsparse_complex_numIdEEEvi20rocsparse_direction_NS_24const_host_device_scalarIT2_EEPKiS8_PKS5_SA_S6_PS5_21rocsparse_index_base_b,@function
_ZN9rocsparseL19gebsrmvn_2xn_kernelILj128ELj10ELj16E21rocsparse_complex_numIdEEEvi20rocsparse_direction_NS_24const_host_device_scalarIT2_EEPKiS8_PKS5_SA_S6_PS5_21rocsparse_index_base_b: ; @_ZN9rocsparseL19gebsrmvn_2xn_kernelILj128ELj10ELj16E21rocsparse_complex_numIdEEEvi20rocsparse_direction_NS_24const_host_device_scalarIT2_EEPKiS8_PKS5_SA_S6_PS5_21rocsparse_index_base_b
; %bb.0:
	s_load_b64 s[12:13], s[2:3], 0x50
	s_load_b64 s[16:17], s[0:1], 0x4
	s_load_b128 s[8:11], s[2:3], 0x8
	v_bfe_u32 v1, v0, 10, 10
	s_mov_b64 s[0:1], src_shared_base
	s_load_b128 s[4:7], s[2:3], 0x38
	v_and_b32_e32 v10, 0x3ff, v0
	v_bfe_u32 v0, v0, 20, 10
	s_waitcnt lgkmcnt(0)
	s_bitcmp1_b32 s13, 0
	v_mul_u32_u24_e32 v1, s17, v1
	s_cselect_b32 s0, -1, 0
	s_delay_alu instid0(SALU_CYCLE_1)
	s_and_b32 vcc_lo, s0, exec_lo
	s_cselect_b32 s13, s1, s9
	s_lshr_b32 s14, s16, 16
	v_dual_mov_b32 v2, s4 :: v_dual_mov_b32 v3, s5
	s_mul_i32 s14, s14, s17
	v_mov_b32_e32 v6, s13
	v_mad_u32_u24 v1, s14, v10, v1
	s_delay_alu instid0(VALU_DEP_1) | instskip(SKIP_1) | instid1(VALU_DEP_2)
	v_add_lshl_u32 v4, v1, v0, 3
	v_dual_mov_b32 v0, s8 :: v_dual_mov_b32 v1, s9
	v_add_nc_u32_e32 v5, 0x400, v4
	ds_store_2addr_stride64_b64 v4, v[2:3], v[0:1] offset1:2
	v_dual_mov_b32 v2, s10 :: v_dual_mov_b32 v3, s11
	v_cndmask_b32_e64 v5, s8, v5, s0
	s_xor_b32 s10, s0, -1
	flat_load_b64 v[0:1], v[5:6]
	s_cbranch_vccnz .LBB270_2
; %bb.1:
	v_dual_mov_b32 v2, s8 :: v_dual_mov_b32 v3, s9
	flat_load_b64 v[2:3], v[2:3] offset:8
.LBB270_2:
	s_and_b32 s8, s0, exec_lo
	s_cselect_b32 s1, s1, s5
	v_cndmask_b32_e64 v4, s4, v4, s0
	v_dual_mov_b32 v5, s1 :: v_dual_mov_b32 v6, s6
	v_mov_b32_e32 v7, s7
	s_and_not1_b32 vcc_lo, exec_lo, s10
	flat_load_b64 v[4:5], v[4:5]
	s_cbranch_vccnz .LBB270_4
; %bb.3:
	v_dual_mov_b32 v7, s5 :: v_dual_mov_b32 v6, s4
	flat_load_b64 v[6:7], v[6:7] offset:8
.LBB270_4:
	s_waitcnt vmcnt(1) lgkmcnt(1)
	v_cmp_eq_f64_e32 vcc_lo, 0, v[0:1]
	v_cmp_eq_f64_e64 s0, 0, v[2:3]
	s_delay_alu instid0(VALU_DEP_1)
	s_and_b32 s4, vcc_lo, s0
	s_mov_b32 s0, -1
	s_and_saveexec_b32 s1, s4
	s_cbranch_execz .LBB270_6
; %bb.5:
	s_waitcnt vmcnt(0) lgkmcnt(0)
	v_cmp_neq_f64_e32 vcc_lo, 1.0, v[4:5]
	v_cmp_neq_f64_e64 s0, 0, v[6:7]
	s_delay_alu instid0(VALU_DEP_1) | instskip(NEXT) | instid1(SALU_CYCLE_1)
	s_or_b32 s0, vcc_lo, s0
	s_or_not1_b32 s0, s0, exec_lo
.LBB270_6:
	s_or_b32 exec_lo, exec_lo, s1
	s_and_saveexec_b32 s1, s0
	s_cbranch_execz .LBB270_29
; %bb.7:
	s_load_b64 s[0:1], s[2:3], 0x0
	v_lshrrev_b32_e32 v8, 4, v10
	s_delay_alu instid0(VALU_DEP_1) | instskip(SKIP_1) | instid1(VALU_DEP_1)
	v_lshl_or_b32 v8, s15, 3, v8
	s_waitcnt lgkmcnt(0)
	v_cmp_gt_i32_e32 vcc_lo, s0, v8
	s_and_b32 exec_lo, exec_lo, vcc_lo
	s_cbranch_execz .LBB270_29
; %bb.8:
	s_load_b256 s[4:11], s[2:3], 0x18
	v_ashrrev_i32_e32 v9, 31, v8
	v_and_b32_e32 v25, 15, v10
	s_cmp_lg_u32 s1, 0
	s_delay_alu instid0(VALU_DEP_2) | instskip(SKIP_1) | instid1(VALU_DEP_1)
	v_lshlrev_b64 v[11:12], 2, v[8:9]
	s_waitcnt lgkmcnt(0)
	v_add_co_u32 v11, vcc_lo, s4, v11
	s_delay_alu instid0(VALU_DEP_2) | instskip(SKIP_4) | instid1(VALU_DEP_2)
	v_add_co_ci_u32_e32 v12, vcc_lo, s5, v12, vcc_lo
	global_load_b64 v[18:19], v[11:12], off
	s_waitcnt vmcnt(0)
	v_subrev_nc_u32_e32 v9, s12, v18
	v_subrev_nc_u32_e32 v23, s12, v19
	v_add_nc_u32_e32 v17, v9, v25
	s_delay_alu instid0(VALU_DEP_1)
	v_cmp_lt_i32_e64 s0, v17, v23
	s_cbranch_scc0 .LBB270_16
; %bb.9:
	v_mov_b32_e32 v9, 0
	v_mov_b32_e32 v10, 0
	s_delay_alu instid0(VALU_DEP_1)
	v_dual_mov_b32 v16, v10 :: v_dual_mov_b32 v15, v9
	v_dual_mov_b32 v14, v10 :: v_dual_mov_b32 v13, v9
	;; [unrolled: 1-line block ×3, first 2 shown]
	s_and_saveexec_b32 s1, s0
	s_cbranch_execz .LBB270_15
; %bb.10:
	v_dual_mov_b32 v9, 0 :: v_dual_mov_b32 v20, 0
	v_dual_mov_b32 v10, 0 :: v_dual_mov_b32 v21, v17
	v_mul_lo_u32 v24, v17, 20
	s_mov_b32 s4, 0
	s_delay_alu instid0(VALU_DEP_2)
	v_dual_mov_b32 v16, v10 :: v_dual_mov_b32 v15, v9
	v_dual_mov_b32 v14, v10 :: v_dual_mov_b32 v13, v9
	;; [unrolled: 1-line block ×3, first 2 shown]
.LBB270_11:                             ; =>This Loop Header: Depth=1
                                        ;     Child Loop BB270_12 Depth 2
	v_ashrrev_i32_e32 v22, 31, v21
	s_mov_b32 s5, 0
	s_delay_alu instid0(VALU_DEP_1) | instskip(NEXT) | instid1(VALU_DEP_1)
	v_lshlrev_b64 v[26:27], 2, v[21:22]
	v_add_co_u32 v26, vcc_lo, s6, v26
	s_delay_alu instid0(VALU_DEP_2) | instskip(SKIP_3) | instid1(VALU_DEP_1)
	v_add_co_ci_u32_e32 v27, vcc_lo, s7, v27, vcc_lo
	global_load_b32 v19, v[26:27], off
	s_waitcnt vmcnt(0)
	v_subrev_nc_u32_e32 v19, s12, v19
	v_mul_lo_u32 v22, v19, 10
	v_mov_b32_e32 v19, v24
.LBB270_12:                             ;   Parent Loop BB270_11 Depth=1
                                        ; =>  This Inner Loop Header: Depth=2
	s_delay_alu instid0(VALU_DEP_2) | instskip(NEXT) | instid1(VALU_DEP_2)
	v_dual_mov_b32 v27, v20 :: v_dual_add_nc_u32 v26, s5, v22
	v_lshlrev_b64 v[28:29], 4, v[19:20]
	v_add_nc_u32_e32 v19, 4, v19
	s_add_i32 s5, s5, 2
	s_delay_alu instid0(VALU_DEP_3) | instskip(SKIP_1) | instid1(VALU_DEP_3)
	v_lshlrev_b64 v[26:27], 4, v[26:27]
	s_cmp_eq_u32 s5, 10
	v_add_co_u32 v46, vcc_lo, s8, v28
	v_add_co_ci_u32_e32 v47, vcc_lo, s9, v29, vcc_lo
	s_delay_alu instid0(VALU_DEP_3) | instskip(NEXT) | instid1(VALU_DEP_4)
	v_add_co_u32 v38, vcc_lo, s10, v26
	v_add_co_ci_u32_e32 v39, vcc_lo, s11, v27, vcc_lo
	s_clause 0x1
	global_load_b128 v[26:29], v[46:47], off offset:16
	global_load_b128 v[30:33], v[46:47], off
	s_clause 0x1
	global_load_b128 v[34:37], v[38:39], off
	global_load_b128 v[38:41], v[38:39], off offset:16
	s_clause 0x1
	global_load_b128 v[42:45], v[46:47], off offset:32
	global_load_b128 v[46:49], v[46:47], off offset:48
	s_waitcnt vmcnt(3)
	v_fma_f64 v[15:16], v[30:31], v[34:35], v[15:16]
	v_fma_f64 v[9:10], v[32:33], v[34:35], v[9:10]
	;; [unrolled: 1-line block ×4, first 2 shown]
	s_delay_alu instid0(VALU_DEP_4) | instskip(NEXT) | instid1(VALU_DEP_4)
	v_fma_f64 v[15:16], -v[32:33], v[36:37], v[15:16]
	v_fma_f64 v[9:10], v[30:31], v[36:37], v[9:10]
	s_delay_alu instid0(VALU_DEP_4) | instskip(NEXT) | instid1(VALU_DEP_4)
	v_fma_f64 v[13:14], -v[28:29], v[36:37], v[13:14]
	v_fma_f64 v[11:12], v[26:27], v[36:37], v[11:12]
	s_waitcnt vmcnt(1)
	s_delay_alu instid0(VALU_DEP_4) | instskip(NEXT) | instid1(VALU_DEP_4)
	v_fma_f64 v[15:16], v[42:43], v[38:39], v[15:16]
	v_fma_f64 v[9:10], v[44:45], v[38:39], v[9:10]
	s_waitcnt vmcnt(0)
	s_delay_alu instid0(VALU_DEP_4) | instskip(NEXT) | instid1(VALU_DEP_4)
	v_fma_f64 v[13:14], v[46:47], v[38:39], v[13:14]
	v_fma_f64 v[11:12], v[48:49], v[38:39], v[11:12]
	s_delay_alu instid0(VALU_DEP_4) | instskip(NEXT) | instid1(VALU_DEP_4)
	v_fma_f64 v[15:16], -v[44:45], v[40:41], v[15:16]
	v_fma_f64 v[9:10], v[42:43], v[40:41], v[9:10]
	s_delay_alu instid0(VALU_DEP_4) | instskip(NEXT) | instid1(VALU_DEP_4)
	v_fma_f64 v[13:14], -v[48:49], v[40:41], v[13:14]
	v_fma_f64 v[11:12], v[46:47], v[40:41], v[11:12]
	s_cbranch_scc0 .LBB270_12
; %bb.13:                               ;   in Loop: Header=BB270_11 Depth=1
	v_add_nc_u32_e32 v21, 16, v21
	v_add_nc_u32_e32 v24, 0x140, v24
	s_delay_alu instid0(VALU_DEP_2) | instskip(SKIP_1) | instid1(SALU_CYCLE_1)
	v_cmp_ge_i32_e32 vcc_lo, v21, v23
	s_or_b32 s4, vcc_lo, s4
	s_and_not1_b32 exec_lo, exec_lo, s4
	s_cbranch_execnz .LBB270_11
; %bb.14:
	s_or_b32 exec_lo, exec_lo, s4
.LBB270_15:
	s_delay_alu instid0(SALU_CYCLE_1)
	s_or_b32 exec_lo, exec_lo, s1
	s_cbranch_execz .LBB270_17
	s_branch .LBB270_24
.LBB270_16:
                                        ; implicit-def: $vgpr9_vgpr10
                                        ; implicit-def: $vgpr15_vgpr16
                                        ; implicit-def: $vgpr13_vgpr14
                                        ; implicit-def: $vgpr11_vgpr12
.LBB270_17:
	v_mov_b32_e32 v9, 0
	v_mov_b32_e32 v10, 0
	s_delay_alu instid0(VALU_DEP_1)
	v_dual_mov_b32 v16, v10 :: v_dual_mov_b32 v15, v9
	v_dual_mov_b32 v14, v10 :: v_dual_mov_b32 v13, v9
	;; [unrolled: 1-line block ×3, first 2 shown]
	s_and_saveexec_b32 s1, s0
	s_cbranch_execz .LBB270_23
; %bb.18:
	v_mul_lo_u32 v11, v18, 20
	v_mov_b32_e32 v9, 0
	v_dual_mov_b32 v10, 0 :: v_dual_mov_b32 v19, 0
	v_mul_lo_u32 v20, v17, 20
	s_mul_i32 s0, s12, 20
	s_delay_alu instid0(VALU_DEP_2) | instskip(SKIP_2) | instid1(VALU_DEP_2)
	v_dual_mov_b32 v16, v10 :: v_dual_mov_b32 v15, v9
	v_mad_u32_u24 v11, v25, 20, v11
	v_dual_mov_b32 v14, v10 :: v_dual_mov_b32 v13, v9
	v_subrev_nc_u32_e32 v21, s0, v11
	v_dual_mov_b32 v12, v10 :: v_dual_mov_b32 v11, v9
	s_mov_b32 s0, 0
.LBB270_19:                             ; =>This Loop Header: Depth=1
                                        ;     Child Loop BB270_20 Depth 2
	v_ashrrev_i32_e32 v18, 31, v17
	s_mov_b32 s4, 0
	s_delay_alu instid0(VALU_DEP_1) | instskip(NEXT) | instid1(VALU_DEP_1)
	v_lshlrev_b64 v[26:27], 2, v[17:18]
	v_add_co_u32 v26, vcc_lo, s6, v26
	s_delay_alu instid0(VALU_DEP_2) | instskip(SKIP_3) | instid1(VALU_DEP_1)
	v_add_co_ci_u32_e32 v27, vcc_lo, s7, v27, vcc_lo
	global_load_b32 v18, v[26:27], off
	s_waitcnt vmcnt(0)
	v_subrev_nc_u32_e32 v18, s12, v18
	v_mul_lo_u32 v22, v18, 10
.LBB270_20:                             ;   Parent Loop BB270_19 Depth=1
                                        ; =>  This Inner Loop Header: Depth=2
	v_add_nc_u32_e32 v18, s4, v21
	s_delay_alu instid0(VALU_DEP_1) | instskip(NEXT) | instid1(VALU_DEP_3)
	v_lshlrev_b64 v[26:27], 4, v[18:19]
	v_add_nc_u32_e32 v18, s4, v22
	s_delay_alu instid0(VALU_DEP_1) | instskip(SKIP_1) | instid1(VALU_DEP_4)
	v_lshlrev_b64 v[30:31], 4, v[18:19]
	v_add3_u32 v18, v20, s4, 10
	v_add_co_u32 v32, vcc_lo, s8, v26
	v_add_co_ci_u32_e32 v33, vcc_lo, s9, v27, vcc_lo
	s_delay_alu instid0(VALU_DEP_3)
	v_lshlrev_b64 v[34:35], 4, v[18:19]
	v_add_co_u32 v38, vcc_lo, s10, v30
	v_add_co_ci_u32_e32 v39, vcc_lo, s11, v31, vcc_lo
	global_load_b128 v[26:29], v[32:33], off offset:16
	v_add_co_u32 v46, vcc_lo, s8, v34
	v_add_co_ci_u32_e32 v47, vcc_lo, s9, v35, vcc_lo
	global_load_b128 v[30:33], v[32:33], off
	s_clause 0x1
	global_load_b128 v[34:37], v[38:39], off
	global_load_b128 v[38:41], v[38:39], off offset:16
	s_clause 0x1
	global_load_b128 v[42:45], v[46:47], off
	global_load_b128 v[46:49], v[46:47], off offset:16
	s_add_i32 s4, s4, 2
	s_delay_alu instid0(SALU_CYCLE_1)
	s_cmp_eq_u32 s4, 10
	s_waitcnt vmcnt(3)
	v_fma_f64 v[15:16], v[30:31], v[34:35], v[15:16]
	v_fma_f64 v[9:10], v[32:33], v[34:35], v[9:10]
	s_waitcnt vmcnt(1)
	v_fma_f64 v[13:14], v[42:43], v[34:35], v[13:14]
	v_fma_f64 v[11:12], v[44:45], v[34:35], v[11:12]
	s_delay_alu instid0(VALU_DEP_4) | instskip(NEXT) | instid1(VALU_DEP_4)
	v_fma_f64 v[15:16], -v[32:33], v[36:37], v[15:16]
	v_fma_f64 v[9:10], v[30:31], v[36:37], v[9:10]
	s_delay_alu instid0(VALU_DEP_4) | instskip(NEXT) | instid1(VALU_DEP_4)
	v_fma_f64 v[13:14], -v[44:45], v[36:37], v[13:14]
	v_fma_f64 v[11:12], v[42:43], v[36:37], v[11:12]
	s_delay_alu instid0(VALU_DEP_4) | instskip(NEXT) | instid1(VALU_DEP_4)
	v_fma_f64 v[15:16], v[26:27], v[38:39], v[15:16]
	v_fma_f64 v[9:10], v[28:29], v[38:39], v[9:10]
	s_waitcnt vmcnt(0)
	s_delay_alu instid0(VALU_DEP_4) | instskip(NEXT) | instid1(VALU_DEP_4)
	v_fma_f64 v[13:14], v[46:47], v[38:39], v[13:14]
	v_fma_f64 v[11:12], v[48:49], v[38:39], v[11:12]
	s_delay_alu instid0(VALU_DEP_4) | instskip(NEXT) | instid1(VALU_DEP_4)
	v_fma_f64 v[15:16], -v[28:29], v[40:41], v[15:16]
	v_fma_f64 v[9:10], v[26:27], v[40:41], v[9:10]
	s_delay_alu instid0(VALU_DEP_4) | instskip(NEXT) | instid1(VALU_DEP_4)
	v_fma_f64 v[13:14], -v[48:49], v[40:41], v[13:14]
	v_fma_f64 v[11:12], v[46:47], v[40:41], v[11:12]
	s_cbranch_scc0 .LBB270_20
; %bb.21:                               ;   in Loop: Header=BB270_19 Depth=1
	v_add_nc_u32_e32 v17, 16, v17
	v_add_nc_u32_e32 v20, 0x140, v20
	v_add_nc_u32_e32 v21, 0x140, v21
	s_delay_alu instid0(VALU_DEP_3) | instskip(SKIP_1) | instid1(SALU_CYCLE_1)
	v_cmp_ge_i32_e32 vcc_lo, v17, v23
	s_or_b32 s0, vcc_lo, s0
	s_and_not1_b32 exec_lo, exec_lo, s0
	s_cbranch_execnz .LBB270_19
; %bb.22:
	s_or_b32 exec_lo, exec_lo, s0
.LBB270_23:
	s_delay_alu instid0(SALU_CYCLE_1)
	s_or_b32 exec_lo, exec_lo, s1
.LBB270_24:
	v_mbcnt_lo_u32_b32 v26, -1, 0
	s_delay_alu instid0(VALU_DEP_1) | instskip(NEXT) | instid1(VALU_DEP_1)
	v_xor_b32_e32 v17, 8, v26
	v_cmp_gt_i32_e32 vcc_lo, 32, v17
	v_cndmask_b32_e32 v17, v26, v17, vcc_lo
	s_delay_alu instid0(VALU_DEP_1)
	v_lshlrev_b32_e32 v24, 2, v17
	ds_bpermute_b32 v17, v24, v15
	ds_bpermute_b32 v18, v24, v16
	;; [unrolled: 1-line block ×8, first 2 shown]
	s_waitcnt lgkmcnt(6)
	v_add_f64 v[15:16], v[15:16], v[17:18]
	v_xor_b32_e32 v17, 4, v26
	s_waitcnt lgkmcnt(4)
	v_add_f64 v[9:10], v[9:10], v[19:20]
	s_waitcnt lgkmcnt(2)
	v_add_f64 v[13:14], v[13:14], v[21:22]
	;; [unrolled: 2-line block ×3, first 2 shown]
	v_cmp_gt_i32_e32 vcc_lo, 32, v17
	v_cndmask_b32_e32 v17, v26, v17, vcc_lo
	s_delay_alu instid0(VALU_DEP_1)
	v_lshlrev_b32_e32 v24, 2, v17
	ds_bpermute_b32 v17, v24, v15
	ds_bpermute_b32 v18, v24, v16
	;; [unrolled: 1-line block ×8, first 2 shown]
	s_waitcnt lgkmcnt(6)
	v_add_f64 v[15:16], v[15:16], v[17:18]
	s_waitcnt lgkmcnt(4)
	v_add_f64 v[17:18], v[9:10], v[19:20]
	v_xor_b32_e32 v9, 2, v26
	s_waitcnt lgkmcnt(2)
	v_add_f64 v[13:14], v[13:14], v[21:22]
	s_waitcnt lgkmcnt(0)
	v_add_f64 v[19:20], v[11:12], v[23:24]
	v_cmp_gt_i32_e32 vcc_lo, 32, v9
	v_cndmask_b32_e32 v9, v26, v9, vcc_lo
	s_delay_alu instid0(VALU_DEP_1)
	v_lshlrev_b32_e32 v24, 2, v9
	ds_bpermute_b32 v9, v24, v15
	ds_bpermute_b32 v10, v24, v16
	;; [unrolled: 1-line block ×8, first 2 shown]
	s_waitcnt lgkmcnt(6)
	v_add_f64 v[9:10], v[15:16], v[9:10]
	s_waitcnt lgkmcnt(4)
	v_add_f64 v[15:16], v[17:18], v[11:12]
	v_xor_b32_e32 v17, 1, v26
	s_waitcnt lgkmcnt(2)
	v_add_f64 v[11:12], v[13:14], v[21:22]
	s_waitcnt lgkmcnt(0)
	v_add_f64 v[13:14], v[19:20], v[23:24]
	v_cmp_gt_i32_e32 vcc_lo, 32, v17
	v_cndmask_b32_e32 v17, v26, v17, vcc_lo
	v_cmp_eq_u32_e32 vcc_lo, 15, v25
	s_delay_alu instid0(VALU_DEP_2)
	v_lshlrev_b32_e32 v20, 2, v17
	ds_bpermute_b32 v23, v20, v9
	ds_bpermute_b32 v24, v20, v10
	;; [unrolled: 1-line block ×8, first 2 shown]
	s_and_b32 exec_lo, exec_lo, vcc_lo
	s_cbranch_execz .LBB270_29
; %bb.25:
	v_cmp_eq_f64_e32 vcc_lo, 0, v[4:5]
	v_cmp_eq_f64_e64 s0, 0, v[6:7]
	s_waitcnt lgkmcnt(6)
	v_add_f64 v[9:10], v[9:10], v[23:24]
	s_waitcnt lgkmcnt(4)
	v_add_f64 v[15:16], v[15:16], v[21:22]
	;; [unrolled: 2-line block ×4, first 2 shown]
	s_load_b64 s[2:3], s[2:3], 0x48
	s_and_b32 s0, vcc_lo, s0
	s_delay_alu instid0(SALU_CYCLE_1) | instskip(NEXT) | instid1(SALU_CYCLE_1)
	s_and_saveexec_b32 s1, s0
	s_xor_b32 s0, exec_lo, s1
	s_cbranch_execz .LBB270_27
; %bb.26:
	s_delay_alu instid0(VALU_DEP_3) | instskip(SKIP_1) | instid1(VALU_DEP_3)
	v_mul_f64 v[4:5], v[15:16], -v[2:3]
	v_mul_f64 v[6:7], v[0:1], v[15:16]
	v_mul_f64 v[15:16], v[13:14], -v[2:3]
	v_mul_f64 v[13:14], v[0:1], v[13:14]
	v_lshlrev_b32_e32 v8, 1, v8
	v_fma_f64 v[4:5], v[0:1], v[9:10], v[4:5]
	v_fma_f64 v[6:7], v[2:3], v[9:10], v[6:7]
	;; [unrolled: 1-line block ×4, first 2 shown]
	v_ashrrev_i32_e32 v9, 31, v8
                                        ; implicit-def: $vgpr15_vgpr16
                                        ; implicit-def: $vgpr11_vgpr12
                                        ; implicit-def: $vgpr13_vgpr14
	s_delay_alu instid0(VALU_DEP_1) | instskip(SKIP_1) | instid1(VALU_DEP_1)
	v_lshlrev_b64 v[8:9], 4, v[8:9]
	s_waitcnt lgkmcnt(0)
	v_add_co_u32 v8, vcc_lo, s2, v8
	s_delay_alu instid0(VALU_DEP_2)
	v_add_co_ci_u32_e32 v9, vcc_lo, s3, v9, vcc_lo
	s_clause 0x1
	global_store_b128 v[8:9], v[4:7], off
	global_store_b128 v[8:9], v[0:3], off offset:16
                                        ; implicit-def: $vgpr0_vgpr1
                                        ; implicit-def: $vgpr2_vgpr3
                                        ; implicit-def: $vgpr4_vgpr5
                                        ; implicit-def: $vgpr6_vgpr7
                                        ; implicit-def: $vgpr8
                                        ; implicit-def: $vgpr9_vgpr10
.LBB270_27:
	s_and_not1_saveexec_b32 s0, s0
	s_cbranch_execz .LBB270_29
; %bb.28:
	v_lshlrev_b32_e32 v17, 1, v8
	s_delay_alu instid0(VALU_DEP_4) | instskip(SKIP_1) | instid1(VALU_DEP_4)
	v_mul_f64 v[27:28], v[15:16], -v[2:3]
	v_mul_f64 v[15:16], v[0:1], v[15:16]
	v_mul_f64 v[29:30], v[13:14], -v[2:3]
	v_mul_f64 v[13:14], v[0:1], v[13:14]
	v_ashrrev_i32_e32 v18, 31, v17
	s_delay_alu instid0(VALU_DEP_1) | instskip(SKIP_1) | instid1(VALU_DEP_1)
	v_lshlrev_b64 v[17:18], 4, v[17:18]
	s_waitcnt lgkmcnt(0)
	v_add_co_u32 v25, vcc_lo, s2, v17
	s_delay_alu instid0(VALU_DEP_2)
	v_add_co_ci_u32_e32 v26, vcc_lo, s3, v18, vcc_lo
	s_clause 0x1
	global_load_b128 v[17:20], v[25:26], off
	global_load_b128 v[21:24], v[25:26], off offset:16
	v_fma_f64 v[27:28], v[0:1], v[9:10], v[27:28]
	v_fma_f64 v[8:9], v[2:3], v[9:10], v[15:16]
	;; [unrolled: 1-line block ×4, first 2 shown]
	s_waitcnt vmcnt(1)
	s_delay_alu instid0(VALU_DEP_4) | instskip(NEXT) | instid1(VALU_DEP_4)
	v_fma_f64 v[10:11], v[4:5], v[17:18], v[27:28]
	v_fma_f64 v[8:9], v[6:7], v[17:18], v[8:9]
	s_waitcnt vmcnt(0)
	s_delay_alu instid0(VALU_DEP_4) | instskip(NEXT) | instid1(VALU_DEP_4)
	v_fma_f64 v[12:13], v[4:5], v[21:22], v[0:1]
	v_fma_f64 v[14:15], v[6:7], v[21:22], v[2:3]
	s_delay_alu instid0(VALU_DEP_4) | instskip(NEXT) | instid1(VALU_DEP_4)
	v_fma_f64 v[0:1], -v[6:7], v[19:20], v[10:11]
	v_fma_f64 v[2:3], v[4:5], v[19:20], v[8:9]
	s_delay_alu instid0(VALU_DEP_4) | instskip(NEXT) | instid1(VALU_DEP_4)
	v_fma_f64 v[6:7], -v[6:7], v[23:24], v[12:13]
	v_fma_f64 v[8:9], v[4:5], v[23:24], v[14:15]
	s_clause 0x1
	global_store_b128 v[25:26], v[0:3], off
	global_store_b128 v[25:26], v[6:9], off offset:16
.LBB270_29:
	s_nop 0
	s_sendmsg sendmsg(MSG_DEALLOC_VGPRS)
	s_endpgm
	.section	.rodata,"a",@progbits
	.p2align	6, 0x0
	.amdhsa_kernel _ZN9rocsparseL19gebsrmvn_2xn_kernelILj128ELj10ELj16E21rocsparse_complex_numIdEEEvi20rocsparse_direction_NS_24const_host_device_scalarIT2_EEPKiS8_PKS5_SA_S6_PS5_21rocsparse_index_base_b
		.amdhsa_group_segment_fixed_size 2048
		.amdhsa_private_segment_fixed_size 0
		.amdhsa_kernarg_size 88
		.amdhsa_user_sgpr_count 15
		.amdhsa_user_sgpr_dispatch_ptr 1
		.amdhsa_user_sgpr_queue_ptr 0
		.amdhsa_user_sgpr_kernarg_segment_ptr 1
		.amdhsa_user_sgpr_dispatch_id 0
		.amdhsa_user_sgpr_private_segment_size 0
		.amdhsa_wavefront_size32 1
		.amdhsa_uses_dynamic_stack 0
		.amdhsa_enable_private_segment 0
		.amdhsa_system_sgpr_workgroup_id_x 1
		.amdhsa_system_sgpr_workgroup_id_y 0
		.amdhsa_system_sgpr_workgroup_id_z 0
		.amdhsa_system_sgpr_workgroup_info 0
		.amdhsa_system_vgpr_workitem_id 2
		.amdhsa_next_free_vgpr 50
		.amdhsa_next_free_sgpr 18
		.amdhsa_reserve_vcc 1
		.amdhsa_float_round_mode_32 0
		.amdhsa_float_round_mode_16_64 0
		.amdhsa_float_denorm_mode_32 3
		.amdhsa_float_denorm_mode_16_64 3
		.amdhsa_dx10_clamp 1
		.amdhsa_ieee_mode 1
		.amdhsa_fp16_overflow 0
		.amdhsa_workgroup_processor_mode 1
		.amdhsa_memory_ordered 1
		.amdhsa_forward_progress 0
		.amdhsa_shared_vgpr_count 0
		.amdhsa_exception_fp_ieee_invalid_op 0
		.amdhsa_exception_fp_denorm_src 0
		.amdhsa_exception_fp_ieee_div_zero 0
		.amdhsa_exception_fp_ieee_overflow 0
		.amdhsa_exception_fp_ieee_underflow 0
		.amdhsa_exception_fp_ieee_inexact 0
		.amdhsa_exception_int_div_zero 0
	.end_amdhsa_kernel
	.section	.text._ZN9rocsparseL19gebsrmvn_2xn_kernelILj128ELj10ELj16E21rocsparse_complex_numIdEEEvi20rocsparse_direction_NS_24const_host_device_scalarIT2_EEPKiS8_PKS5_SA_S6_PS5_21rocsparse_index_base_b,"axG",@progbits,_ZN9rocsparseL19gebsrmvn_2xn_kernelILj128ELj10ELj16E21rocsparse_complex_numIdEEEvi20rocsparse_direction_NS_24const_host_device_scalarIT2_EEPKiS8_PKS5_SA_S6_PS5_21rocsparse_index_base_b,comdat
.Lfunc_end270:
	.size	_ZN9rocsparseL19gebsrmvn_2xn_kernelILj128ELj10ELj16E21rocsparse_complex_numIdEEEvi20rocsparse_direction_NS_24const_host_device_scalarIT2_EEPKiS8_PKS5_SA_S6_PS5_21rocsparse_index_base_b, .Lfunc_end270-_ZN9rocsparseL19gebsrmvn_2xn_kernelILj128ELj10ELj16E21rocsparse_complex_numIdEEEvi20rocsparse_direction_NS_24const_host_device_scalarIT2_EEPKiS8_PKS5_SA_S6_PS5_21rocsparse_index_base_b
                                        ; -- End function
	.section	.AMDGPU.csdata,"",@progbits
; Kernel info:
; codeLenInByte = 2516
; NumSgprs: 20
; NumVgprs: 50
; ScratchSize: 0
; MemoryBound: 0
; FloatMode: 240
; IeeeMode: 1
; LDSByteSize: 2048 bytes/workgroup (compile time only)
; SGPRBlocks: 2
; VGPRBlocks: 6
; NumSGPRsForWavesPerEU: 20
; NumVGPRsForWavesPerEU: 50
; Occupancy: 16
; WaveLimiterHint : 1
; COMPUTE_PGM_RSRC2:SCRATCH_EN: 0
; COMPUTE_PGM_RSRC2:USER_SGPR: 15
; COMPUTE_PGM_RSRC2:TRAP_HANDLER: 0
; COMPUTE_PGM_RSRC2:TGID_X_EN: 1
; COMPUTE_PGM_RSRC2:TGID_Y_EN: 0
; COMPUTE_PGM_RSRC2:TGID_Z_EN: 0
; COMPUTE_PGM_RSRC2:TIDIG_COMP_CNT: 2
	.section	.text._ZN9rocsparseL19gebsrmvn_2xn_kernelILj128ELj10ELj32E21rocsparse_complex_numIdEEEvi20rocsparse_direction_NS_24const_host_device_scalarIT2_EEPKiS8_PKS5_SA_S6_PS5_21rocsparse_index_base_b,"axG",@progbits,_ZN9rocsparseL19gebsrmvn_2xn_kernelILj128ELj10ELj32E21rocsparse_complex_numIdEEEvi20rocsparse_direction_NS_24const_host_device_scalarIT2_EEPKiS8_PKS5_SA_S6_PS5_21rocsparse_index_base_b,comdat
	.globl	_ZN9rocsparseL19gebsrmvn_2xn_kernelILj128ELj10ELj32E21rocsparse_complex_numIdEEEvi20rocsparse_direction_NS_24const_host_device_scalarIT2_EEPKiS8_PKS5_SA_S6_PS5_21rocsparse_index_base_b ; -- Begin function _ZN9rocsparseL19gebsrmvn_2xn_kernelILj128ELj10ELj32E21rocsparse_complex_numIdEEEvi20rocsparse_direction_NS_24const_host_device_scalarIT2_EEPKiS8_PKS5_SA_S6_PS5_21rocsparse_index_base_b
	.p2align	8
	.type	_ZN9rocsparseL19gebsrmvn_2xn_kernelILj128ELj10ELj32E21rocsparse_complex_numIdEEEvi20rocsparse_direction_NS_24const_host_device_scalarIT2_EEPKiS8_PKS5_SA_S6_PS5_21rocsparse_index_base_b,@function
_ZN9rocsparseL19gebsrmvn_2xn_kernelILj128ELj10ELj32E21rocsparse_complex_numIdEEEvi20rocsparse_direction_NS_24const_host_device_scalarIT2_EEPKiS8_PKS5_SA_S6_PS5_21rocsparse_index_base_b: ; @_ZN9rocsparseL19gebsrmvn_2xn_kernelILj128ELj10ELj32E21rocsparse_complex_numIdEEEvi20rocsparse_direction_NS_24const_host_device_scalarIT2_EEPKiS8_PKS5_SA_S6_PS5_21rocsparse_index_base_b
; %bb.0:
	s_load_b64 s[12:13], s[2:3], 0x50
	s_load_b64 s[16:17], s[0:1], 0x4
	s_load_b128 s[8:11], s[2:3], 0x8
	v_bfe_u32 v1, v0, 10, 10
	s_mov_b64 s[0:1], src_shared_base
	s_load_b128 s[4:7], s[2:3], 0x38
	v_and_b32_e32 v10, 0x3ff, v0
	v_bfe_u32 v0, v0, 20, 10
	s_waitcnt lgkmcnt(0)
	s_bitcmp1_b32 s13, 0
	v_mul_u32_u24_e32 v1, s17, v1
	s_cselect_b32 s0, -1, 0
	s_delay_alu instid0(SALU_CYCLE_1)
	s_and_b32 vcc_lo, s0, exec_lo
	s_cselect_b32 s13, s1, s9
	s_lshr_b32 s14, s16, 16
	v_dual_mov_b32 v2, s4 :: v_dual_mov_b32 v3, s5
	s_mul_i32 s14, s14, s17
	v_mov_b32_e32 v6, s13
	v_mad_u32_u24 v1, s14, v10, v1
	s_delay_alu instid0(VALU_DEP_1) | instskip(SKIP_1) | instid1(VALU_DEP_2)
	v_add_lshl_u32 v4, v1, v0, 3
	v_dual_mov_b32 v0, s8 :: v_dual_mov_b32 v1, s9
	v_add_nc_u32_e32 v5, 0x400, v4
	ds_store_2addr_stride64_b64 v4, v[2:3], v[0:1] offset1:2
	v_dual_mov_b32 v2, s10 :: v_dual_mov_b32 v3, s11
	v_cndmask_b32_e64 v5, s8, v5, s0
	s_xor_b32 s10, s0, -1
	flat_load_b64 v[0:1], v[5:6]
	s_cbranch_vccnz .LBB271_2
; %bb.1:
	v_dual_mov_b32 v2, s8 :: v_dual_mov_b32 v3, s9
	flat_load_b64 v[2:3], v[2:3] offset:8
.LBB271_2:
	s_and_b32 s8, s0, exec_lo
	s_cselect_b32 s1, s1, s5
	v_cndmask_b32_e64 v4, s4, v4, s0
	v_dual_mov_b32 v5, s1 :: v_dual_mov_b32 v6, s6
	v_mov_b32_e32 v7, s7
	s_and_not1_b32 vcc_lo, exec_lo, s10
	flat_load_b64 v[4:5], v[4:5]
	s_cbranch_vccnz .LBB271_4
; %bb.3:
	v_dual_mov_b32 v7, s5 :: v_dual_mov_b32 v6, s4
	flat_load_b64 v[6:7], v[6:7] offset:8
.LBB271_4:
	s_waitcnt vmcnt(1) lgkmcnt(1)
	v_cmp_eq_f64_e32 vcc_lo, 0, v[0:1]
	v_cmp_eq_f64_e64 s0, 0, v[2:3]
	s_delay_alu instid0(VALU_DEP_1)
	s_and_b32 s4, vcc_lo, s0
	s_mov_b32 s0, -1
	s_and_saveexec_b32 s1, s4
	s_cbranch_execz .LBB271_6
; %bb.5:
	s_waitcnt vmcnt(0) lgkmcnt(0)
	v_cmp_neq_f64_e32 vcc_lo, 1.0, v[4:5]
	v_cmp_neq_f64_e64 s0, 0, v[6:7]
	s_delay_alu instid0(VALU_DEP_1) | instskip(NEXT) | instid1(SALU_CYCLE_1)
	s_or_b32 s0, vcc_lo, s0
	s_or_not1_b32 s0, s0, exec_lo
.LBB271_6:
	s_or_b32 exec_lo, exec_lo, s1
	s_and_saveexec_b32 s1, s0
	s_cbranch_execz .LBB271_29
; %bb.7:
	s_load_b64 s[0:1], s[2:3], 0x0
	v_lshrrev_b32_e32 v8, 5, v10
	s_delay_alu instid0(VALU_DEP_1) | instskip(SKIP_1) | instid1(VALU_DEP_1)
	v_lshl_or_b32 v8, s15, 2, v8
	s_waitcnt lgkmcnt(0)
	v_cmp_gt_i32_e32 vcc_lo, s0, v8
	s_and_b32 exec_lo, exec_lo, vcc_lo
	s_cbranch_execz .LBB271_29
; %bb.8:
	s_load_b256 s[4:11], s[2:3], 0x18
	v_ashrrev_i32_e32 v9, 31, v8
	v_and_b32_e32 v25, 31, v10
	s_cmp_lg_u32 s1, 0
	s_delay_alu instid0(VALU_DEP_2) | instskip(SKIP_1) | instid1(VALU_DEP_1)
	v_lshlrev_b64 v[11:12], 2, v[8:9]
	s_waitcnt lgkmcnt(0)
	v_add_co_u32 v11, vcc_lo, s4, v11
	s_delay_alu instid0(VALU_DEP_2) | instskip(SKIP_4) | instid1(VALU_DEP_2)
	v_add_co_ci_u32_e32 v12, vcc_lo, s5, v12, vcc_lo
	global_load_b64 v[18:19], v[11:12], off
	s_waitcnt vmcnt(0)
	v_subrev_nc_u32_e32 v9, s12, v18
	v_subrev_nc_u32_e32 v23, s12, v19
	v_add_nc_u32_e32 v17, v9, v25
	s_delay_alu instid0(VALU_DEP_1)
	v_cmp_lt_i32_e64 s0, v17, v23
	s_cbranch_scc0 .LBB271_16
; %bb.9:
	v_mov_b32_e32 v9, 0
	v_mov_b32_e32 v10, 0
	s_delay_alu instid0(VALU_DEP_1)
	v_dual_mov_b32 v16, v10 :: v_dual_mov_b32 v15, v9
	v_dual_mov_b32 v14, v10 :: v_dual_mov_b32 v13, v9
	;; [unrolled: 1-line block ×3, first 2 shown]
	s_and_saveexec_b32 s1, s0
	s_cbranch_execz .LBB271_15
; %bb.10:
	v_dual_mov_b32 v9, 0 :: v_dual_mov_b32 v20, 0
	v_dual_mov_b32 v10, 0 :: v_dual_mov_b32 v21, v17
	v_mul_lo_u32 v24, v17, 20
	s_mov_b32 s4, 0
	s_delay_alu instid0(VALU_DEP_2)
	v_dual_mov_b32 v16, v10 :: v_dual_mov_b32 v15, v9
	v_dual_mov_b32 v14, v10 :: v_dual_mov_b32 v13, v9
	;; [unrolled: 1-line block ×3, first 2 shown]
.LBB271_11:                             ; =>This Loop Header: Depth=1
                                        ;     Child Loop BB271_12 Depth 2
	v_ashrrev_i32_e32 v22, 31, v21
	s_mov_b32 s5, 0
	s_delay_alu instid0(VALU_DEP_1) | instskip(NEXT) | instid1(VALU_DEP_1)
	v_lshlrev_b64 v[26:27], 2, v[21:22]
	v_add_co_u32 v26, vcc_lo, s6, v26
	s_delay_alu instid0(VALU_DEP_2) | instskip(SKIP_3) | instid1(VALU_DEP_1)
	v_add_co_ci_u32_e32 v27, vcc_lo, s7, v27, vcc_lo
	global_load_b32 v19, v[26:27], off
	s_waitcnt vmcnt(0)
	v_subrev_nc_u32_e32 v19, s12, v19
	v_mul_lo_u32 v22, v19, 10
	v_mov_b32_e32 v19, v24
.LBB271_12:                             ;   Parent Loop BB271_11 Depth=1
                                        ; =>  This Inner Loop Header: Depth=2
	s_delay_alu instid0(VALU_DEP_2) | instskip(NEXT) | instid1(VALU_DEP_2)
	v_dual_mov_b32 v27, v20 :: v_dual_add_nc_u32 v26, s5, v22
	v_lshlrev_b64 v[28:29], 4, v[19:20]
	v_add_nc_u32_e32 v19, 4, v19
	s_add_i32 s5, s5, 2
	s_delay_alu instid0(VALU_DEP_3) | instskip(SKIP_1) | instid1(VALU_DEP_3)
	v_lshlrev_b64 v[26:27], 4, v[26:27]
	s_cmp_eq_u32 s5, 10
	v_add_co_u32 v46, vcc_lo, s8, v28
	v_add_co_ci_u32_e32 v47, vcc_lo, s9, v29, vcc_lo
	s_delay_alu instid0(VALU_DEP_3) | instskip(NEXT) | instid1(VALU_DEP_4)
	v_add_co_u32 v38, vcc_lo, s10, v26
	v_add_co_ci_u32_e32 v39, vcc_lo, s11, v27, vcc_lo
	s_clause 0x1
	global_load_b128 v[26:29], v[46:47], off offset:16
	global_load_b128 v[30:33], v[46:47], off
	s_clause 0x1
	global_load_b128 v[34:37], v[38:39], off
	global_load_b128 v[38:41], v[38:39], off offset:16
	s_clause 0x1
	global_load_b128 v[42:45], v[46:47], off offset:32
	global_load_b128 v[46:49], v[46:47], off offset:48
	s_waitcnt vmcnt(3)
	v_fma_f64 v[15:16], v[30:31], v[34:35], v[15:16]
	v_fma_f64 v[9:10], v[32:33], v[34:35], v[9:10]
	;; [unrolled: 1-line block ×4, first 2 shown]
	s_delay_alu instid0(VALU_DEP_4) | instskip(NEXT) | instid1(VALU_DEP_4)
	v_fma_f64 v[15:16], -v[32:33], v[36:37], v[15:16]
	v_fma_f64 v[9:10], v[30:31], v[36:37], v[9:10]
	s_delay_alu instid0(VALU_DEP_4) | instskip(NEXT) | instid1(VALU_DEP_4)
	v_fma_f64 v[13:14], -v[28:29], v[36:37], v[13:14]
	v_fma_f64 v[11:12], v[26:27], v[36:37], v[11:12]
	s_waitcnt vmcnt(1)
	s_delay_alu instid0(VALU_DEP_4) | instskip(NEXT) | instid1(VALU_DEP_4)
	v_fma_f64 v[15:16], v[42:43], v[38:39], v[15:16]
	v_fma_f64 v[9:10], v[44:45], v[38:39], v[9:10]
	s_waitcnt vmcnt(0)
	s_delay_alu instid0(VALU_DEP_4) | instskip(NEXT) | instid1(VALU_DEP_4)
	v_fma_f64 v[13:14], v[46:47], v[38:39], v[13:14]
	v_fma_f64 v[11:12], v[48:49], v[38:39], v[11:12]
	s_delay_alu instid0(VALU_DEP_4) | instskip(NEXT) | instid1(VALU_DEP_4)
	v_fma_f64 v[15:16], -v[44:45], v[40:41], v[15:16]
	v_fma_f64 v[9:10], v[42:43], v[40:41], v[9:10]
	s_delay_alu instid0(VALU_DEP_4) | instskip(NEXT) | instid1(VALU_DEP_4)
	v_fma_f64 v[13:14], -v[48:49], v[40:41], v[13:14]
	v_fma_f64 v[11:12], v[46:47], v[40:41], v[11:12]
	s_cbranch_scc0 .LBB271_12
; %bb.13:                               ;   in Loop: Header=BB271_11 Depth=1
	v_add_nc_u32_e32 v21, 32, v21
	v_add_nc_u32_e32 v24, 0x280, v24
	s_delay_alu instid0(VALU_DEP_2) | instskip(SKIP_1) | instid1(SALU_CYCLE_1)
	v_cmp_ge_i32_e32 vcc_lo, v21, v23
	s_or_b32 s4, vcc_lo, s4
	s_and_not1_b32 exec_lo, exec_lo, s4
	s_cbranch_execnz .LBB271_11
; %bb.14:
	s_or_b32 exec_lo, exec_lo, s4
.LBB271_15:
	s_delay_alu instid0(SALU_CYCLE_1)
	s_or_b32 exec_lo, exec_lo, s1
	s_cbranch_execz .LBB271_17
	s_branch .LBB271_24
.LBB271_16:
                                        ; implicit-def: $vgpr9_vgpr10
                                        ; implicit-def: $vgpr15_vgpr16
                                        ; implicit-def: $vgpr13_vgpr14
                                        ; implicit-def: $vgpr11_vgpr12
.LBB271_17:
	v_mov_b32_e32 v9, 0
	v_mov_b32_e32 v10, 0
	s_delay_alu instid0(VALU_DEP_1)
	v_dual_mov_b32 v16, v10 :: v_dual_mov_b32 v15, v9
	v_dual_mov_b32 v14, v10 :: v_dual_mov_b32 v13, v9
	;; [unrolled: 1-line block ×3, first 2 shown]
	s_and_saveexec_b32 s1, s0
	s_cbranch_execz .LBB271_23
; %bb.18:
	v_mul_lo_u32 v11, v18, 20
	v_mov_b32_e32 v9, 0
	v_dual_mov_b32 v10, 0 :: v_dual_mov_b32 v19, 0
	v_mul_lo_u32 v20, v17, 20
	s_mul_i32 s0, s12, 20
	s_delay_alu instid0(VALU_DEP_2) | instskip(SKIP_2) | instid1(VALU_DEP_2)
	v_dual_mov_b32 v16, v10 :: v_dual_mov_b32 v15, v9
	v_mad_u32_u24 v11, v25, 20, v11
	v_dual_mov_b32 v14, v10 :: v_dual_mov_b32 v13, v9
	v_subrev_nc_u32_e32 v21, s0, v11
	v_dual_mov_b32 v12, v10 :: v_dual_mov_b32 v11, v9
	s_mov_b32 s0, 0
.LBB271_19:                             ; =>This Loop Header: Depth=1
                                        ;     Child Loop BB271_20 Depth 2
	v_ashrrev_i32_e32 v18, 31, v17
	s_mov_b32 s4, 0
	s_delay_alu instid0(VALU_DEP_1) | instskip(NEXT) | instid1(VALU_DEP_1)
	v_lshlrev_b64 v[26:27], 2, v[17:18]
	v_add_co_u32 v26, vcc_lo, s6, v26
	s_delay_alu instid0(VALU_DEP_2) | instskip(SKIP_3) | instid1(VALU_DEP_1)
	v_add_co_ci_u32_e32 v27, vcc_lo, s7, v27, vcc_lo
	global_load_b32 v18, v[26:27], off
	s_waitcnt vmcnt(0)
	v_subrev_nc_u32_e32 v18, s12, v18
	v_mul_lo_u32 v22, v18, 10
.LBB271_20:                             ;   Parent Loop BB271_19 Depth=1
                                        ; =>  This Inner Loop Header: Depth=2
	v_add_nc_u32_e32 v18, s4, v21
	s_delay_alu instid0(VALU_DEP_1) | instskip(NEXT) | instid1(VALU_DEP_3)
	v_lshlrev_b64 v[26:27], 4, v[18:19]
	v_add_nc_u32_e32 v18, s4, v22
	s_delay_alu instid0(VALU_DEP_1) | instskip(SKIP_1) | instid1(VALU_DEP_4)
	v_lshlrev_b64 v[30:31], 4, v[18:19]
	v_add3_u32 v18, v20, s4, 10
	v_add_co_u32 v32, vcc_lo, s8, v26
	v_add_co_ci_u32_e32 v33, vcc_lo, s9, v27, vcc_lo
	s_delay_alu instid0(VALU_DEP_3)
	v_lshlrev_b64 v[34:35], 4, v[18:19]
	v_add_co_u32 v38, vcc_lo, s10, v30
	v_add_co_ci_u32_e32 v39, vcc_lo, s11, v31, vcc_lo
	global_load_b128 v[26:29], v[32:33], off offset:16
	v_add_co_u32 v46, vcc_lo, s8, v34
	v_add_co_ci_u32_e32 v47, vcc_lo, s9, v35, vcc_lo
	global_load_b128 v[30:33], v[32:33], off
	s_clause 0x1
	global_load_b128 v[34:37], v[38:39], off
	global_load_b128 v[38:41], v[38:39], off offset:16
	s_clause 0x1
	global_load_b128 v[42:45], v[46:47], off
	global_load_b128 v[46:49], v[46:47], off offset:16
	s_add_i32 s4, s4, 2
	s_delay_alu instid0(SALU_CYCLE_1)
	s_cmp_eq_u32 s4, 10
	s_waitcnt vmcnt(3)
	v_fma_f64 v[15:16], v[30:31], v[34:35], v[15:16]
	v_fma_f64 v[9:10], v[32:33], v[34:35], v[9:10]
	s_waitcnt vmcnt(1)
	v_fma_f64 v[13:14], v[42:43], v[34:35], v[13:14]
	v_fma_f64 v[11:12], v[44:45], v[34:35], v[11:12]
	s_delay_alu instid0(VALU_DEP_4) | instskip(NEXT) | instid1(VALU_DEP_4)
	v_fma_f64 v[15:16], -v[32:33], v[36:37], v[15:16]
	v_fma_f64 v[9:10], v[30:31], v[36:37], v[9:10]
	s_delay_alu instid0(VALU_DEP_4) | instskip(NEXT) | instid1(VALU_DEP_4)
	v_fma_f64 v[13:14], -v[44:45], v[36:37], v[13:14]
	v_fma_f64 v[11:12], v[42:43], v[36:37], v[11:12]
	s_delay_alu instid0(VALU_DEP_4) | instskip(NEXT) | instid1(VALU_DEP_4)
	v_fma_f64 v[15:16], v[26:27], v[38:39], v[15:16]
	v_fma_f64 v[9:10], v[28:29], v[38:39], v[9:10]
	s_waitcnt vmcnt(0)
	s_delay_alu instid0(VALU_DEP_4) | instskip(NEXT) | instid1(VALU_DEP_4)
	v_fma_f64 v[13:14], v[46:47], v[38:39], v[13:14]
	v_fma_f64 v[11:12], v[48:49], v[38:39], v[11:12]
	s_delay_alu instid0(VALU_DEP_4) | instskip(NEXT) | instid1(VALU_DEP_4)
	v_fma_f64 v[15:16], -v[28:29], v[40:41], v[15:16]
	v_fma_f64 v[9:10], v[26:27], v[40:41], v[9:10]
	s_delay_alu instid0(VALU_DEP_4) | instskip(NEXT) | instid1(VALU_DEP_4)
	v_fma_f64 v[13:14], -v[48:49], v[40:41], v[13:14]
	v_fma_f64 v[11:12], v[46:47], v[40:41], v[11:12]
	s_cbranch_scc0 .LBB271_20
; %bb.21:                               ;   in Loop: Header=BB271_19 Depth=1
	v_add_nc_u32_e32 v17, 32, v17
	v_add_nc_u32_e32 v20, 0x280, v20
	;; [unrolled: 1-line block ×3, first 2 shown]
	s_delay_alu instid0(VALU_DEP_3) | instskip(SKIP_1) | instid1(SALU_CYCLE_1)
	v_cmp_ge_i32_e32 vcc_lo, v17, v23
	s_or_b32 s0, vcc_lo, s0
	s_and_not1_b32 exec_lo, exec_lo, s0
	s_cbranch_execnz .LBB271_19
; %bb.22:
	s_or_b32 exec_lo, exec_lo, s0
.LBB271_23:
	s_delay_alu instid0(SALU_CYCLE_1)
	s_or_b32 exec_lo, exec_lo, s1
.LBB271_24:
	v_mbcnt_lo_u32_b32 v26, -1, 0
	s_delay_alu instid0(VALU_DEP_1) | instskip(NEXT) | instid1(VALU_DEP_1)
	v_xor_b32_e32 v17, 16, v26
	v_cmp_gt_i32_e32 vcc_lo, 32, v17
	v_cndmask_b32_e32 v17, v26, v17, vcc_lo
	s_delay_alu instid0(VALU_DEP_1)
	v_lshlrev_b32_e32 v24, 2, v17
	ds_bpermute_b32 v17, v24, v15
	ds_bpermute_b32 v18, v24, v16
	;; [unrolled: 1-line block ×8, first 2 shown]
	s_waitcnt lgkmcnt(6)
	v_add_f64 v[15:16], v[15:16], v[17:18]
	v_xor_b32_e32 v17, 8, v26
	s_waitcnt lgkmcnt(4)
	v_add_f64 v[9:10], v[9:10], v[19:20]
	s_waitcnt lgkmcnt(2)
	v_add_f64 v[13:14], v[13:14], v[21:22]
	;; [unrolled: 2-line block ×3, first 2 shown]
	v_cmp_gt_i32_e32 vcc_lo, 32, v17
	v_cndmask_b32_e32 v17, v26, v17, vcc_lo
	s_delay_alu instid0(VALU_DEP_1)
	v_lshlrev_b32_e32 v24, 2, v17
	ds_bpermute_b32 v17, v24, v15
	ds_bpermute_b32 v18, v24, v16
	;; [unrolled: 1-line block ×8, first 2 shown]
	s_waitcnt lgkmcnt(6)
	v_add_f64 v[15:16], v[15:16], v[17:18]
	v_xor_b32_e32 v17, 4, v26
	s_waitcnt lgkmcnt(4)
	v_add_f64 v[9:10], v[9:10], v[19:20]
	s_waitcnt lgkmcnt(2)
	v_add_f64 v[13:14], v[13:14], v[21:22]
	;; [unrolled: 2-line block ×3, first 2 shown]
	v_cmp_gt_i32_e32 vcc_lo, 32, v17
	v_cndmask_b32_e32 v17, v26, v17, vcc_lo
	s_delay_alu instid0(VALU_DEP_1)
	v_lshlrev_b32_e32 v24, 2, v17
	ds_bpermute_b32 v17, v24, v15
	ds_bpermute_b32 v18, v24, v16
	;; [unrolled: 1-line block ×8, first 2 shown]
	s_waitcnt lgkmcnt(6)
	v_add_f64 v[15:16], v[15:16], v[17:18]
	s_waitcnt lgkmcnt(4)
	v_add_f64 v[17:18], v[9:10], v[19:20]
	v_xor_b32_e32 v9, 2, v26
	s_waitcnt lgkmcnt(2)
	v_add_f64 v[13:14], v[13:14], v[21:22]
	s_waitcnt lgkmcnt(0)
	v_add_f64 v[19:20], v[11:12], v[23:24]
	v_cmp_gt_i32_e32 vcc_lo, 32, v9
	v_cndmask_b32_e32 v9, v26, v9, vcc_lo
	s_delay_alu instid0(VALU_DEP_1)
	v_lshlrev_b32_e32 v24, 2, v9
	ds_bpermute_b32 v9, v24, v15
	ds_bpermute_b32 v10, v24, v16
	;; [unrolled: 1-line block ×8, first 2 shown]
	s_waitcnt lgkmcnt(6)
	v_add_f64 v[9:10], v[15:16], v[9:10]
	s_waitcnt lgkmcnt(4)
	v_add_f64 v[15:16], v[17:18], v[11:12]
	v_xor_b32_e32 v17, 1, v26
	s_waitcnt lgkmcnt(2)
	v_add_f64 v[11:12], v[13:14], v[21:22]
	s_waitcnt lgkmcnt(0)
	v_add_f64 v[13:14], v[19:20], v[23:24]
	v_cmp_gt_i32_e32 vcc_lo, 32, v17
	v_cndmask_b32_e32 v17, v26, v17, vcc_lo
	v_cmp_eq_u32_e32 vcc_lo, 31, v25
	s_delay_alu instid0(VALU_DEP_2)
	v_lshlrev_b32_e32 v20, 2, v17
	ds_bpermute_b32 v23, v20, v9
	ds_bpermute_b32 v24, v20, v10
	;; [unrolled: 1-line block ×8, first 2 shown]
	s_and_b32 exec_lo, exec_lo, vcc_lo
	s_cbranch_execz .LBB271_29
; %bb.25:
	v_cmp_eq_f64_e32 vcc_lo, 0, v[4:5]
	v_cmp_eq_f64_e64 s0, 0, v[6:7]
	s_waitcnt lgkmcnt(6)
	v_add_f64 v[9:10], v[9:10], v[23:24]
	s_waitcnt lgkmcnt(4)
	v_add_f64 v[15:16], v[15:16], v[21:22]
	;; [unrolled: 2-line block ×4, first 2 shown]
	s_load_b64 s[2:3], s[2:3], 0x48
	s_and_b32 s0, vcc_lo, s0
	s_delay_alu instid0(SALU_CYCLE_1) | instskip(NEXT) | instid1(SALU_CYCLE_1)
	s_and_saveexec_b32 s1, s0
	s_xor_b32 s0, exec_lo, s1
	s_cbranch_execz .LBB271_27
; %bb.26:
	s_delay_alu instid0(VALU_DEP_3) | instskip(SKIP_1) | instid1(VALU_DEP_3)
	v_mul_f64 v[4:5], v[15:16], -v[2:3]
	v_mul_f64 v[6:7], v[0:1], v[15:16]
	v_mul_f64 v[15:16], v[13:14], -v[2:3]
	v_mul_f64 v[13:14], v[0:1], v[13:14]
	v_lshlrev_b32_e32 v8, 1, v8
	v_fma_f64 v[4:5], v[0:1], v[9:10], v[4:5]
	v_fma_f64 v[6:7], v[2:3], v[9:10], v[6:7]
	;; [unrolled: 1-line block ×4, first 2 shown]
	v_ashrrev_i32_e32 v9, 31, v8
                                        ; implicit-def: $vgpr15_vgpr16
                                        ; implicit-def: $vgpr11_vgpr12
                                        ; implicit-def: $vgpr13_vgpr14
	s_delay_alu instid0(VALU_DEP_1) | instskip(SKIP_1) | instid1(VALU_DEP_1)
	v_lshlrev_b64 v[8:9], 4, v[8:9]
	s_waitcnt lgkmcnt(0)
	v_add_co_u32 v8, vcc_lo, s2, v8
	s_delay_alu instid0(VALU_DEP_2)
	v_add_co_ci_u32_e32 v9, vcc_lo, s3, v9, vcc_lo
	s_clause 0x1
	global_store_b128 v[8:9], v[4:7], off
	global_store_b128 v[8:9], v[0:3], off offset:16
                                        ; implicit-def: $vgpr0_vgpr1
                                        ; implicit-def: $vgpr2_vgpr3
                                        ; implicit-def: $vgpr4_vgpr5
                                        ; implicit-def: $vgpr6_vgpr7
                                        ; implicit-def: $vgpr8
                                        ; implicit-def: $vgpr9_vgpr10
.LBB271_27:
	s_and_not1_saveexec_b32 s0, s0
	s_cbranch_execz .LBB271_29
; %bb.28:
	v_lshlrev_b32_e32 v17, 1, v8
	s_delay_alu instid0(VALU_DEP_4) | instskip(SKIP_1) | instid1(VALU_DEP_4)
	v_mul_f64 v[27:28], v[15:16], -v[2:3]
	v_mul_f64 v[15:16], v[0:1], v[15:16]
	v_mul_f64 v[29:30], v[13:14], -v[2:3]
	v_mul_f64 v[13:14], v[0:1], v[13:14]
	v_ashrrev_i32_e32 v18, 31, v17
	s_delay_alu instid0(VALU_DEP_1) | instskip(SKIP_1) | instid1(VALU_DEP_1)
	v_lshlrev_b64 v[17:18], 4, v[17:18]
	s_waitcnt lgkmcnt(0)
	v_add_co_u32 v25, vcc_lo, s2, v17
	s_delay_alu instid0(VALU_DEP_2)
	v_add_co_ci_u32_e32 v26, vcc_lo, s3, v18, vcc_lo
	s_clause 0x1
	global_load_b128 v[17:20], v[25:26], off
	global_load_b128 v[21:24], v[25:26], off offset:16
	v_fma_f64 v[27:28], v[0:1], v[9:10], v[27:28]
	v_fma_f64 v[8:9], v[2:3], v[9:10], v[15:16]
	;; [unrolled: 1-line block ×4, first 2 shown]
	s_waitcnt vmcnt(1)
	s_delay_alu instid0(VALU_DEP_4) | instskip(NEXT) | instid1(VALU_DEP_4)
	v_fma_f64 v[10:11], v[4:5], v[17:18], v[27:28]
	v_fma_f64 v[8:9], v[6:7], v[17:18], v[8:9]
	s_waitcnt vmcnt(0)
	s_delay_alu instid0(VALU_DEP_4) | instskip(NEXT) | instid1(VALU_DEP_4)
	v_fma_f64 v[12:13], v[4:5], v[21:22], v[0:1]
	v_fma_f64 v[14:15], v[6:7], v[21:22], v[2:3]
	s_delay_alu instid0(VALU_DEP_4) | instskip(NEXT) | instid1(VALU_DEP_4)
	v_fma_f64 v[0:1], -v[6:7], v[19:20], v[10:11]
	v_fma_f64 v[2:3], v[4:5], v[19:20], v[8:9]
	s_delay_alu instid0(VALU_DEP_4) | instskip(NEXT) | instid1(VALU_DEP_4)
	v_fma_f64 v[6:7], -v[6:7], v[23:24], v[12:13]
	v_fma_f64 v[8:9], v[4:5], v[23:24], v[14:15]
	s_clause 0x1
	global_store_b128 v[25:26], v[0:3], off
	global_store_b128 v[25:26], v[6:9], off offset:16
.LBB271_29:
	s_nop 0
	s_sendmsg sendmsg(MSG_DEALLOC_VGPRS)
	s_endpgm
	.section	.rodata,"a",@progbits
	.p2align	6, 0x0
	.amdhsa_kernel _ZN9rocsparseL19gebsrmvn_2xn_kernelILj128ELj10ELj32E21rocsparse_complex_numIdEEEvi20rocsparse_direction_NS_24const_host_device_scalarIT2_EEPKiS8_PKS5_SA_S6_PS5_21rocsparse_index_base_b
		.amdhsa_group_segment_fixed_size 2048
		.amdhsa_private_segment_fixed_size 0
		.amdhsa_kernarg_size 88
		.amdhsa_user_sgpr_count 15
		.amdhsa_user_sgpr_dispatch_ptr 1
		.amdhsa_user_sgpr_queue_ptr 0
		.amdhsa_user_sgpr_kernarg_segment_ptr 1
		.amdhsa_user_sgpr_dispatch_id 0
		.amdhsa_user_sgpr_private_segment_size 0
		.amdhsa_wavefront_size32 1
		.amdhsa_uses_dynamic_stack 0
		.amdhsa_enable_private_segment 0
		.amdhsa_system_sgpr_workgroup_id_x 1
		.amdhsa_system_sgpr_workgroup_id_y 0
		.amdhsa_system_sgpr_workgroup_id_z 0
		.amdhsa_system_sgpr_workgroup_info 0
		.amdhsa_system_vgpr_workitem_id 2
		.amdhsa_next_free_vgpr 50
		.amdhsa_next_free_sgpr 18
		.amdhsa_reserve_vcc 1
		.amdhsa_float_round_mode_32 0
		.amdhsa_float_round_mode_16_64 0
		.amdhsa_float_denorm_mode_32 3
		.amdhsa_float_denorm_mode_16_64 3
		.amdhsa_dx10_clamp 1
		.amdhsa_ieee_mode 1
		.amdhsa_fp16_overflow 0
		.amdhsa_workgroup_processor_mode 1
		.amdhsa_memory_ordered 1
		.amdhsa_forward_progress 0
		.amdhsa_shared_vgpr_count 0
		.amdhsa_exception_fp_ieee_invalid_op 0
		.amdhsa_exception_fp_denorm_src 0
		.amdhsa_exception_fp_ieee_div_zero 0
		.amdhsa_exception_fp_ieee_overflow 0
		.amdhsa_exception_fp_ieee_underflow 0
		.amdhsa_exception_fp_ieee_inexact 0
		.amdhsa_exception_int_div_zero 0
	.end_amdhsa_kernel
	.section	.text._ZN9rocsparseL19gebsrmvn_2xn_kernelILj128ELj10ELj32E21rocsparse_complex_numIdEEEvi20rocsparse_direction_NS_24const_host_device_scalarIT2_EEPKiS8_PKS5_SA_S6_PS5_21rocsparse_index_base_b,"axG",@progbits,_ZN9rocsparseL19gebsrmvn_2xn_kernelILj128ELj10ELj32E21rocsparse_complex_numIdEEEvi20rocsparse_direction_NS_24const_host_device_scalarIT2_EEPKiS8_PKS5_SA_S6_PS5_21rocsparse_index_base_b,comdat
.Lfunc_end271:
	.size	_ZN9rocsparseL19gebsrmvn_2xn_kernelILj128ELj10ELj32E21rocsparse_complex_numIdEEEvi20rocsparse_direction_NS_24const_host_device_scalarIT2_EEPKiS8_PKS5_SA_S6_PS5_21rocsparse_index_base_b, .Lfunc_end271-_ZN9rocsparseL19gebsrmvn_2xn_kernelILj128ELj10ELj32E21rocsparse_complex_numIdEEEvi20rocsparse_direction_NS_24const_host_device_scalarIT2_EEPKiS8_PKS5_SA_S6_PS5_21rocsparse_index_base_b
                                        ; -- End function
	.section	.AMDGPU.csdata,"",@progbits
; Kernel info:
; codeLenInByte = 2648
; NumSgprs: 20
; NumVgprs: 50
; ScratchSize: 0
; MemoryBound: 0
; FloatMode: 240
; IeeeMode: 1
; LDSByteSize: 2048 bytes/workgroup (compile time only)
; SGPRBlocks: 2
; VGPRBlocks: 6
; NumSGPRsForWavesPerEU: 20
; NumVGPRsForWavesPerEU: 50
; Occupancy: 16
; WaveLimiterHint : 1
; COMPUTE_PGM_RSRC2:SCRATCH_EN: 0
; COMPUTE_PGM_RSRC2:USER_SGPR: 15
; COMPUTE_PGM_RSRC2:TRAP_HANDLER: 0
; COMPUTE_PGM_RSRC2:TGID_X_EN: 1
; COMPUTE_PGM_RSRC2:TGID_Y_EN: 0
; COMPUTE_PGM_RSRC2:TGID_Z_EN: 0
; COMPUTE_PGM_RSRC2:TIDIG_COMP_CNT: 2
	.section	.text._ZN9rocsparseL19gebsrmvn_2xn_kernelILj128ELj10ELj64E21rocsparse_complex_numIdEEEvi20rocsparse_direction_NS_24const_host_device_scalarIT2_EEPKiS8_PKS5_SA_S6_PS5_21rocsparse_index_base_b,"axG",@progbits,_ZN9rocsparseL19gebsrmvn_2xn_kernelILj128ELj10ELj64E21rocsparse_complex_numIdEEEvi20rocsparse_direction_NS_24const_host_device_scalarIT2_EEPKiS8_PKS5_SA_S6_PS5_21rocsparse_index_base_b,comdat
	.globl	_ZN9rocsparseL19gebsrmvn_2xn_kernelILj128ELj10ELj64E21rocsparse_complex_numIdEEEvi20rocsparse_direction_NS_24const_host_device_scalarIT2_EEPKiS8_PKS5_SA_S6_PS5_21rocsparse_index_base_b ; -- Begin function _ZN9rocsparseL19gebsrmvn_2xn_kernelILj128ELj10ELj64E21rocsparse_complex_numIdEEEvi20rocsparse_direction_NS_24const_host_device_scalarIT2_EEPKiS8_PKS5_SA_S6_PS5_21rocsparse_index_base_b
	.p2align	8
	.type	_ZN9rocsparseL19gebsrmvn_2xn_kernelILj128ELj10ELj64E21rocsparse_complex_numIdEEEvi20rocsparse_direction_NS_24const_host_device_scalarIT2_EEPKiS8_PKS5_SA_S6_PS5_21rocsparse_index_base_b,@function
_ZN9rocsparseL19gebsrmvn_2xn_kernelILj128ELj10ELj64E21rocsparse_complex_numIdEEEvi20rocsparse_direction_NS_24const_host_device_scalarIT2_EEPKiS8_PKS5_SA_S6_PS5_21rocsparse_index_base_b: ; @_ZN9rocsparseL19gebsrmvn_2xn_kernelILj128ELj10ELj64E21rocsparse_complex_numIdEEEvi20rocsparse_direction_NS_24const_host_device_scalarIT2_EEPKiS8_PKS5_SA_S6_PS5_21rocsparse_index_base_b
; %bb.0:
	s_load_b64 s[12:13], s[2:3], 0x50
	s_load_b64 s[16:17], s[0:1], 0x4
	s_load_b128 s[8:11], s[2:3], 0x8
	v_bfe_u32 v1, v0, 10, 10
	s_mov_b64 s[0:1], src_shared_base
	s_load_b128 s[4:7], s[2:3], 0x38
	v_and_b32_e32 v10, 0x3ff, v0
	v_bfe_u32 v0, v0, 20, 10
	s_waitcnt lgkmcnt(0)
	s_bitcmp1_b32 s13, 0
	v_mul_u32_u24_e32 v1, s17, v1
	s_cselect_b32 s0, -1, 0
	s_delay_alu instid0(SALU_CYCLE_1)
	s_and_b32 vcc_lo, s0, exec_lo
	s_cselect_b32 s13, s1, s9
	s_lshr_b32 s14, s16, 16
	v_dual_mov_b32 v2, s4 :: v_dual_mov_b32 v3, s5
	s_mul_i32 s14, s14, s17
	v_mov_b32_e32 v6, s13
	v_mad_u32_u24 v1, s14, v10, v1
	s_delay_alu instid0(VALU_DEP_1) | instskip(SKIP_1) | instid1(VALU_DEP_2)
	v_add_lshl_u32 v4, v1, v0, 3
	v_dual_mov_b32 v0, s8 :: v_dual_mov_b32 v1, s9
	v_add_nc_u32_e32 v5, 0x400, v4
	ds_store_2addr_stride64_b64 v4, v[2:3], v[0:1] offset1:2
	v_dual_mov_b32 v2, s10 :: v_dual_mov_b32 v3, s11
	v_cndmask_b32_e64 v5, s8, v5, s0
	s_xor_b32 s10, s0, -1
	flat_load_b64 v[0:1], v[5:6]
	s_cbranch_vccnz .LBB272_2
; %bb.1:
	v_dual_mov_b32 v2, s8 :: v_dual_mov_b32 v3, s9
	flat_load_b64 v[2:3], v[2:3] offset:8
.LBB272_2:
	s_and_b32 s8, s0, exec_lo
	s_cselect_b32 s1, s1, s5
	v_cndmask_b32_e64 v4, s4, v4, s0
	v_dual_mov_b32 v5, s1 :: v_dual_mov_b32 v6, s6
	v_mov_b32_e32 v7, s7
	s_and_not1_b32 vcc_lo, exec_lo, s10
	flat_load_b64 v[4:5], v[4:5]
	s_cbranch_vccnz .LBB272_4
; %bb.3:
	v_dual_mov_b32 v7, s5 :: v_dual_mov_b32 v6, s4
	flat_load_b64 v[6:7], v[6:7] offset:8
.LBB272_4:
	s_waitcnt vmcnt(1) lgkmcnt(1)
	v_cmp_eq_f64_e32 vcc_lo, 0, v[0:1]
	v_cmp_eq_f64_e64 s0, 0, v[2:3]
	s_delay_alu instid0(VALU_DEP_1)
	s_and_b32 s4, vcc_lo, s0
	s_mov_b32 s0, -1
	s_and_saveexec_b32 s1, s4
	s_cbranch_execz .LBB272_6
; %bb.5:
	s_waitcnt vmcnt(0) lgkmcnt(0)
	v_cmp_neq_f64_e32 vcc_lo, 1.0, v[4:5]
	v_cmp_neq_f64_e64 s0, 0, v[6:7]
	s_delay_alu instid0(VALU_DEP_1) | instskip(NEXT) | instid1(SALU_CYCLE_1)
	s_or_b32 s0, vcc_lo, s0
	s_or_not1_b32 s0, s0, exec_lo
.LBB272_6:
	s_or_b32 exec_lo, exec_lo, s1
	s_and_saveexec_b32 s1, s0
	s_cbranch_execz .LBB272_29
; %bb.7:
	s_load_b64 s[0:1], s[2:3], 0x0
	v_lshrrev_b32_e32 v8, 6, v10
	s_delay_alu instid0(VALU_DEP_1) | instskip(SKIP_1) | instid1(VALU_DEP_1)
	v_lshl_or_b32 v8, s15, 1, v8
	s_waitcnt lgkmcnt(0)
	v_cmp_gt_i32_e32 vcc_lo, s0, v8
	s_and_b32 exec_lo, exec_lo, vcc_lo
	s_cbranch_execz .LBB272_29
; %bb.8:
	s_load_b256 s[4:11], s[2:3], 0x18
	v_ashrrev_i32_e32 v9, 31, v8
	v_and_b32_e32 v25, 63, v10
	s_cmp_lg_u32 s1, 0
	s_delay_alu instid0(VALU_DEP_2) | instskip(SKIP_1) | instid1(VALU_DEP_1)
	v_lshlrev_b64 v[11:12], 2, v[8:9]
	s_waitcnt lgkmcnt(0)
	v_add_co_u32 v11, vcc_lo, s4, v11
	s_delay_alu instid0(VALU_DEP_2) | instskip(SKIP_4) | instid1(VALU_DEP_2)
	v_add_co_ci_u32_e32 v12, vcc_lo, s5, v12, vcc_lo
	global_load_b64 v[18:19], v[11:12], off
	s_waitcnt vmcnt(0)
	v_subrev_nc_u32_e32 v9, s12, v18
	v_subrev_nc_u32_e32 v23, s12, v19
	v_add_nc_u32_e32 v17, v9, v25
	s_delay_alu instid0(VALU_DEP_1)
	v_cmp_lt_i32_e64 s0, v17, v23
	s_cbranch_scc0 .LBB272_16
; %bb.9:
	v_mov_b32_e32 v9, 0
	v_mov_b32_e32 v10, 0
	s_delay_alu instid0(VALU_DEP_1)
	v_dual_mov_b32 v16, v10 :: v_dual_mov_b32 v15, v9
	v_dual_mov_b32 v14, v10 :: v_dual_mov_b32 v13, v9
	v_dual_mov_b32 v12, v10 :: v_dual_mov_b32 v11, v9
	s_and_saveexec_b32 s1, s0
	s_cbranch_execz .LBB272_15
; %bb.10:
	v_dual_mov_b32 v9, 0 :: v_dual_mov_b32 v20, 0
	v_dual_mov_b32 v10, 0 :: v_dual_mov_b32 v21, v17
	v_mul_lo_u32 v24, v17, 20
	s_mov_b32 s4, 0
	s_delay_alu instid0(VALU_DEP_2)
	v_dual_mov_b32 v16, v10 :: v_dual_mov_b32 v15, v9
	v_dual_mov_b32 v14, v10 :: v_dual_mov_b32 v13, v9
	;; [unrolled: 1-line block ×3, first 2 shown]
.LBB272_11:                             ; =>This Loop Header: Depth=1
                                        ;     Child Loop BB272_12 Depth 2
	v_ashrrev_i32_e32 v22, 31, v21
	s_mov_b32 s5, 0
	s_delay_alu instid0(VALU_DEP_1) | instskip(NEXT) | instid1(VALU_DEP_1)
	v_lshlrev_b64 v[26:27], 2, v[21:22]
	v_add_co_u32 v26, vcc_lo, s6, v26
	s_delay_alu instid0(VALU_DEP_2) | instskip(SKIP_3) | instid1(VALU_DEP_1)
	v_add_co_ci_u32_e32 v27, vcc_lo, s7, v27, vcc_lo
	global_load_b32 v19, v[26:27], off
	s_waitcnt vmcnt(0)
	v_subrev_nc_u32_e32 v19, s12, v19
	v_mul_lo_u32 v22, v19, 10
	v_mov_b32_e32 v19, v24
.LBB272_12:                             ;   Parent Loop BB272_11 Depth=1
                                        ; =>  This Inner Loop Header: Depth=2
	s_delay_alu instid0(VALU_DEP_2) | instskip(NEXT) | instid1(VALU_DEP_2)
	v_dual_mov_b32 v27, v20 :: v_dual_add_nc_u32 v26, s5, v22
	v_lshlrev_b64 v[28:29], 4, v[19:20]
	v_add_nc_u32_e32 v19, 4, v19
	s_add_i32 s5, s5, 2
	s_delay_alu instid0(VALU_DEP_3) | instskip(SKIP_1) | instid1(VALU_DEP_3)
	v_lshlrev_b64 v[26:27], 4, v[26:27]
	s_cmp_eq_u32 s5, 10
	v_add_co_u32 v46, vcc_lo, s8, v28
	v_add_co_ci_u32_e32 v47, vcc_lo, s9, v29, vcc_lo
	s_delay_alu instid0(VALU_DEP_3) | instskip(NEXT) | instid1(VALU_DEP_4)
	v_add_co_u32 v38, vcc_lo, s10, v26
	v_add_co_ci_u32_e32 v39, vcc_lo, s11, v27, vcc_lo
	s_clause 0x1
	global_load_b128 v[26:29], v[46:47], off offset:16
	global_load_b128 v[30:33], v[46:47], off
	s_clause 0x1
	global_load_b128 v[34:37], v[38:39], off
	global_load_b128 v[38:41], v[38:39], off offset:16
	s_clause 0x1
	global_load_b128 v[42:45], v[46:47], off offset:32
	global_load_b128 v[46:49], v[46:47], off offset:48
	s_waitcnt vmcnt(3)
	v_fma_f64 v[15:16], v[30:31], v[34:35], v[15:16]
	v_fma_f64 v[9:10], v[32:33], v[34:35], v[9:10]
	;; [unrolled: 1-line block ×4, first 2 shown]
	s_delay_alu instid0(VALU_DEP_4) | instskip(NEXT) | instid1(VALU_DEP_4)
	v_fma_f64 v[15:16], -v[32:33], v[36:37], v[15:16]
	v_fma_f64 v[9:10], v[30:31], v[36:37], v[9:10]
	s_delay_alu instid0(VALU_DEP_4) | instskip(NEXT) | instid1(VALU_DEP_4)
	v_fma_f64 v[13:14], -v[28:29], v[36:37], v[13:14]
	v_fma_f64 v[11:12], v[26:27], v[36:37], v[11:12]
	s_waitcnt vmcnt(1)
	s_delay_alu instid0(VALU_DEP_4) | instskip(NEXT) | instid1(VALU_DEP_4)
	v_fma_f64 v[15:16], v[42:43], v[38:39], v[15:16]
	v_fma_f64 v[9:10], v[44:45], v[38:39], v[9:10]
	s_waitcnt vmcnt(0)
	s_delay_alu instid0(VALU_DEP_4) | instskip(NEXT) | instid1(VALU_DEP_4)
	v_fma_f64 v[13:14], v[46:47], v[38:39], v[13:14]
	v_fma_f64 v[11:12], v[48:49], v[38:39], v[11:12]
	s_delay_alu instid0(VALU_DEP_4) | instskip(NEXT) | instid1(VALU_DEP_4)
	v_fma_f64 v[15:16], -v[44:45], v[40:41], v[15:16]
	v_fma_f64 v[9:10], v[42:43], v[40:41], v[9:10]
	s_delay_alu instid0(VALU_DEP_4) | instskip(NEXT) | instid1(VALU_DEP_4)
	v_fma_f64 v[13:14], -v[48:49], v[40:41], v[13:14]
	v_fma_f64 v[11:12], v[46:47], v[40:41], v[11:12]
	s_cbranch_scc0 .LBB272_12
; %bb.13:                               ;   in Loop: Header=BB272_11 Depth=1
	v_add_nc_u32_e32 v21, 64, v21
	v_add_nc_u32_e32 v24, 0x500, v24
	s_delay_alu instid0(VALU_DEP_2) | instskip(SKIP_1) | instid1(SALU_CYCLE_1)
	v_cmp_ge_i32_e32 vcc_lo, v21, v23
	s_or_b32 s4, vcc_lo, s4
	s_and_not1_b32 exec_lo, exec_lo, s4
	s_cbranch_execnz .LBB272_11
; %bb.14:
	s_or_b32 exec_lo, exec_lo, s4
.LBB272_15:
	s_delay_alu instid0(SALU_CYCLE_1)
	s_or_b32 exec_lo, exec_lo, s1
	s_cbranch_execz .LBB272_17
	s_branch .LBB272_24
.LBB272_16:
                                        ; implicit-def: $vgpr9_vgpr10
                                        ; implicit-def: $vgpr15_vgpr16
                                        ; implicit-def: $vgpr13_vgpr14
                                        ; implicit-def: $vgpr11_vgpr12
.LBB272_17:
	v_mov_b32_e32 v9, 0
	v_mov_b32_e32 v10, 0
	s_delay_alu instid0(VALU_DEP_1)
	v_dual_mov_b32 v16, v10 :: v_dual_mov_b32 v15, v9
	v_dual_mov_b32 v14, v10 :: v_dual_mov_b32 v13, v9
	;; [unrolled: 1-line block ×3, first 2 shown]
	s_and_saveexec_b32 s1, s0
	s_cbranch_execz .LBB272_23
; %bb.18:
	v_mul_lo_u32 v11, v18, 20
	v_mov_b32_e32 v9, 0
	v_dual_mov_b32 v10, 0 :: v_dual_mov_b32 v19, 0
	v_mul_lo_u32 v20, v17, 20
	s_mul_i32 s0, s12, 20
	s_delay_alu instid0(VALU_DEP_2) | instskip(SKIP_2) | instid1(VALU_DEP_2)
	v_dual_mov_b32 v16, v10 :: v_dual_mov_b32 v15, v9
	v_mad_u32_u24 v11, v25, 20, v11
	v_dual_mov_b32 v14, v10 :: v_dual_mov_b32 v13, v9
	v_subrev_nc_u32_e32 v21, s0, v11
	v_dual_mov_b32 v12, v10 :: v_dual_mov_b32 v11, v9
	s_mov_b32 s0, 0
.LBB272_19:                             ; =>This Loop Header: Depth=1
                                        ;     Child Loop BB272_20 Depth 2
	v_ashrrev_i32_e32 v18, 31, v17
	s_mov_b32 s4, 0
	s_delay_alu instid0(VALU_DEP_1) | instskip(NEXT) | instid1(VALU_DEP_1)
	v_lshlrev_b64 v[26:27], 2, v[17:18]
	v_add_co_u32 v26, vcc_lo, s6, v26
	s_delay_alu instid0(VALU_DEP_2) | instskip(SKIP_3) | instid1(VALU_DEP_1)
	v_add_co_ci_u32_e32 v27, vcc_lo, s7, v27, vcc_lo
	global_load_b32 v18, v[26:27], off
	s_waitcnt vmcnt(0)
	v_subrev_nc_u32_e32 v18, s12, v18
	v_mul_lo_u32 v22, v18, 10
.LBB272_20:                             ;   Parent Loop BB272_19 Depth=1
                                        ; =>  This Inner Loop Header: Depth=2
	v_add_nc_u32_e32 v18, s4, v21
	s_delay_alu instid0(VALU_DEP_1) | instskip(NEXT) | instid1(VALU_DEP_3)
	v_lshlrev_b64 v[26:27], 4, v[18:19]
	v_add_nc_u32_e32 v18, s4, v22
	s_delay_alu instid0(VALU_DEP_1) | instskip(SKIP_1) | instid1(VALU_DEP_4)
	v_lshlrev_b64 v[30:31], 4, v[18:19]
	v_add3_u32 v18, v20, s4, 10
	v_add_co_u32 v32, vcc_lo, s8, v26
	v_add_co_ci_u32_e32 v33, vcc_lo, s9, v27, vcc_lo
	s_delay_alu instid0(VALU_DEP_3)
	v_lshlrev_b64 v[34:35], 4, v[18:19]
	v_add_co_u32 v38, vcc_lo, s10, v30
	v_add_co_ci_u32_e32 v39, vcc_lo, s11, v31, vcc_lo
	global_load_b128 v[26:29], v[32:33], off offset:16
	v_add_co_u32 v46, vcc_lo, s8, v34
	v_add_co_ci_u32_e32 v47, vcc_lo, s9, v35, vcc_lo
	global_load_b128 v[30:33], v[32:33], off
	s_clause 0x1
	global_load_b128 v[34:37], v[38:39], off
	global_load_b128 v[38:41], v[38:39], off offset:16
	s_clause 0x1
	global_load_b128 v[42:45], v[46:47], off
	global_load_b128 v[46:49], v[46:47], off offset:16
	s_add_i32 s4, s4, 2
	s_delay_alu instid0(SALU_CYCLE_1)
	s_cmp_eq_u32 s4, 10
	s_waitcnt vmcnt(3)
	v_fma_f64 v[15:16], v[30:31], v[34:35], v[15:16]
	v_fma_f64 v[9:10], v[32:33], v[34:35], v[9:10]
	s_waitcnt vmcnt(1)
	v_fma_f64 v[13:14], v[42:43], v[34:35], v[13:14]
	v_fma_f64 v[11:12], v[44:45], v[34:35], v[11:12]
	s_delay_alu instid0(VALU_DEP_4) | instskip(NEXT) | instid1(VALU_DEP_4)
	v_fma_f64 v[15:16], -v[32:33], v[36:37], v[15:16]
	v_fma_f64 v[9:10], v[30:31], v[36:37], v[9:10]
	s_delay_alu instid0(VALU_DEP_4) | instskip(NEXT) | instid1(VALU_DEP_4)
	v_fma_f64 v[13:14], -v[44:45], v[36:37], v[13:14]
	v_fma_f64 v[11:12], v[42:43], v[36:37], v[11:12]
	s_delay_alu instid0(VALU_DEP_4) | instskip(NEXT) | instid1(VALU_DEP_4)
	v_fma_f64 v[15:16], v[26:27], v[38:39], v[15:16]
	v_fma_f64 v[9:10], v[28:29], v[38:39], v[9:10]
	s_waitcnt vmcnt(0)
	s_delay_alu instid0(VALU_DEP_4) | instskip(NEXT) | instid1(VALU_DEP_4)
	v_fma_f64 v[13:14], v[46:47], v[38:39], v[13:14]
	v_fma_f64 v[11:12], v[48:49], v[38:39], v[11:12]
	s_delay_alu instid0(VALU_DEP_4) | instskip(NEXT) | instid1(VALU_DEP_4)
	v_fma_f64 v[15:16], -v[28:29], v[40:41], v[15:16]
	v_fma_f64 v[9:10], v[26:27], v[40:41], v[9:10]
	s_delay_alu instid0(VALU_DEP_4) | instskip(NEXT) | instid1(VALU_DEP_4)
	v_fma_f64 v[13:14], -v[48:49], v[40:41], v[13:14]
	v_fma_f64 v[11:12], v[46:47], v[40:41], v[11:12]
	s_cbranch_scc0 .LBB272_20
; %bb.21:                               ;   in Loop: Header=BB272_19 Depth=1
	v_add_nc_u32_e32 v17, 64, v17
	v_add_nc_u32_e32 v20, 0x500, v20
	;; [unrolled: 1-line block ×3, first 2 shown]
	s_delay_alu instid0(VALU_DEP_3) | instskip(SKIP_1) | instid1(SALU_CYCLE_1)
	v_cmp_ge_i32_e32 vcc_lo, v17, v23
	s_or_b32 s0, vcc_lo, s0
	s_and_not1_b32 exec_lo, exec_lo, s0
	s_cbranch_execnz .LBB272_19
; %bb.22:
	s_or_b32 exec_lo, exec_lo, s0
.LBB272_23:
	s_delay_alu instid0(SALU_CYCLE_1)
	s_or_b32 exec_lo, exec_lo, s1
.LBB272_24:
	v_mbcnt_lo_u32_b32 v26, -1, 0
	s_delay_alu instid0(VALU_DEP_1) | instskip(NEXT) | instid1(VALU_DEP_1)
	v_or_b32_e32 v17, 32, v26
	v_cmp_gt_i32_e32 vcc_lo, 32, v17
	v_cndmask_b32_e32 v17, v26, v17, vcc_lo
	s_delay_alu instid0(VALU_DEP_1)
	v_lshlrev_b32_e32 v24, 2, v17
	ds_bpermute_b32 v17, v24, v15
	ds_bpermute_b32 v18, v24, v16
	ds_bpermute_b32 v19, v24, v9
	ds_bpermute_b32 v20, v24, v10
	ds_bpermute_b32 v21, v24, v13
	ds_bpermute_b32 v22, v24, v14
	ds_bpermute_b32 v23, v24, v11
	ds_bpermute_b32 v24, v24, v12
	s_waitcnt lgkmcnt(6)
	v_add_f64 v[15:16], v[15:16], v[17:18]
	v_xor_b32_e32 v17, 16, v26
	s_waitcnt lgkmcnt(4)
	v_add_f64 v[9:10], v[9:10], v[19:20]
	s_waitcnt lgkmcnt(2)
	v_add_f64 v[13:14], v[13:14], v[21:22]
	s_waitcnt lgkmcnt(0)
	v_add_f64 v[11:12], v[11:12], v[23:24]
	v_cmp_gt_i32_e32 vcc_lo, 32, v17
	v_cndmask_b32_e32 v17, v26, v17, vcc_lo
	s_delay_alu instid0(VALU_DEP_1)
	v_lshlrev_b32_e32 v24, 2, v17
	ds_bpermute_b32 v17, v24, v15
	ds_bpermute_b32 v18, v24, v16
	ds_bpermute_b32 v19, v24, v9
	ds_bpermute_b32 v20, v24, v10
	ds_bpermute_b32 v21, v24, v13
	ds_bpermute_b32 v22, v24, v14
	ds_bpermute_b32 v23, v24, v11
	ds_bpermute_b32 v24, v24, v12
	s_waitcnt lgkmcnt(6)
	v_add_f64 v[15:16], v[15:16], v[17:18]
	v_xor_b32_e32 v17, 8, v26
	s_waitcnt lgkmcnt(4)
	v_add_f64 v[9:10], v[9:10], v[19:20]
	s_waitcnt lgkmcnt(2)
	v_add_f64 v[13:14], v[13:14], v[21:22]
	s_waitcnt lgkmcnt(0)
	v_add_f64 v[11:12], v[11:12], v[23:24]
	v_cmp_gt_i32_e32 vcc_lo, 32, v17
	v_cndmask_b32_e32 v17, v26, v17, vcc_lo
	s_delay_alu instid0(VALU_DEP_1)
	v_lshlrev_b32_e32 v24, 2, v17
	ds_bpermute_b32 v17, v24, v15
	ds_bpermute_b32 v18, v24, v16
	ds_bpermute_b32 v19, v24, v9
	ds_bpermute_b32 v20, v24, v10
	ds_bpermute_b32 v21, v24, v13
	ds_bpermute_b32 v22, v24, v14
	ds_bpermute_b32 v23, v24, v11
	ds_bpermute_b32 v24, v24, v12
	s_waitcnt lgkmcnt(6)
	v_add_f64 v[15:16], v[15:16], v[17:18]
	v_xor_b32_e32 v17, 4, v26
	s_waitcnt lgkmcnt(4)
	v_add_f64 v[9:10], v[9:10], v[19:20]
	s_waitcnt lgkmcnt(2)
	v_add_f64 v[13:14], v[13:14], v[21:22]
	s_waitcnt lgkmcnt(0)
	v_add_f64 v[11:12], v[11:12], v[23:24]
	v_cmp_gt_i32_e32 vcc_lo, 32, v17
	v_cndmask_b32_e32 v17, v26, v17, vcc_lo
	s_delay_alu instid0(VALU_DEP_1)
	v_lshlrev_b32_e32 v24, 2, v17
	ds_bpermute_b32 v17, v24, v15
	ds_bpermute_b32 v18, v24, v16
	;; [unrolled: 1-line block ×8, first 2 shown]
	s_waitcnt lgkmcnt(6)
	v_add_f64 v[15:16], v[15:16], v[17:18]
	s_waitcnt lgkmcnt(4)
	v_add_f64 v[17:18], v[9:10], v[19:20]
	v_xor_b32_e32 v9, 2, v26
	s_waitcnt lgkmcnt(2)
	v_add_f64 v[13:14], v[13:14], v[21:22]
	s_waitcnt lgkmcnt(0)
	v_add_f64 v[19:20], v[11:12], v[23:24]
	v_cmp_gt_i32_e32 vcc_lo, 32, v9
	v_cndmask_b32_e32 v9, v26, v9, vcc_lo
	s_delay_alu instid0(VALU_DEP_1)
	v_lshlrev_b32_e32 v24, 2, v9
	ds_bpermute_b32 v9, v24, v15
	ds_bpermute_b32 v10, v24, v16
	;; [unrolled: 1-line block ×8, first 2 shown]
	s_waitcnt lgkmcnt(6)
	v_add_f64 v[9:10], v[15:16], v[9:10]
	s_waitcnt lgkmcnt(4)
	v_add_f64 v[15:16], v[17:18], v[11:12]
	v_xor_b32_e32 v17, 1, v26
	s_waitcnt lgkmcnt(2)
	v_add_f64 v[11:12], v[13:14], v[21:22]
	s_waitcnt lgkmcnt(0)
	v_add_f64 v[13:14], v[19:20], v[23:24]
	v_cmp_gt_i32_e32 vcc_lo, 32, v17
	v_cndmask_b32_e32 v17, v26, v17, vcc_lo
	v_cmp_eq_u32_e32 vcc_lo, 63, v25
	s_delay_alu instid0(VALU_DEP_2)
	v_lshlrev_b32_e32 v20, 2, v17
	ds_bpermute_b32 v23, v20, v9
	ds_bpermute_b32 v24, v20, v10
	;; [unrolled: 1-line block ×8, first 2 shown]
	s_and_b32 exec_lo, exec_lo, vcc_lo
	s_cbranch_execz .LBB272_29
; %bb.25:
	v_cmp_eq_f64_e32 vcc_lo, 0, v[4:5]
	v_cmp_eq_f64_e64 s0, 0, v[6:7]
	s_waitcnt lgkmcnt(6)
	v_add_f64 v[9:10], v[9:10], v[23:24]
	s_waitcnt lgkmcnt(4)
	v_add_f64 v[15:16], v[15:16], v[21:22]
	;; [unrolled: 2-line block ×4, first 2 shown]
	s_load_b64 s[2:3], s[2:3], 0x48
	s_and_b32 s0, vcc_lo, s0
	s_delay_alu instid0(SALU_CYCLE_1) | instskip(NEXT) | instid1(SALU_CYCLE_1)
	s_and_saveexec_b32 s1, s0
	s_xor_b32 s0, exec_lo, s1
	s_cbranch_execz .LBB272_27
; %bb.26:
	s_delay_alu instid0(VALU_DEP_3) | instskip(SKIP_1) | instid1(VALU_DEP_3)
	v_mul_f64 v[4:5], v[15:16], -v[2:3]
	v_mul_f64 v[6:7], v[0:1], v[15:16]
	v_mul_f64 v[15:16], v[13:14], -v[2:3]
	v_mul_f64 v[13:14], v[0:1], v[13:14]
	v_lshlrev_b32_e32 v8, 1, v8
	v_fma_f64 v[4:5], v[0:1], v[9:10], v[4:5]
	v_fma_f64 v[6:7], v[2:3], v[9:10], v[6:7]
	;; [unrolled: 1-line block ×4, first 2 shown]
	v_ashrrev_i32_e32 v9, 31, v8
                                        ; implicit-def: $vgpr15_vgpr16
                                        ; implicit-def: $vgpr11_vgpr12
                                        ; implicit-def: $vgpr13_vgpr14
	s_delay_alu instid0(VALU_DEP_1) | instskip(SKIP_1) | instid1(VALU_DEP_1)
	v_lshlrev_b64 v[8:9], 4, v[8:9]
	s_waitcnt lgkmcnt(0)
	v_add_co_u32 v8, vcc_lo, s2, v8
	s_delay_alu instid0(VALU_DEP_2)
	v_add_co_ci_u32_e32 v9, vcc_lo, s3, v9, vcc_lo
	s_clause 0x1
	global_store_b128 v[8:9], v[4:7], off
	global_store_b128 v[8:9], v[0:3], off offset:16
                                        ; implicit-def: $vgpr0_vgpr1
                                        ; implicit-def: $vgpr2_vgpr3
                                        ; implicit-def: $vgpr4_vgpr5
                                        ; implicit-def: $vgpr6_vgpr7
                                        ; implicit-def: $vgpr8
                                        ; implicit-def: $vgpr9_vgpr10
.LBB272_27:
	s_and_not1_saveexec_b32 s0, s0
	s_cbranch_execz .LBB272_29
; %bb.28:
	v_lshlrev_b32_e32 v17, 1, v8
	s_delay_alu instid0(VALU_DEP_4) | instskip(SKIP_1) | instid1(VALU_DEP_4)
	v_mul_f64 v[27:28], v[15:16], -v[2:3]
	v_mul_f64 v[15:16], v[0:1], v[15:16]
	v_mul_f64 v[29:30], v[13:14], -v[2:3]
	v_mul_f64 v[13:14], v[0:1], v[13:14]
	v_ashrrev_i32_e32 v18, 31, v17
	s_delay_alu instid0(VALU_DEP_1) | instskip(SKIP_1) | instid1(VALU_DEP_1)
	v_lshlrev_b64 v[17:18], 4, v[17:18]
	s_waitcnt lgkmcnt(0)
	v_add_co_u32 v25, vcc_lo, s2, v17
	s_delay_alu instid0(VALU_DEP_2)
	v_add_co_ci_u32_e32 v26, vcc_lo, s3, v18, vcc_lo
	s_clause 0x1
	global_load_b128 v[17:20], v[25:26], off
	global_load_b128 v[21:24], v[25:26], off offset:16
	v_fma_f64 v[27:28], v[0:1], v[9:10], v[27:28]
	v_fma_f64 v[8:9], v[2:3], v[9:10], v[15:16]
	;; [unrolled: 1-line block ×4, first 2 shown]
	s_waitcnt vmcnt(1)
	s_delay_alu instid0(VALU_DEP_4) | instskip(NEXT) | instid1(VALU_DEP_4)
	v_fma_f64 v[10:11], v[4:5], v[17:18], v[27:28]
	v_fma_f64 v[8:9], v[6:7], v[17:18], v[8:9]
	s_waitcnt vmcnt(0)
	s_delay_alu instid0(VALU_DEP_4) | instskip(NEXT) | instid1(VALU_DEP_4)
	v_fma_f64 v[12:13], v[4:5], v[21:22], v[0:1]
	v_fma_f64 v[14:15], v[6:7], v[21:22], v[2:3]
	s_delay_alu instid0(VALU_DEP_4) | instskip(NEXT) | instid1(VALU_DEP_4)
	v_fma_f64 v[0:1], -v[6:7], v[19:20], v[10:11]
	v_fma_f64 v[2:3], v[4:5], v[19:20], v[8:9]
	s_delay_alu instid0(VALU_DEP_4) | instskip(NEXT) | instid1(VALU_DEP_4)
	v_fma_f64 v[6:7], -v[6:7], v[23:24], v[12:13]
	v_fma_f64 v[8:9], v[4:5], v[23:24], v[14:15]
	s_clause 0x1
	global_store_b128 v[25:26], v[0:3], off
	global_store_b128 v[25:26], v[6:9], off offset:16
.LBB272_29:
	s_nop 0
	s_sendmsg sendmsg(MSG_DEALLOC_VGPRS)
	s_endpgm
	.section	.rodata,"a",@progbits
	.p2align	6, 0x0
	.amdhsa_kernel _ZN9rocsparseL19gebsrmvn_2xn_kernelILj128ELj10ELj64E21rocsparse_complex_numIdEEEvi20rocsparse_direction_NS_24const_host_device_scalarIT2_EEPKiS8_PKS5_SA_S6_PS5_21rocsparse_index_base_b
		.amdhsa_group_segment_fixed_size 2048
		.amdhsa_private_segment_fixed_size 0
		.amdhsa_kernarg_size 88
		.amdhsa_user_sgpr_count 15
		.amdhsa_user_sgpr_dispatch_ptr 1
		.amdhsa_user_sgpr_queue_ptr 0
		.amdhsa_user_sgpr_kernarg_segment_ptr 1
		.amdhsa_user_sgpr_dispatch_id 0
		.amdhsa_user_sgpr_private_segment_size 0
		.amdhsa_wavefront_size32 1
		.amdhsa_uses_dynamic_stack 0
		.amdhsa_enable_private_segment 0
		.amdhsa_system_sgpr_workgroup_id_x 1
		.amdhsa_system_sgpr_workgroup_id_y 0
		.amdhsa_system_sgpr_workgroup_id_z 0
		.amdhsa_system_sgpr_workgroup_info 0
		.amdhsa_system_vgpr_workitem_id 2
		.amdhsa_next_free_vgpr 50
		.amdhsa_next_free_sgpr 18
		.amdhsa_reserve_vcc 1
		.amdhsa_float_round_mode_32 0
		.amdhsa_float_round_mode_16_64 0
		.amdhsa_float_denorm_mode_32 3
		.amdhsa_float_denorm_mode_16_64 3
		.amdhsa_dx10_clamp 1
		.amdhsa_ieee_mode 1
		.amdhsa_fp16_overflow 0
		.amdhsa_workgroup_processor_mode 1
		.amdhsa_memory_ordered 1
		.amdhsa_forward_progress 0
		.amdhsa_shared_vgpr_count 0
		.amdhsa_exception_fp_ieee_invalid_op 0
		.amdhsa_exception_fp_denorm_src 0
		.amdhsa_exception_fp_ieee_div_zero 0
		.amdhsa_exception_fp_ieee_overflow 0
		.amdhsa_exception_fp_ieee_underflow 0
		.amdhsa_exception_fp_ieee_inexact 0
		.amdhsa_exception_int_div_zero 0
	.end_amdhsa_kernel
	.section	.text._ZN9rocsparseL19gebsrmvn_2xn_kernelILj128ELj10ELj64E21rocsparse_complex_numIdEEEvi20rocsparse_direction_NS_24const_host_device_scalarIT2_EEPKiS8_PKS5_SA_S6_PS5_21rocsparse_index_base_b,"axG",@progbits,_ZN9rocsparseL19gebsrmvn_2xn_kernelILj128ELj10ELj64E21rocsparse_complex_numIdEEEvi20rocsparse_direction_NS_24const_host_device_scalarIT2_EEPKiS8_PKS5_SA_S6_PS5_21rocsparse_index_base_b,comdat
.Lfunc_end272:
	.size	_ZN9rocsparseL19gebsrmvn_2xn_kernelILj128ELj10ELj64E21rocsparse_complex_numIdEEEvi20rocsparse_direction_NS_24const_host_device_scalarIT2_EEPKiS8_PKS5_SA_S6_PS5_21rocsparse_index_base_b, .Lfunc_end272-_ZN9rocsparseL19gebsrmvn_2xn_kernelILj128ELj10ELj64E21rocsparse_complex_numIdEEEvi20rocsparse_direction_NS_24const_host_device_scalarIT2_EEPKiS8_PKS5_SA_S6_PS5_21rocsparse_index_base_b
                                        ; -- End function
	.section	.AMDGPU.csdata,"",@progbits
; Kernel info:
; codeLenInByte = 2780
; NumSgprs: 20
; NumVgprs: 50
; ScratchSize: 0
; MemoryBound: 0
; FloatMode: 240
; IeeeMode: 1
; LDSByteSize: 2048 bytes/workgroup (compile time only)
; SGPRBlocks: 2
; VGPRBlocks: 6
; NumSGPRsForWavesPerEU: 20
; NumVGPRsForWavesPerEU: 50
; Occupancy: 16
; WaveLimiterHint : 1
; COMPUTE_PGM_RSRC2:SCRATCH_EN: 0
; COMPUTE_PGM_RSRC2:USER_SGPR: 15
; COMPUTE_PGM_RSRC2:TRAP_HANDLER: 0
; COMPUTE_PGM_RSRC2:TGID_X_EN: 1
; COMPUTE_PGM_RSRC2:TGID_Y_EN: 0
; COMPUTE_PGM_RSRC2:TGID_Z_EN: 0
; COMPUTE_PGM_RSRC2:TIDIG_COMP_CNT: 2
	.section	.text._ZN9rocsparseL19gebsrmvn_2xn_kernelILj128ELj11ELj4E21rocsparse_complex_numIdEEEvi20rocsparse_direction_NS_24const_host_device_scalarIT2_EEPKiS8_PKS5_SA_S6_PS5_21rocsparse_index_base_b,"axG",@progbits,_ZN9rocsparseL19gebsrmvn_2xn_kernelILj128ELj11ELj4E21rocsparse_complex_numIdEEEvi20rocsparse_direction_NS_24const_host_device_scalarIT2_EEPKiS8_PKS5_SA_S6_PS5_21rocsparse_index_base_b,comdat
	.globl	_ZN9rocsparseL19gebsrmvn_2xn_kernelILj128ELj11ELj4E21rocsparse_complex_numIdEEEvi20rocsparse_direction_NS_24const_host_device_scalarIT2_EEPKiS8_PKS5_SA_S6_PS5_21rocsparse_index_base_b ; -- Begin function _ZN9rocsparseL19gebsrmvn_2xn_kernelILj128ELj11ELj4E21rocsparse_complex_numIdEEEvi20rocsparse_direction_NS_24const_host_device_scalarIT2_EEPKiS8_PKS5_SA_S6_PS5_21rocsparse_index_base_b
	.p2align	8
	.type	_ZN9rocsparseL19gebsrmvn_2xn_kernelILj128ELj11ELj4E21rocsparse_complex_numIdEEEvi20rocsparse_direction_NS_24const_host_device_scalarIT2_EEPKiS8_PKS5_SA_S6_PS5_21rocsparse_index_base_b,@function
_ZN9rocsparseL19gebsrmvn_2xn_kernelILj128ELj11ELj4E21rocsparse_complex_numIdEEEvi20rocsparse_direction_NS_24const_host_device_scalarIT2_EEPKiS8_PKS5_SA_S6_PS5_21rocsparse_index_base_b: ; @_ZN9rocsparseL19gebsrmvn_2xn_kernelILj128ELj11ELj4E21rocsparse_complex_numIdEEEvi20rocsparse_direction_NS_24const_host_device_scalarIT2_EEPKiS8_PKS5_SA_S6_PS5_21rocsparse_index_base_b
; %bb.0:
	s_load_b64 s[12:13], s[2:3], 0x50
	s_load_b64 s[16:17], s[0:1], 0x4
	s_load_b128 s[8:11], s[2:3], 0x8
	v_bfe_u32 v1, v0, 10, 10
	s_mov_b64 s[0:1], src_shared_base
	s_load_b128 s[4:7], s[2:3], 0x38
	v_and_b32_e32 v12, 0x3ff, v0
	v_bfe_u32 v0, v0, 20, 10
	s_waitcnt lgkmcnt(0)
	s_bitcmp1_b32 s13, 0
	v_mul_u32_u24_e32 v1, s17, v1
	s_cselect_b32 s0, -1, 0
	s_delay_alu instid0(SALU_CYCLE_1)
	s_and_b32 vcc_lo, s0, exec_lo
	s_cselect_b32 s13, s1, s9
	s_lshr_b32 s14, s16, 16
	v_dual_mov_b32 v2, s4 :: v_dual_mov_b32 v3, s5
	s_mul_i32 s14, s14, s17
	v_mov_b32_e32 v6, s13
	v_mad_u32_u24 v1, s14, v12, v1
	s_delay_alu instid0(VALU_DEP_1) | instskip(SKIP_1) | instid1(VALU_DEP_2)
	v_add_lshl_u32 v4, v1, v0, 3
	v_dual_mov_b32 v0, s8 :: v_dual_mov_b32 v1, s9
	v_add_nc_u32_e32 v5, 0x400, v4
	ds_store_2addr_stride64_b64 v4, v[2:3], v[0:1] offset1:2
	v_dual_mov_b32 v2, s10 :: v_dual_mov_b32 v3, s11
	v_cndmask_b32_e64 v5, s8, v5, s0
	s_xor_b32 s10, s0, -1
	flat_load_b64 v[0:1], v[5:6]
	s_cbranch_vccnz .LBB273_2
; %bb.1:
	v_dual_mov_b32 v2, s8 :: v_dual_mov_b32 v3, s9
	flat_load_b64 v[2:3], v[2:3] offset:8
.LBB273_2:
	s_and_b32 s8, s0, exec_lo
	s_cselect_b32 s1, s1, s5
	v_cndmask_b32_e64 v4, s4, v4, s0
	v_dual_mov_b32 v5, s1 :: v_dual_mov_b32 v6, s6
	v_mov_b32_e32 v7, s7
	s_and_not1_b32 vcc_lo, exec_lo, s10
	flat_load_b64 v[4:5], v[4:5]
	s_cbranch_vccnz .LBB273_4
; %bb.3:
	v_dual_mov_b32 v7, s5 :: v_dual_mov_b32 v6, s4
	flat_load_b64 v[6:7], v[6:7] offset:8
.LBB273_4:
	s_waitcnt vmcnt(1) lgkmcnt(1)
	v_cmp_eq_f64_e32 vcc_lo, 0, v[0:1]
	v_cmp_eq_f64_e64 s0, 0, v[2:3]
	s_delay_alu instid0(VALU_DEP_1)
	s_and_b32 s4, vcc_lo, s0
	s_mov_b32 s0, -1
	s_and_saveexec_b32 s1, s4
	s_cbranch_execz .LBB273_6
; %bb.5:
	s_waitcnt vmcnt(0) lgkmcnt(0)
	v_cmp_neq_f64_e32 vcc_lo, 1.0, v[4:5]
	v_cmp_neq_f64_e64 s0, 0, v[6:7]
	s_delay_alu instid0(VALU_DEP_1) | instskip(NEXT) | instid1(SALU_CYCLE_1)
	s_or_b32 s0, vcc_lo, s0
	s_or_not1_b32 s0, s0, exec_lo
.LBB273_6:
	s_or_b32 exec_lo, exec_lo, s1
	s_and_saveexec_b32 s1, s0
	s_cbranch_execz .LBB273_33
; %bb.7:
	s_load_b64 s[0:1], s[2:3], 0x0
	v_lshrrev_b32_e32 v8, 2, v12
	s_delay_alu instid0(VALU_DEP_1) | instskip(SKIP_1) | instid1(VALU_DEP_1)
	v_lshl_or_b32 v8, s15, 5, v8
	s_waitcnt lgkmcnt(0)
	v_cmp_gt_i32_e32 vcc_lo, s0, v8
	s_and_b32 exec_lo, exec_lo, vcc_lo
	s_cbranch_execz .LBB273_33
; %bb.8:
	s_load_b256 s[4:11], s[2:3], 0x18
	v_ashrrev_i32_e32 v9, 31, v8
	v_and_b32_e32 v32, 3, v12
	s_cmp_lg_u32 s1, 0
	s_delay_alu instid0(VALU_DEP_2) | instskip(SKIP_1) | instid1(VALU_DEP_1)
	v_lshlrev_b64 v[9:10], 2, v[8:9]
	s_waitcnt lgkmcnt(0)
	v_add_co_u32 v9, vcc_lo, s4, v9
	s_delay_alu instid0(VALU_DEP_2) | instskip(SKIP_4) | instid1(VALU_DEP_2)
	v_add_co_ci_u32_e32 v10, vcc_lo, s5, v10, vcc_lo
	global_load_b64 v[10:11], v[9:10], off
	s_waitcnt vmcnt(0)
	v_subrev_nc_u32_e32 v9, s12, v10
	v_subrev_nc_u32_e32 v33, s12, v11
	v_add_nc_u32_e32 v9, v9, v32
	s_delay_alu instid0(VALU_DEP_1)
	v_cmp_lt_i32_e64 s0, v9, v33
	s_cbranch_scc0 .LBB273_16
; %bb.9:
	v_mov_b32_e32 v11, 0
	v_mov_b32_e32 v12, 0
	s_delay_alu instid0(VALU_DEP_1)
	v_dual_mov_b32 v14, v12 :: v_dual_mov_b32 v13, v11
	v_dual_mov_b32 v16, v12 :: v_dual_mov_b32 v15, v11
	;; [unrolled: 1-line block ×3, first 2 shown]
	s_and_saveexec_b32 s1, s0
	s_cbranch_execz .LBB273_18
; %bb.10:
	v_mul_lo_u32 v13, v10, 22
	v_dual_mov_b32 v11, 0 :: v_dual_mov_b32 v20, 0
	v_dual_mov_b32 v12, 0 :: v_dual_mov_b32 v21, v9
	v_mul_lo_u32 v34, v9, 22
	s_mul_i32 s4, s12, 22
	s_delay_alu instid0(VALU_DEP_2) | instskip(SKIP_2) | instid1(VALU_DEP_2)
	v_dual_mov_b32 v16, v12 :: v_dual_mov_b32 v15, v11
	v_mad_u32_u24 v17, v32, 22, v13
	v_dual_mov_b32 v14, v12 :: v_dual_mov_b32 v13, v11
	v_subrev_nc_u32_e32 v35, s4, v17
	v_dual_mov_b32 v18, v12 :: v_dual_mov_b32 v17, v11
	s_mov_b32 s4, 0
	s_branch .LBB273_12
.LBB273_11:                             ;   in Loop: Header=BB273_12 Depth=1
	v_add_nc_u32_e32 v21, 4, v21
	v_add_nc_u32_e32 v34, 0x58, v34
	;; [unrolled: 1-line block ×3, first 2 shown]
	s_delay_alu instid0(VALU_DEP_3) | instskip(SKIP_1) | instid1(SALU_CYCLE_1)
	v_cmp_ge_i32_e32 vcc_lo, v21, v33
	s_or_b32 s4, vcc_lo, s4
	s_and_not1_b32 exec_lo, exec_lo, s4
	s_cbranch_execz .LBB273_17
.LBB273_12:                             ; =>This Loop Header: Depth=1
                                        ;     Child Loop BB273_14 Depth 2
	v_ashrrev_i32_e32 v22, 31, v21
	v_dual_mov_b32 v25, v12 :: v_dual_mov_b32 v24, v11
	v_dual_mov_b32 v27, v14 :: v_dual_mov_b32 v26, v13
	s_delay_alu instid0(VALU_DEP_3) | instskip(SKIP_3) | instid1(VALU_DEP_3)
	v_lshlrev_b64 v[22:23], 2, v[21:22]
	v_dual_mov_b32 v29, v16 :: v_dual_mov_b32 v28, v15
	v_dual_mov_b32 v31, v18 :: v_dual_mov_b32 v30, v17
	s_mov_b32 s5, 0
	v_add_co_u32 v22, vcc_lo, s6, v22
	s_delay_alu instid0(VALU_DEP_4) | instskip(SKIP_3) | instid1(VALU_DEP_1)
	v_add_co_ci_u32_e32 v23, vcc_lo, s7, v23, vcc_lo
	global_load_b32 v19, v[22:23], off
	s_waitcnt vmcnt(0)
	v_subrev_nc_u32_e32 v19, s12, v19
	v_mul_lo_u32 v22, v19, 11
	s_branch .LBB273_14
.LBB273_13:                             ;   in Loop: Header=BB273_12 Depth=1
                                        ; implicit-def: $vgpr30_vgpr31
                                        ; implicit-def: $vgpr28_vgpr29
                                        ; implicit-def: $vgpr26_vgpr27
                                        ; implicit-def: $vgpr24_vgpr25
                                        ; implicit-def: $sgpr5
                                        ; implicit-def: $vgpr22
	s_branch .LBB273_11
.LBB273_14:                             ;   Parent Loop BB273_12 Depth=1
                                        ; =>  This Inner Loop Header: Depth=2
	v_add_nc_u32_e32 v19, s5, v35
	v_mov_b32_e32 v23, v20
	s_cmp_eq_u32 s5, 16
	s_delay_alu instid0(VALU_DEP_2) | instskip(NEXT) | instid1(VALU_DEP_2)
	v_lshlrev_b64 v[11:12], 4, v[19:20]
	v_lshlrev_b64 v[13:14], 4, v[22:23]
	v_add_nc_u32_e32 v23, s5, v34
	s_delay_alu instid0(VALU_DEP_3) | instskip(NEXT) | instid1(VALU_DEP_4)
	v_add_co_u32 v36, vcc_lo, s8, v11
	v_add_co_ci_u32_e32 v37, vcc_lo, s9, v12, vcc_lo
	s_delay_alu instid0(VALU_DEP_4)
	v_add_co_u32 v15, vcc_lo, s10, v13
	v_add_co_ci_u32_e32 v16, vcc_lo, s11, v14, vcc_lo
	v_add_nc_u32_e32 v19, 2, v23
	global_load_b128 v[11:14], v[36:37], off
	global_load_b128 v[15:18], v[15:16], off
	global_load_b128 v[36:39], v[36:37], off offset:16
	v_lshlrev_b64 v[40:41], 4, v[19:20]
	v_add_nc_u32_e32 v19, 1, v22
	s_delay_alu instid0(VALU_DEP_1) | instskip(NEXT) | instid1(VALU_DEP_3)
	v_lshlrev_b64 v[42:43], 4, v[19:20]
	v_add_co_u32 v48, vcc_lo, s8, v40
	s_delay_alu instid0(VALU_DEP_4) | instskip(SKIP_1) | instid1(VALU_DEP_4)
	v_add_co_ci_u32_e32 v49, vcc_lo, s9, v41, vcc_lo
	v_add_nc_u32_e32 v19, 4, v23
	v_add_co_u32 v44, vcc_lo, s10, v42
	v_add_co_ci_u32_e32 v45, vcc_lo, s11, v43, vcc_lo
	global_load_b128 v[40:43], v[48:49], off
	global_load_b128 v[44:47], v[44:45], off
	global_load_b128 v[48:51], v[48:49], off offset:16
	v_lshlrev_b64 v[52:53], 4, v[19:20]
	v_add_nc_u32_e32 v19, 2, v22
	s_delay_alu instid0(VALU_DEP_1) | instskip(NEXT) | instid1(VALU_DEP_3)
	v_lshlrev_b64 v[54:55], 4, v[19:20]
	v_add_co_u32 v60, vcc_lo, s8, v52
	s_delay_alu instid0(VALU_DEP_4) | instskip(NEXT) | instid1(VALU_DEP_3)
	v_add_co_ci_u32_e32 v61, vcc_lo, s9, v53, vcc_lo
	v_add_co_u32 v56, vcc_lo, s10, v54
	s_delay_alu instid0(VALU_DEP_4)
	v_add_co_ci_u32_e32 v57, vcc_lo, s11, v55, vcc_lo
	global_load_b128 v[52:55], v[60:61], off
	global_load_b128 v[56:59], v[56:57], off
	global_load_b128 v[60:63], v[60:61], off offset:16
	s_waitcnt vmcnt(7)
	v_fma_f64 v[26:27], v[11:12], v[15:16], v[26:27]
	v_fma_f64 v[24:25], v[13:14], v[15:16], v[24:25]
	s_waitcnt vmcnt(6)
	v_fma_f64 v[28:29], v[36:37], v[15:16], v[28:29]
	v_fma_f64 v[15:16], v[38:39], v[15:16], v[30:31]
	s_delay_alu instid0(VALU_DEP_4) | instskip(NEXT) | instid1(VALU_DEP_4)
	v_fma_f64 v[13:14], -v[13:14], v[17:18], v[26:27]
	v_fma_f64 v[11:12], v[11:12], v[17:18], v[24:25]
	s_delay_alu instid0(VALU_DEP_4) | instskip(NEXT) | instid1(VALU_DEP_4)
	v_fma_f64 v[24:25], -v[38:39], v[17:18], v[28:29]
	v_fma_f64 v[15:16], v[36:37], v[17:18], v[15:16]
	s_waitcnt vmcnt(4)
	s_delay_alu instid0(VALU_DEP_4) | instskip(NEXT) | instid1(VALU_DEP_4)
	v_fma_f64 v[13:14], v[40:41], v[44:45], v[13:14]
	v_fma_f64 v[11:12], v[42:43], v[44:45], v[11:12]
	s_waitcnt vmcnt(3)
	s_delay_alu instid0(VALU_DEP_4) | instskip(NEXT) | instid1(VALU_DEP_4)
	v_fma_f64 v[17:18], v[48:49], v[44:45], v[24:25]
	v_fma_f64 v[15:16], v[50:51], v[44:45], v[15:16]
	s_delay_alu instid0(VALU_DEP_4) | instskip(NEXT) | instid1(VALU_DEP_4)
	v_fma_f64 v[13:14], -v[42:43], v[46:47], v[13:14]
	v_fma_f64 v[11:12], v[40:41], v[46:47], v[11:12]
	s_delay_alu instid0(VALU_DEP_4) | instskip(NEXT) | instid1(VALU_DEP_4)
	v_fma_f64 v[17:18], -v[50:51], v[46:47], v[17:18]
	v_fma_f64 v[15:16], v[48:49], v[46:47], v[15:16]
	s_waitcnt vmcnt(1)
	s_delay_alu instid0(VALU_DEP_4) | instskip(NEXT) | instid1(VALU_DEP_4)
	v_fma_f64 v[13:14], v[52:53], v[56:57], v[13:14]
	v_fma_f64 v[11:12], v[54:55], v[56:57], v[11:12]
	s_waitcnt vmcnt(0)
	s_delay_alu instid0(VALU_DEP_4) | instskip(NEXT) | instid1(VALU_DEP_4)
	v_fma_f64 v[17:18], v[60:61], v[56:57], v[17:18]
	v_fma_f64 v[24:25], v[62:63], v[56:57], v[15:16]
	s_delay_alu instid0(VALU_DEP_4) | instskip(NEXT) | instid1(VALU_DEP_4)
	v_fma_f64 v[13:14], -v[54:55], v[58:59], v[13:14]
	v_fma_f64 v[11:12], v[52:53], v[58:59], v[11:12]
	s_delay_alu instid0(VALU_DEP_4) | instskip(NEXT) | instid1(VALU_DEP_4)
	v_fma_f64 v[15:16], -v[62:63], v[58:59], v[17:18]
	v_fma_f64 v[17:18], v[60:61], v[58:59], v[24:25]
	s_cbranch_scc1 .LBB273_13
; %bb.15:                               ;   in Loop: Header=BB273_14 Depth=2
	v_add_nc_u32_e32 v19, 6, v23
	s_add_i32 s5, s5, 8
	s_delay_alu instid0(VALU_DEP_1) | instskip(SKIP_2) | instid1(VALU_DEP_2)
	v_lshlrev_b64 v[23:24], 4, v[19:20]
	v_add_nc_u32_e32 v19, 3, v22
	v_add_nc_u32_e32 v22, 4, v22
	v_lshlrev_b64 v[25:26], 4, v[19:20]
	s_delay_alu instid0(VALU_DEP_4) | instskip(SKIP_1) | instid1(VALU_DEP_3)
	v_add_co_u32 v36, vcc_lo, s8, v23
	v_add_co_ci_u32_e32 v37, vcc_lo, s9, v24, vcc_lo
	v_add_co_u32 v27, vcc_lo, s10, v25
	s_delay_alu instid0(VALU_DEP_4)
	v_add_co_ci_u32_e32 v28, vcc_lo, s11, v26, vcc_lo
	global_load_b128 v[23:26], v[36:37], off
	global_load_b128 v[28:31], v[27:28], off
	global_load_b128 v[36:39], v[36:37], off offset:16
	s_waitcnt vmcnt(1)
	v_fma_f64 v[40:41], v[23:24], v[28:29], v[13:14]
	v_fma_f64 v[42:43], v[25:26], v[28:29], v[11:12]
	s_waitcnt vmcnt(0)
	v_fma_f64 v[44:45], v[36:37], v[28:29], v[15:16]
	v_fma_f64 v[46:47], v[38:39], v[28:29], v[17:18]
	s_delay_alu instid0(VALU_DEP_4) | instskip(NEXT) | instid1(VALU_DEP_4)
	v_fma_f64 v[26:27], -v[25:26], v[30:31], v[40:41]
	v_fma_f64 v[24:25], v[23:24], v[30:31], v[42:43]
	s_delay_alu instid0(VALU_DEP_4) | instskip(NEXT) | instid1(VALU_DEP_4)
	v_fma_f64 v[28:29], -v[38:39], v[30:31], v[44:45]
	v_fma_f64 v[30:31], v[36:37], v[30:31], v[46:47]
	s_cbranch_execnz .LBB273_14
	s_branch .LBB273_11
.LBB273_16:
                                        ; implicit-def: $vgpr11_vgpr12
                                        ; implicit-def: $vgpr13_vgpr14
                                        ; implicit-def: $vgpr15_vgpr16
                                        ; implicit-def: $vgpr17_vgpr18
	s_branch .LBB273_19
.LBB273_17:
	s_or_b32 exec_lo, exec_lo, s4
.LBB273_18:
	s_delay_alu instid0(SALU_CYCLE_1)
	s_or_b32 exec_lo, exec_lo, s1
	s_cbranch_execnz .LBB273_28
.LBB273_19:
	v_mov_b32_e32 v11, 0
	v_mov_b32_e32 v12, 0
	s_delay_alu instid0(VALU_DEP_1)
	v_dual_mov_b32 v14, v12 :: v_dual_mov_b32 v13, v11
	v_dual_mov_b32 v16, v12 :: v_dual_mov_b32 v15, v11
	;; [unrolled: 1-line block ×3, first 2 shown]
	s_and_saveexec_b32 s1, s0
	s_cbranch_execz .LBB273_27
; %bb.20:
	v_mul_lo_u32 v10, v10, 22
	v_dual_mov_b32 v11, 0 :: v_dual_mov_b32 v20, 0
	v_mov_b32_e32 v12, 0
	v_mul_lo_u32 v29, v9, 22
	s_mul_i32 s0, s12, 22
	s_delay_alu instid0(VALU_DEP_2) | instskip(SKIP_3) | instid1(VALU_DEP_3)
	v_dual_mov_b32 v14, v12 :: v_dual_mov_b32 v13, v11
	v_mad_u32_u24 v10, v32, 22, v10
	v_dual_mov_b32 v16, v12 :: v_dual_mov_b32 v15, v11
	v_dual_mov_b32 v18, v12 :: v_dual_mov_b32 v17, v11
	v_subrev_nc_u32_e32 v30, s0, v10
	s_mov_b32 s0, 0
	s_branch .LBB273_22
.LBB273_21:                             ;   in Loop: Header=BB273_22 Depth=1
	v_add_nc_u32_e32 v9, 4, v9
	v_add_nc_u32_e32 v29, 0x58, v29
	;; [unrolled: 1-line block ×3, first 2 shown]
	s_delay_alu instid0(VALU_DEP_3) | instskip(SKIP_1) | instid1(SALU_CYCLE_1)
	v_cmp_ge_i32_e32 vcc_lo, v9, v33
	s_or_b32 s0, vcc_lo, s0
	s_and_not1_b32 exec_lo, exec_lo, s0
	s_cbranch_execz .LBB273_26
.LBB273_22:                             ; =>This Loop Header: Depth=1
                                        ;     Child Loop BB273_24 Depth 2
	v_ashrrev_i32_e32 v10, 31, v9
	v_dual_mov_b32 v24, v14 :: v_dual_mov_b32 v23, v13
	v_dual_mov_b32 v26, v16 :: v_dual_mov_b32 v25, v15
	s_delay_alu instid0(VALU_DEP_3) | instskip(SKIP_2) | instid1(VALU_DEP_2)
	v_lshlrev_b64 v[21:22], 2, v[9:10]
	v_dual_mov_b32 v28, v18 :: v_dual_mov_b32 v27, v17
	s_mov_b32 s4, 0
	v_add_co_u32 v21, vcc_lo, s6, v21
	s_delay_alu instid0(VALU_DEP_3) | instskip(SKIP_4) | instid1(VALU_DEP_1)
	v_add_co_ci_u32_e32 v22, vcc_lo, s7, v22, vcc_lo
	global_load_b32 v10, v[21:22], off
	v_dual_mov_b32 v22, v12 :: v_dual_mov_b32 v21, v11
	s_waitcnt vmcnt(0)
	v_subrev_nc_u32_e32 v10, s12, v10
	v_mul_lo_u32 v10, v10, 11
	s_branch .LBB273_24
.LBB273_23:                             ;   in Loop: Header=BB273_22 Depth=1
                                        ; implicit-def: $vgpr27_vgpr28
                                        ; implicit-def: $vgpr25_vgpr26
                                        ; implicit-def: $vgpr23_vgpr24
                                        ; implicit-def: $vgpr21_vgpr22
                                        ; implicit-def: $sgpr4
	s_branch .LBB273_21
.LBB273_24:                             ;   Parent Loop BB273_22 Depth=1
                                        ; =>  This Inner Loop Header: Depth=2
	v_dual_mov_b32 v12, v20 :: v_dual_add_nc_u32 v19, s4, v30
	v_add_nc_u32_e32 v31, s4, v29
	v_mov_b32_e32 v43, v20
	v_mov_b32_e32 v51, v20
	s_delay_alu instid0(VALU_DEP_4) | instskip(SKIP_4) | instid1(VALU_DEP_4)
	v_lshlrev_b64 v[13:14], 4, v[19:20]
	v_add_nc_u32_e32 v19, s4, v10
	v_add_nc_u32_e32 v50, 2, v31
	v_add_nc_u32_e32 v11, 11, v31
	v_dual_mov_b32 v41, v20 :: v_dual_add_nc_u32 v42, 12, v31
	v_add_nc_u32_e32 v40, 1, v19
	v_lshlrev_b64 v[15:16], 4, v[19:20]
	s_delay_alu instid0(VALU_DEP_4) | instskip(SKIP_2) | instid1(VALU_DEP_4)
	v_lshlrev_b64 v[11:12], 4, v[11:12]
	v_add_co_u32 v38, vcc_lo, s8, v13
	v_add_co_ci_u32_e32 v39, vcc_lo, s9, v14, vcc_lo
	v_add_co_u32 v15, vcc_lo, s10, v15
	v_add_co_ci_u32_e32 v16, vcc_lo, s11, v16, vcc_lo
	;; [unrolled: 2-line block ×3, first 2 shown]
	global_load_b128 v[11:14], v[38:39], off
	global_load_b128 v[15:18], v[15:16], off
	;; [unrolled: 1-line block ×3, first 2 shown]
	v_lshlrev_b64 v[40:41], 4, v[40:41]
	v_lshlrev_b64 v[42:43], 4, v[42:43]
	v_dual_mov_b32 v53, v20 :: v_dual_add_nc_u32 v52, 2, v19
	v_lshlrev_b64 v[50:51], 4, v[50:51]
	s_cmp_eq_u32 s4, 8
	s_delay_alu instid0(VALU_DEP_4)
	v_add_co_u32 v44, vcc_lo, s10, v40
	v_add_co_ci_u32_e32 v45, vcc_lo, s11, v41, vcc_lo
	v_add_co_u32 v58, vcc_lo, s8, v42
	v_add_co_ci_u32_e32 v59, vcc_lo, s9, v43, vcc_lo
	global_load_b128 v[38:41], v[38:39], off offset:16
	global_load_b128 v[42:45], v[44:45], off
	global_load_b128 v[46:49], v[58:59], off
	v_lshlrev_b64 v[52:53], 4, v[52:53]
	v_add_co_u32 v50, vcc_lo, s8, v50
	v_add_co_ci_u32_e32 v51, vcc_lo, s9, v51, vcc_lo
	s_delay_alu instid0(VALU_DEP_3) | instskip(NEXT) | instid1(VALU_DEP_4)
	v_add_co_u32 v54, vcc_lo, s10, v52
	v_add_co_ci_u32_e32 v55, vcc_lo, s11, v53, vcc_lo
	global_load_b128 v[50:53], v[50:51], off
	global_load_b128 v[54:57], v[54:55], off
	global_load_b128 v[58:61], v[58:59], off offset:16
	s_waitcnt vmcnt(7)
	v_fma_f64 v[23:24], v[11:12], v[15:16], v[23:24]
	v_fma_f64 v[21:22], v[13:14], v[15:16], v[21:22]
	s_waitcnt vmcnt(6)
	v_fma_f64 v[25:26], v[34:35], v[15:16], v[25:26]
	v_fma_f64 v[15:16], v[36:37], v[15:16], v[27:28]
	s_delay_alu instid0(VALU_DEP_4) | instskip(NEXT) | instid1(VALU_DEP_4)
	v_fma_f64 v[13:14], -v[13:14], v[17:18], v[23:24]
	v_fma_f64 v[11:12], v[11:12], v[17:18], v[21:22]
	s_delay_alu instid0(VALU_DEP_4) | instskip(NEXT) | instid1(VALU_DEP_4)
	v_fma_f64 v[21:22], -v[36:37], v[17:18], v[25:26]
	v_fma_f64 v[15:16], v[34:35], v[17:18], v[15:16]
	s_waitcnt vmcnt(4)
	s_delay_alu instid0(VALU_DEP_4) | instskip(NEXT) | instid1(VALU_DEP_4)
	v_fma_f64 v[13:14], v[38:39], v[42:43], v[13:14]
	v_fma_f64 v[11:12], v[40:41], v[42:43], v[11:12]
	s_waitcnt vmcnt(3)
	s_delay_alu instid0(VALU_DEP_4) | instskip(NEXT) | instid1(VALU_DEP_4)
	v_fma_f64 v[17:18], v[46:47], v[42:43], v[21:22]
	v_fma_f64 v[15:16], v[48:49], v[42:43], v[15:16]
	s_delay_alu instid0(VALU_DEP_4) | instskip(NEXT) | instid1(VALU_DEP_4)
	v_fma_f64 v[13:14], -v[40:41], v[44:45], v[13:14]
	v_fma_f64 v[11:12], v[38:39], v[44:45], v[11:12]
	s_delay_alu instid0(VALU_DEP_4) | instskip(NEXT) | instid1(VALU_DEP_4)
	v_fma_f64 v[17:18], -v[48:49], v[44:45], v[17:18]
	v_fma_f64 v[15:16], v[46:47], v[44:45], v[15:16]
	s_waitcnt vmcnt(1)
	s_delay_alu instid0(VALU_DEP_4) | instskip(NEXT) | instid1(VALU_DEP_4)
	v_fma_f64 v[13:14], v[50:51], v[54:55], v[13:14]
	v_fma_f64 v[11:12], v[52:53], v[54:55], v[11:12]
	s_waitcnt vmcnt(0)
	s_delay_alu instid0(VALU_DEP_4) | instskip(NEXT) | instid1(VALU_DEP_4)
	v_fma_f64 v[17:18], v[58:59], v[54:55], v[17:18]
	v_fma_f64 v[21:22], v[60:61], v[54:55], v[15:16]
	s_delay_alu instid0(VALU_DEP_4) | instskip(NEXT) | instid1(VALU_DEP_4)
	v_fma_f64 v[13:14], -v[52:53], v[56:57], v[13:14]
	v_fma_f64 v[11:12], v[50:51], v[56:57], v[11:12]
	s_delay_alu instid0(VALU_DEP_4) | instskip(NEXT) | instid1(VALU_DEP_4)
	v_fma_f64 v[15:16], -v[60:61], v[56:57], v[17:18]
	v_fma_f64 v[17:18], v[58:59], v[56:57], v[21:22]
	s_cbranch_scc1 .LBB273_23
; %bb.25:                               ;   in Loop: Header=BB273_24 Depth=2
	v_dual_mov_b32 v22, v20 :: v_dual_add_nc_u32 v19, 3, v19
	v_add_nc_u32_e32 v21, 3, v31
	s_add_i32 s4, s4, 4
	s_delay_alu instid0(VALU_DEP_2) | instskip(SKIP_1) | instid1(VALU_DEP_3)
	v_lshlrev_b64 v[23:24], 4, v[19:20]
	v_add_nc_u32_e32 v19, 14, v31
	v_lshlrev_b64 v[21:22], 4, v[21:22]
	s_delay_alu instid0(VALU_DEP_2) | instskip(NEXT) | instid1(VALU_DEP_2)
	v_lshlrev_b64 v[25:26], 4, v[19:20]
	v_add_co_u32 v21, vcc_lo, s8, v21
	s_delay_alu instid0(VALU_DEP_3)
	v_add_co_ci_u32_e32 v22, vcc_lo, s9, v22, vcc_lo
	v_add_co_u32 v27, vcc_lo, s10, v23
	v_add_co_ci_u32_e32 v28, vcc_lo, s11, v24, vcc_lo
	v_add_co_u32 v34, vcc_lo, s8, v25
	v_add_co_ci_u32_e32 v35, vcc_lo, s9, v26, vcc_lo
	global_load_b128 v[21:24], v[21:22], off
	global_load_b128 v[25:28], v[27:28], off
	;; [unrolled: 1-line block ×3, first 2 shown]
	s_waitcnt vmcnt(1)
	v_fma_f64 v[38:39], v[21:22], v[25:26], v[13:14]
	v_fma_f64 v[40:41], v[23:24], v[25:26], v[11:12]
	s_waitcnt vmcnt(0)
	v_fma_f64 v[42:43], v[34:35], v[25:26], v[15:16]
	v_fma_f64 v[44:45], v[36:37], v[25:26], v[17:18]
	s_delay_alu instid0(VALU_DEP_4) | instskip(NEXT) | instid1(VALU_DEP_4)
	v_fma_f64 v[23:24], -v[23:24], v[27:28], v[38:39]
	v_fma_f64 v[21:22], v[21:22], v[27:28], v[40:41]
	s_delay_alu instid0(VALU_DEP_4) | instskip(NEXT) | instid1(VALU_DEP_4)
	v_fma_f64 v[25:26], -v[36:37], v[27:28], v[42:43]
	v_fma_f64 v[27:28], v[34:35], v[27:28], v[44:45]
	s_cbranch_execnz .LBB273_24
	s_branch .LBB273_21
.LBB273_26:
	s_or_b32 exec_lo, exec_lo, s0
.LBB273_27:
	s_delay_alu instid0(SALU_CYCLE_1)
	s_or_b32 exec_lo, exec_lo, s1
.LBB273_28:
	v_mbcnt_lo_u32_b32 v25, -1, 0
	s_delay_alu instid0(VALU_DEP_1) | instskip(NEXT) | instid1(VALU_DEP_1)
	v_xor_b32_e32 v9, 2, v25
	v_cmp_gt_i32_e32 vcc_lo, 32, v9
	v_cndmask_b32_e32 v9, v25, v9, vcc_lo
	s_delay_alu instid0(VALU_DEP_1)
	v_lshlrev_b32_e32 v24, 2, v9
	ds_bpermute_b32 v19, v24, v11
	ds_bpermute_b32 v20, v24, v12
	;; [unrolled: 1-line block ×4, first 2 shown]
	s_waitcnt lgkmcnt(2)
	v_add_f64 v[19:20], v[11:12], v[19:20]
	s_waitcnt lgkmcnt(0)
	v_add_f64 v[11:12], v[15:16], v[21:22]
	v_xor_b32_e32 v15, 1, v25
	s_delay_alu instid0(VALU_DEP_1)
	v_cmp_gt_i32_e32 vcc_lo, 32, v15
	v_cndmask_b32_e32 v15, v25, v15, vcc_lo
	ds_bpermute_b32 v9, v24, v13
	ds_bpermute_b32 v10, v24, v14
	;; [unrolled: 1-line block ×4, first 2 shown]
	v_lshlrev_b32_e32 v22, 2, v15
	v_cmp_eq_u32_e32 vcc_lo, 3, v32
	s_waitcnt lgkmcnt(2)
	v_add_f64 v[9:10], v[13:14], v[9:10]
	s_waitcnt lgkmcnt(0)
	v_add_f64 v[13:14], v[17:18], v[23:24]
	ds_bpermute_b32 v15, v22, v19
	ds_bpermute_b32 v16, v22, v20
	;; [unrolled: 1-line block ×8, first 2 shown]
	s_and_b32 exec_lo, exec_lo, vcc_lo
	s_cbranch_execz .LBB273_33
; %bb.29:
	v_cmp_eq_f64_e32 vcc_lo, 0, v[4:5]
	v_cmp_eq_f64_e64 s0, 0, v[6:7]
	s_waitcnt lgkmcnt(2)
	v_add_f64 v[9:10], v[9:10], v[23:24]
	v_add_f64 v[15:16], v[19:20], v[15:16]
	;; [unrolled: 1-line block ×3, first 2 shown]
	s_waitcnt lgkmcnt(0)
	v_add_f64 v[13:14], v[13:14], v[21:22]
	s_load_b64 s[2:3], s[2:3], 0x48
	s_and_b32 s0, vcc_lo, s0
	s_delay_alu instid0(SALU_CYCLE_1) | instskip(NEXT) | instid1(SALU_CYCLE_1)
	s_and_saveexec_b32 s1, s0
	s_xor_b32 s0, exec_lo, s1
	s_cbranch_execz .LBB273_31
; %bb.30:
	s_delay_alu instid0(VALU_DEP_3) | instskip(SKIP_1) | instid1(VALU_DEP_3)
	v_mul_f64 v[4:5], v[15:16], -v[2:3]
	v_mul_f64 v[6:7], v[0:1], v[15:16]
	v_mul_f64 v[15:16], v[13:14], -v[2:3]
	v_mul_f64 v[13:14], v[0:1], v[13:14]
	v_lshlrev_b32_e32 v8, 1, v8
	v_fma_f64 v[4:5], v[0:1], v[9:10], v[4:5]
	v_fma_f64 v[6:7], v[2:3], v[9:10], v[6:7]
	;; [unrolled: 1-line block ×4, first 2 shown]
	v_ashrrev_i32_e32 v9, 31, v8
                                        ; implicit-def: $vgpr15_vgpr16
                                        ; implicit-def: $vgpr11_vgpr12
                                        ; implicit-def: $vgpr13_vgpr14
	s_delay_alu instid0(VALU_DEP_1) | instskip(SKIP_1) | instid1(VALU_DEP_1)
	v_lshlrev_b64 v[8:9], 4, v[8:9]
	s_waitcnt lgkmcnt(0)
	v_add_co_u32 v8, vcc_lo, s2, v8
	s_delay_alu instid0(VALU_DEP_2)
	v_add_co_ci_u32_e32 v9, vcc_lo, s3, v9, vcc_lo
	s_clause 0x1
	global_store_b128 v[8:9], v[4:7], off
	global_store_b128 v[8:9], v[0:3], off offset:16
                                        ; implicit-def: $vgpr0_vgpr1
                                        ; implicit-def: $vgpr2_vgpr3
                                        ; implicit-def: $vgpr4_vgpr5
                                        ; implicit-def: $vgpr6_vgpr7
                                        ; implicit-def: $vgpr8
                                        ; implicit-def: $vgpr9_vgpr10
.LBB273_31:
	s_and_not1_saveexec_b32 s0, s0
	s_cbranch_execz .LBB273_33
; %bb.32:
	v_lshlrev_b32_e32 v17, 1, v8
	s_delay_alu instid0(VALU_DEP_4) | instskip(SKIP_1) | instid1(VALU_DEP_4)
	v_mul_f64 v[27:28], v[15:16], -v[2:3]
	v_mul_f64 v[15:16], v[0:1], v[15:16]
	v_mul_f64 v[29:30], v[13:14], -v[2:3]
	v_mul_f64 v[13:14], v[0:1], v[13:14]
	v_ashrrev_i32_e32 v18, 31, v17
	s_delay_alu instid0(VALU_DEP_1) | instskip(SKIP_1) | instid1(VALU_DEP_1)
	v_lshlrev_b64 v[17:18], 4, v[17:18]
	s_waitcnt lgkmcnt(0)
	v_add_co_u32 v25, vcc_lo, s2, v17
	s_delay_alu instid0(VALU_DEP_2)
	v_add_co_ci_u32_e32 v26, vcc_lo, s3, v18, vcc_lo
	s_clause 0x1
	global_load_b128 v[17:20], v[25:26], off
	global_load_b128 v[21:24], v[25:26], off offset:16
	v_fma_f64 v[27:28], v[0:1], v[9:10], v[27:28]
	v_fma_f64 v[8:9], v[2:3], v[9:10], v[15:16]
	;; [unrolled: 1-line block ×4, first 2 shown]
	s_waitcnt vmcnt(1)
	s_delay_alu instid0(VALU_DEP_4) | instskip(NEXT) | instid1(VALU_DEP_4)
	v_fma_f64 v[10:11], v[4:5], v[17:18], v[27:28]
	v_fma_f64 v[8:9], v[6:7], v[17:18], v[8:9]
	s_waitcnt vmcnt(0)
	s_delay_alu instid0(VALU_DEP_4) | instskip(NEXT) | instid1(VALU_DEP_4)
	v_fma_f64 v[12:13], v[4:5], v[21:22], v[0:1]
	v_fma_f64 v[14:15], v[6:7], v[21:22], v[2:3]
	s_delay_alu instid0(VALU_DEP_4) | instskip(NEXT) | instid1(VALU_DEP_4)
	v_fma_f64 v[0:1], -v[6:7], v[19:20], v[10:11]
	v_fma_f64 v[2:3], v[4:5], v[19:20], v[8:9]
	s_delay_alu instid0(VALU_DEP_4) | instskip(NEXT) | instid1(VALU_DEP_4)
	v_fma_f64 v[6:7], -v[6:7], v[23:24], v[12:13]
	v_fma_f64 v[8:9], v[4:5], v[23:24], v[14:15]
	s_clause 0x1
	global_store_b128 v[25:26], v[0:3], off
	global_store_b128 v[25:26], v[6:9], off offset:16
.LBB273_33:
	s_nop 0
	s_sendmsg sendmsg(MSG_DEALLOC_VGPRS)
	s_endpgm
	.section	.rodata,"a",@progbits
	.p2align	6, 0x0
	.amdhsa_kernel _ZN9rocsparseL19gebsrmvn_2xn_kernelILj128ELj11ELj4E21rocsparse_complex_numIdEEEvi20rocsparse_direction_NS_24const_host_device_scalarIT2_EEPKiS8_PKS5_SA_S6_PS5_21rocsparse_index_base_b
		.amdhsa_group_segment_fixed_size 2048
		.amdhsa_private_segment_fixed_size 0
		.amdhsa_kernarg_size 88
		.amdhsa_user_sgpr_count 15
		.amdhsa_user_sgpr_dispatch_ptr 1
		.amdhsa_user_sgpr_queue_ptr 0
		.amdhsa_user_sgpr_kernarg_segment_ptr 1
		.amdhsa_user_sgpr_dispatch_id 0
		.amdhsa_user_sgpr_private_segment_size 0
		.amdhsa_wavefront_size32 1
		.amdhsa_uses_dynamic_stack 0
		.amdhsa_enable_private_segment 0
		.amdhsa_system_sgpr_workgroup_id_x 1
		.amdhsa_system_sgpr_workgroup_id_y 0
		.amdhsa_system_sgpr_workgroup_id_z 0
		.amdhsa_system_sgpr_workgroup_info 0
		.amdhsa_system_vgpr_workitem_id 2
		.amdhsa_next_free_vgpr 64
		.amdhsa_next_free_sgpr 18
		.amdhsa_reserve_vcc 1
		.amdhsa_float_round_mode_32 0
		.amdhsa_float_round_mode_16_64 0
		.amdhsa_float_denorm_mode_32 3
		.amdhsa_float_denorm_mode_16_64 3
		.amdhsa_dx10_clamp 1
		.amdhsa_ieee_mode 1
		.amdhsa_fp16_overflow 0
		.amdhsa_workgroup_processor_mode 1
		.amdhsa_memory_ordered 1
		.amdhsa_forward_progress 0
		.amdhsa_shared_vgpr_count 0
		.amdhsa_exception_fp_ieee_invalid_op 0
		.amdhsa_exception_fp_denorm_src 0
		.amdhsa_exception_fp_ieee_div_zero 0
		.amdhsa_exception_fp_ieee_overflow 0
		.amdhsa_exception_fp_ieee_underflow 0
		.amdhsa_exception_fp_ieee_inexact 0
		.amdhsa_exception_int_div_zero 0
	.end_amdhsa_kernel
	.section	.text._ZN9rocsparseL19gebsrmvn_2xn_kernelILj128ELj11ELj4E21rocsparse_complex_numIdEEEvi20rocsparse_direction_NS_24const_host_device_scalarIT2_EEPKiS8_PKS5_SA_S6_PS5_21rocsparse_index_base_b,"axG",@progbits,_ZN9rocsparseL19gebsrmvn_2xn_kernelILj128ELj11ELj4E21rocsparse_complex_numIdEEEvi20rocsparse_direction_NS_24const_host_device_scalarIT2_EEPKiS8_PKS5_SA_S6_PS5_21rocsparse_index_base_b,comdat
.Lfunc_end273:
	.size	_ZN9rocsparseL19gebsrmvn_2xn_kernelILj128ELj11ELj4E21rocsparse_complex_numIdEEEvi20rocsparse_direction_NS_24const_host_device_scalarIT2_EEPKiS8_PKS5_SA_S6_PS5_21rocsparse_index_base_b, .Lfunc_end273-_ZN9rocsparseL19gebsrmvn_2xn_kernelILj128ELj11ELj4E21rocsparse_complex_numIdEEEvi20rocsparse_direction_NS_24const_host_device_scalarIT2_EEPKiS8_PKS5_SA_S6_PS5_21rocsparse_index_base_b
                                        ; -- End function
	.section	.AMDGPU.csdata,"",@progbits
; Kernel info:
; codeLenInByte = 3180
; NumSgprs: 20
; NumVgprs: 64
; ScratchSize: 0
; MemoryBound: 0
; FloatMode: 240
; IeeeMode: 1
; LDSByteSize: 2048 bytes/workgroup (compile time only)
; SGPRBlocks: 2
; VGPRBlocks: 7
; NumSGPRsForWavesPerEU: 20
; NumVGPRsForWavesPerEU: 64
; Occupancy: 16
; WaveLimiterHint : 1
; COMPUTE_PGM_RSRC2:SCRATCH_EN: 0
; COMPUTE_PGM_RSRC2:USER_SGPR: 15
; COMPUTE_PGM_RSRC2:TRAP_HANDLER: 0
; COMPUTE_PGM_RSRC2:TGID_X_EN: 1
; COMPUTE_PGM_RSRC2:TGID_Y_EN: 0
; COMPUTE_PGM_RSRC2:TGID_Z_EN: 0
; COMPUTE_PGM_RSRC2:TIDIG_COMP_CNT: 2
	.section	.text._ZN9rocsparseL19gebsrmvn_2xn_kernelILj128ELj11ELj8E21rocsparse_complex_numIdEEEvi20rocsparse_direction_NS_24const_host_device_scalarIT2_EEPKiS8_PKS5_SA_S6_PS5_21rocsparse_index_base_b,"axG",@progbits,_ZN9rocsparseL19gebsrmvn_2xn_kernelILj128ELj11ELj8E21rocsparse_complex_numIdEEEvi20rocsparse_direction_NS_24const_host_device_scalarIT2_EEPKiS8_PKS5_SA_S6_PS5_21rocsparse_index_base_b,comdat
	.globl	_ZN9rocsparseL19gebsrmvn_2xn_kernelILj128ELj11ELj8E21rocsparse_complex_numIdEEEvi20rocsparse_direction_NS_24const_host_device_scalarIT2_EEPKiS8_PKS5_SA_S6_PS5_21rocsparse_index_base_b ; -- Begin function _ZN9rocsparseL19gebsrmvn_2xn_kernelILj128ELj11ELj8E21rocsparse_complex_numIdEEEvi20rocsparse_direction_NS_24const_host_device_scalarIT2_EEPKiS8_PKS5_SA_S6_PS5_21rocsparse_index_base_b
	.p2align	8
	.type	_ZN9rocsparseL19gebsrmvn_2xn_kernelILj128ELj11ELj8E21rocsparse_complex_numIdEEEvi20rocsparse_direction_NS_24const_host_device_scalarIT2_EEPKiS8_PKS5_SA_S6_PS5_21rocsparse_index_base_b,@function
_ZN9rocsparseL19gebsrmvn_2xn_kernelILj128ELj11ELj8E21rocsparse_complex_numIdEEEvi20rocsparse_direction_NS_24const_host_device_scalarIT2_EEPKiS8_PKS5_SA_S6_PS5_21rocsparse_index_base_b: ; @_ZN9rocsparseL19gebsrmvn_2xn_kernelILj128ELj11ELj8E21rocsparse_complex_numIdEEEvi20rocsparse_direction_NS_24const_host_device_scalarIT2_EEPKiS8_PKS5_SA_S6_PS5_21rocsparse_index_base_b
; %bb.0:
	s_load_b64 s[12:13], s[2:3], 0x50
	s_load_b64 s[16:17], s[0:1], 0x4
	s_load_b128 s[8:11], s[2:3], 0x8
	v_bfe_u32 v1, v0, 10, 10
	s_mov_b64 s[0:1], src_shared_base
	s_load_b128 s[4:7], s[2:3], 0x38
	v_and_b32_e32 v12, 0x3ff, v0
	v_bfe_u32 v0, v0, 20, 10
	s_waitcnt lgkmcnt(0)
	s_bitcmp1_b32 s13, 0
	v_mul_u32_u24_e32 v1, s17, v1
	s_cselect_b32 s0, -1, 0
	s_delay_alu instid0(SALU_CYCLE_1)
	s_and_b32 vcc_lo, s0, exec_lo
	s_cselect_b32 s13, s1, s9
	s_lshr_b32 s14, s16, 16
	v_dual_mov_b32 v2, s4 :: v_dual_mov_b32 v3, s5
	s_mul_i32 s14, s14, s17
	v_mov_b32_e32 v6, s13
	v_mad_u32_u24 v1, s14, v12, v1
	s_delay_alu instid0(VALU_DEP_1) | instskip(SKIP_1) | instid1(VALU_DEP_2)
	v_add_lshl_u32 v4, v1, v0, 3
	v_dual_mov_b32 v0, s8 :: v_dual_mov_b32 v1, s9
	v_add_nc_u32_e32 v5, 0x400, v4
	ds_store_2addr_stride64_b64 v4, v[2:3], v[0:1] offset1:2
	v_dual_mov_b32 v2, s10 :: v_dual_mov_b32 v3, s11
	v_cndmask_b32_e64 v5, s8, v5, s0
	s_xor_b32 s10, s0, -1
	flat_load_b64 v[0:1], v[5:6]
	s_cbranch_vccnz .LBB274_2
; %bb.1:
	v_dual_mov_b32 v2, s8 :: v_dual_mov_b32 v3, s9
	flat_load_b64 v[2:3], v[2:3] offset:8
.LBB274_2:
	s_and_b32 s8, s0, exec_lo
	s_cselect_b32 s1, s1, s5
	v_cndmask_b32_e64 v4, s4, v4, s0
	v_dual_mov_b32 v5, s1 :: v_dual_mov_b32 v6, s6
	v_mov_b32_e32 v7, s7
	s_and_not1_b32 vcc_lo, exec_lo, s10
	flat_load_b64 v[4:5], v[4:5]
	s_cbranch_vccnz .LBB274_4
; %bb.3:
	v_dual_mov_b32 v7, s5 :: v_dual_mov_b32 v6, s4
	flat_load_b64 v[6:7], v[6:7] offset:8
.LBB274_4:
	s_waitcnt vmcnt(1) lgkmcnt(1)
	v_cmp_eq_f64_e32 vcc_lo, 0, v[0:1]
	v_cmp_eq_f64_e64 s0, 0, v[2:3]
	s_delay_alu instid0(VALU_DEP_1)
	s_and_b32 s4, vcc_lo, s0
	s_mov_b32 s0, -1
	s_and_saveexec_b32 s1, s4
	s_cbranch_execz .LBB274_6
; %bb.5:
	s_waitcnt vmcnt(0) lgkmcnt(0)
	v_cmp_neq_f64_e32 vcc_lo, 1.0, v[4:5]
	v_cmp_neq_f64_e64 s0, 0, v[6:7]
	s_delay_alu instid0(VALU_DEP_1) | instskip(NEXT) | instid1(SALU_CYCLE_1)
	s_or_b32 s0, vcc_lo, s0
	s_or_not1_b32 s0, s0, exec_lo
.LBB274_6:
	s_or_b32 exec_lo, exec_lo, s1
	s_and_saveexec_b32 s1, s0
	s_cbranch_execz .LBB274_33
; %bb.7:
	s_load_b64 s[0:1], s[2:3], 0x0
	v_lshrrev_b32_e32 v8, 3, v12
	s_delay_alu instid0(VALU_DEP_1) | instskip(SKIP_1) | instid1(VALU_DEP_1)
	v_lshl_or_b32 v8, s15, 4, v8
	s_waitcnt lgkmcnt(0)
	v_cmp_gt_i32_e32 vcc_lo, s0, v8
	s_and_b32 exec_lo, exec_lo, vcc_lo
	s_cbranch_execz .LBB274_33
; %bb.8:
	s_load_b256 s[4:11], s[2:3], 0x18
	v_ashrrev_i32_e32 v9, 31, v8
	v_and_b32_e32 v32, 7, v12
	s_cmp_lg_u32 s1, 0
	s_delay_alu instid0(VALU_DEP_2) | instskip(SKIP_1) | instid1(VALU_DEP_1)
	v_lshlrev_b64 v[9:10], 2, v[8:9]
	s_waitcnt lgkmcnt(0)
	v_add_co_u32 v9, vcc_lo, s4, v9
	s_delay_alu instid0(VALU_DEP_2) | instskip(SKIP_4) | instid1(VALU_DEP_2)
	v_add_co_ci_u32_e32 v10, vcc_lo, s5, v10, vcc_lo
	global_load_b64 v[10:11], v[9:10], off
	s_waitcnt vmcnt(0)
	v_subrev_nc_u32_e32 v9, s12, v10
	v_subrev_nc_u32_e32 v33, s12, v11
	v_add_nc_u32_e32 v9, v9, v32
	s_delay_alu instid0(VALU_DEP_1)
	v_cmp_lt_i32_e64 s0, v9, v33
	s_cbranch_scc0 .LBB274_16
; %bb.9:
	v_mov_b32_e32 v11, 0
	v_mov_b32_e32 v12, 0
	s_delay_alu instid0(VALU_DEP_1)
	v_dual_mov_b32 v14, v12 :: v_dual_mov_b32 v13, v11
	v_dual_mov_b32 v16, v12 :: v_dual_mov_b32 v15, v11
	;; [unrolled: 1-line block ×3, first 2 shown]
	s_and_saveexec_b32 s1, s0
	s_cbranch_execz .LBB274_18
; %bb.10:
	v_mul_lo_u32 v13, v10, 22
	v_dual_mov_b32 v11, 0 :: v_dual_mov_b32 v20, 0
	v_dual_mov_b32 v12, 0 :: v_dual_mov_b32 v21, v9
	v_mul_lo_u32 v34, v9, 22
	s_mul_i32 s4, s12, 22
	s_delay_alu instid0(VALU_DEP_2) | instskip(SKIP_2) | instid1(VALU_DEP_2)
	v_dual_mov_b32 v16, v12 :: v_dual_mov_b32 v15, v11
	v_mad_u32_u24 v17, v32, 22, v13
	v_dual_mov_b32 v14, v12 :: v_dual_mov_b32 v13, v11
	v_subrev_nc_u32_e32 v35, s4, v17
	v_dual_mov_b32 v18, v12 :: v_dual_mov_b32 v17, v11
	s_mov_b32 s4, 0
	s_branch .LBB274_12
.LBB274_11:                             ;   in Loop: Header=BB274_12 Depth=1
	v_add_nc_u32_e32 v21, 8, v21
	v_add_nc_u32_e32 v34, 0xb0, v34
	;; [unrolled: 1-line block ×3, first 2 shown]
	s_delay_alu instid0(VALU_DEP_3) | instskip(SKIP_1) | instid1(SALU_CYCLE_1)
	v_cmp_ge_i32_e32 vcc_lo, v21, v33
	s_or_b32 s4, vcc_lo, s4
	s_and_not1_b32 exec_lo, exec_lo, s4
	s_cbranch_execz .LBB274_17
.LBB274_12:                             ; =>This Loop Header: Depth=1
                                        ;     Child Loop BB274_14 Depth 2
	v_ashrrev_i32_e32 v22, 31, v21
	v_dual_mov_b32 v25, v12 :: v_dual_mov_b32 v24, v11
	v_dual_mov_b32 v27, v14 :: v_dual_mov_b32 v26, v13
	s_delay_alu instid0(VALU_DEP_3) | instskip(SKIP_3) | instid1(VALU_DEP_3)
	v_lshlrev_b64 v[22:23], 2, v[21:22]
	v_dual_mov_b32 v29, v16 :: v_dual_mov_b32 v28, v15
	v_dual_mov_b32 v31, v18 :: v_dual_mov_b32 v30, v17
	s_mov_b32 s5, 0
	v_add_co_u32 v22, vcc_lo, s6, v22
	s_delay_alu instid0(VALU_DEP_4) | instskip(SKIP_3) | instid1(VALU_DEP_1)
	v_add_co_ci_u32_e32 v23, vcc_lo, s7, v23, vcc_lo
	global_load_b32 v19, v[22:23], off
	s_waitcnt vmcnt(0)
	v_subrev_nc_u32_e32 v19, s12, v19
	v_mul_lo_u32 v22, v19, 11
	s_branch .LBB274_14
.LBB274_13:                             ;   in Loop: Header=BB274_12 Depth=1
                                        ; implicit-def: $vgpr30_vgpr31
                                        ; implicit-def: $vgpr28_vgpr29
                                        ; implicit-def: $vgpr26_vgpr27
                                        ; implicit-def: $vgpr24_vgpr25
                                        ; implicit-def: $sgpr5
                                        ; implicit-def: $vgpr22
	s_branch .LBB274_11
.LBB274_14:                             ;   Parent Loop BB274_12 Depth=1
                                        ; =>  This Inner Loop Header: Depth=2
	v_add_nc_u32_e32 v19, s5, v35
	v_mov_b32_e32 v23, v20
	s_cmp_eq_u32 s5, 16
	s_delay_alu instid0(VALU_DEP_2) | instskip(NEXT) | instid1(VALU_DEP_2)
	v_lshlrev_b64 v[11:12], 4, v[19:20]
	v_lshlrev_b64 v[13:14], 4, v[22:23]
	v_add_nc_u32_e32 v23, s5, v34
	s_delay_alu instid0(VALU_DEP_3) | instskip(NEXT) | instid1(VALU_DEP_4)
	v_add_co_u32 v36, vcc_lo, s8, v11
	v_add_co_ci_u32_e32 v37, vcc_lo, s9, v12, vcc_lo
	s_delay_alu instid0(VALU_DEP_4)
	v_add_co_u32 v15, vcc_lo, s10, v13
	v_add_co_ci_u32_e32 v16, vcc_lo, s11, v14, vcc_lo
	v_add_nc_u32_e32 v19, 2, v23
	global_load_b128 v[11:14], v[36:37], off
	global_load_b128 v[15:18], v[15:16], off
	global_load_b128 v[36:39], v[36:37], off offset:16
	v_lshlrev_b64 v[40:41], 4, v[19:20]
	v_add_nc_u32_e32 v19, 1, v22
	s_delay_alu instid0(VALU_DEP_1) | instskip(NEXT) | instid1(VALU_DEP_3)
	v_lshlrev_b64 v[42:43], 4, v[19:20]
	v_add_co_u32 v48, vcc_lo, s8, v40
	s_delay_alu instid0(VALU_DEP_4) | instskip(SKIP_1) | instid1(VALU_DEP_4)
	v_add_co_ci_u32_e32 v49, vcc_lo, s9, v41, vcc_lo
	v_add_nc_u32_e32 v19, 4, v23
	v_add_co_u32 v44, vcc_lo, s10, v42
	v_add_co_ci_u32_e32 v45, vcc_lo, s11, v43, vcc_lo
	global_load_b128 v[40:43], v[48:49], off
	global_load_b128 v[44:47], v[44:45], off
	global_load_b128 v[48:51], v[48:49], off offset:16
	v_lshlrev_b64 v[52:53], 4, v[19:20]
	v_add_nc_u32_e32 v19, 2, v22
	s_delay_alu instid0(VALU_DEP_1) | instskip(NEXT) | instid1(VALU_DEP_3)
	v_lshlrev_b64 v[54:55], 4, v[19:20]
	v_add_co_u32 v60, vcc_lo, s8, v52
	s_delay_alu instid0(VALU_DEP_4) | instskip(NEXT) | instid1(VALU_DEP_3)
	v_add_co_ci_u32_e32 v61, vcc_lo, s9, v53, vcc_lo
	v_add_co_u32 v56, vcc_lo, s10, v54
	s_delay_alu instid0(VALU_DEP_4)
	v_add_co_ci_u32_e32 v57, vcc_lo, s11, v55, vcc_lo
	global_load_b128 v[52:55], v[60:61], off
	global_load_b128 v[56:59], v[56:57], off
	global_load_b128 v[60:63], v[60:61], off offset:16
	s_waitcnt vmcnt(7)
	v_fma_f64 v[26:27], v[11:12], v[15:16], v[26:27]
	v_fma_f64 v[24:25], v[13:14], v[15:16], v[24:25]
	s_waitcnt vmcnt(6)
	v_fma_f64 v[28:29], v[36:37], v[15:16], v[28:29]
	v_fma_f64 v[15:16], v[38:39], v[15:16], v[30:31]
	s_delay_alu instid0(VALU_DEP_4) | instskip(NEXT) | instid1(VALU_DEP_4)
	v_fma_f64 v[13:14], -v[13:14], v[17:18], v[26:27]
	v_fma_f64 v[11:12], v[11:12], v[17:18], v[24:25]
	s_delay_alu instid0(VALU_DEP_4) | instskip(NEXT) | instid1(VALU_DEP_4)
	v_fma_f64 v[24:25], -v[38:39], v[17:18], v[28:29]
	v_fma_f64 v[15:16], v[36:37], v[17:18], v[15:16]
	s_waitcnt vmcnt(4)
	s_delay_alu instid0(VALU_DEP_4) | instskip(NEXT) | instid1(VALU_DEP_4)
	v_fma_f64 v[13:14], v[40:41], v[44:45], v[13:14]
	v_fma_f64 v[11:12], v[42:43], v[44:45], v[11:12]
	s_waitcnt vmcnt(3)
	s_delay_alu instid0(VALU_DEP_4) | instskip(NEXT) | instid1(VALU_DEP_4)
	v_fma_f64 v[17:18], v[48:49], v[44:45], v[24:25]
	v_fma_f64 v[15:16], v[50:51], v[44:45], v[15:16]
	s_delay_alu instid0(VALU_DEP_4) | instskip(NEXT) | instid1(VALU_DEP_4)
	v_fma_f64 v[13:14], -v[42:43], v[46:47], v[13:14]
	v_fma_f64 v[11:12], v[40:41], v[46:47], v[11:12]
	s_delay_alu instid0(VALU_DEP_4) | instskip(NEXT) | instid1(VALU_DEP_4)
	v_fma_f64 v[17:18], -v[50:51], v[46:47], v[17:18]
	v_fma_f64 v[15:16], v[48:49], v[46:47], v[15:16]
	s_waitcnt vmcnt(1)
	s_delay_alu instid0(VALU_DEP_4) | instskip(NEXT) | instid1(VALU_DEP_4)
	v_fma_f64 v[13:14], v[52:53], v[56:57], v[13:14]
	v_fma_f64 v[11:12], v[54:55], v[56:57], v[11:12]
	s_waitcnt vmcnt(0)
	s_delay_alu instid0(VALU_DEP_4) | instskip(NEXT) | instid1(VALU_DEP_4)
	v_fma_f64 v[17:18], v[60:61], v[56:57], v[17:18]
	v_fma_f64 v[24:25], v[62:63], v[56:57], v[15:16]
	s_delay_alu instid0(VALU_DEP_4) | instskip(NEXT) | instid1(VALU_DEP_4)
	v_fma_f64 v[13:14], -v[54:55], v[58:59], v[13:14]
	v_fma_f64 v[11:12], v[52:53], v[58:59], v[11:12]
	s_delay_alu instid0(VALU_DEP_4) | instskip(NEXT) | instid1(VALU_DEP_4)
	v_fma_f64 v[15:16], -v[62:63], v[58:59], v[17:18]
	v_fma_f64 v[17:18], v[60:61], v[58:59], v[24:25]
	s_cbranch_scc1 .LBB274_13
; %bb.15:                               ;   in Loop: Header=BB274_14 Depth=2
	v_add_nc_u32_e32 v19, 6, v23
	s_add_i32 s5, s5, 8
	s_delay_alu instid0(VALU_DEP_1) | instskip(SKIP_2) | instid1(VALU_DEP_2)
	v_lshlrev_b64 v[23:24], 4, v[19:20]
	v_add_nc_u32_e32 v19, 3, v22
	v_add_nc_u32_e32 v22, 4, v22
	v_lshlrev_b64 v[25:26], 4, v[19:20]
	s_delay_alu instid0(VALU_DEP_4) | instskip(SKIP_1) | instid1(VALU_DEP_3)
	v_add_co_u32 v36, vcc_lo, s8, v23
	v_add_co_ci_u32_e32 v37, vcc_lo, s9, v24, vcc_lo
	v_add_co_u32 v27, vcc_lo, s10, v25
	s_delay_alu instid0(VALU_DEP_4)
	v_add_co_ci_u32_e32 v28, vcc_lo, s11, v26, vcc_lo
	global_load_b128 v[23:26], v[36:37], off
	global_load_b128 v[28:31], v[27:28], off
	global_load_b128 v[36:39], v[36:37], off offset:16
	s_waitcnt vmcnt(1)
	v_fma_f64 v[40:41], v[23:24], v[28:29], v[13:14]
	v_fma_f64 v[42:43], v[25:26], v[28:29], v[11:12]
	s_waitcnt vmcnt(0)
	v_fma_f64 v[44:45], v[36:37], v[28:29], v[15:16]
	v_fma_f64 v[46:47], v[38:39], v[28:29], v[17:18]
	s_delay_alu instid0(VALU_DEP_4) | instskip(NEXT) | instid1(VALU_DEP_4)
	v_fma_f64 v[26:27], -v[25:26], v[30:31], v[40:41]
	v_fma_f64 v[24:25], v[23:24], v[30:31], v[42:43]
	s_delay_alu instid0(VALU_DEP_4) | instskip(NEXT) | instid1(VALU_DEP_4)
	v_fma_f64 v[28:29], -v[38:39], v[30:31], v[44:45]
	v_fma_f64 v[30:31], v[36:37], v[30:31], v[46:47]
	s_cbranch_execnz .LBB274_14
	s_branch .LBB274_11
.LBB274_16:
                                        ; implicit-def: $vgpr11_vgpr12
                                        ; implicit-def: $vgpr13_vgpr14
                                        ; implicit-def: $vgpr15_vgpr16
                                        ; implicit-def: $vgpr17_vgpr18
	s_branch .LBB274_19
.LBB274_17:
	s_or_b32 exec_lo, exec_lo, s4
.LBB274_18:
	s_delay_alu instid0(SALU_CYCLE_1)
	s_or_b32 exec_lo, exec_lo, s1
	s_cbranch_execnz .LBB274_28
.LBB274_19:
	v_mov_b32_e32 v11, 0
	v_mov_b32_e32 v12, 0
	s_delay_alu instid0(VALU_DEP_1)
	v_dual_mov_b32 v14, v12 :: v_dual_mov_b32 v13, v11
	v_dual_mov_b32 v16, v12 :: v_dual_mov_b32 v15, v11
	;; [unrolled: 1-line block ×3, first 2 shown]
	s_and_saveexec_b32 s1, s0
	s_cbranch_execz .LBB274_27
; %bb.20:
	v_mul_lo_u32 v10, v10, 22
	v_dual_mov_b32 v11, 0 :: v_dual_mov_b32 v20, 0
	v_mov_b32_e32 v12, 0
	v_mul_lo_u32 v29, v9, 22
	s_mul_i32 s0, s12, 22
	s_delay_alu instid0(VALU_DEP_2) | instskip(SKIP_3) | instid1(VALU_DEP_3)
	v_dual_mov_b32 v14, v12 :: v_dual_mov_b32 v13, v11
	v_mad_u32_u24 v10, v32, 22, v10
	v_dual_mov_b32 v16, v12 :: v_dual_mov_b32 v15, v11
	v_dual_mov_b32 v18, v12 :: v_dual_mov_b32 v17, v11
	v_subrev_nc_u32_e32 v30, s0, v10
	s_mov_b32 s0, 0
	s_branch .LBB274_22
.LBB274_21:                             ;   in Loop: Header=BB274_22 Depth=1
	v_add_nc_u32_e32 v9, 8, v9
	v_add_nc_u32_e32 v29, 0xb0, v29
	;; [unrolled: 1-line block ×3, first 2 shown]
	s_delay_alu instid0(VALU_DEP_3) | instskip(SKIP_1) | instid1(SALU_CYCLE_1)
	v_cmp_ge_i32_e32 vcc_lo, v9, v33
	s_or_b32 s0, vcc_lo, s0
	s_and_not1_b32 exec_lo, exec_lo, s0
	s_cbranch_execz .LBB274_26
.LBB274_22:                             ; =>This Loop Header: Depth=1
                                        ;     Child Loop BB274_24 Depth 2
	v_ashrrev_i32_e32 v10, 31, v9
	v_dual_mov_b32 v24, v14 :: v_dual_mov_b32 v23, v13
	v_dual_mov_b32 v26, v16 :: v_dual_mov_b32 v25, v15
	s_delay_alu instid0(VALU_DEP_3) | instskip(SKIP_2) | instid1(VALU_DEP_2)
	v_lshlrev_b64 v[21:22], 2, v[9:10]
	v_dual_mov_b32 v28, v18 :: v_dual_mov_b32 v27, v17
	s_mov_b32 s4, 0
	v_add_co_u32 v21, vcc_lo, s6, v21
	s_delay_alu instid0(VALU_DEP_3) | instskip(SKIP_4) | instid1(VALU_DEP_1)
	v_add_co_ci_u32_e32 v22, vcc_lo, s7, v22, vcc_lo
	global_load_b32 v10, v[21:22], off
	v_dual_mov_b32 v22, v12 :: v_dual_mov_b32 v21, v11
	s_waitcnt vmcnt(0)
	v_subrev_nc_u32_e32 v10, s12, v10
	v_mul_lo_u32 v10, v10, 11
	s_branch .LBB274_24
.LBB274_23:                             ;   in Loop: Header=BB274_22 Depth=1
                                        ; implicit-def: $vgpr27_vgpr28
                                        ; implicit-def: $vgpr25_vgpr26
                                        ; implicit-def: $vgpr23_vgpr24
                                        ; implicit-def: $vgpr21_vgpr22
                                        ; implicit-def: $sgpr4
	s_branch .LBB274_21
.LBB274_24:                             ;   Parent Loop BB274_22 Depth=1
                                        ; =>  This Inner Loop Header: Depth=2
	v_dual_mov_b32 v12, v20 :: v_dual_add_nc_u32 v19, s4, v30
	v_add_nc_u32_e32 v31, s4, v29
	v_mov_b32_e32 v43, v20
	v_mov_b32_e32 v51, v20
	s_delay_alu instid0(VALU_DEP_4) | instskip(SKIP_4) | instid1(VALU_DEP_4)
	v_lshlrev_b64 v[13:14], 4, v[19:20]
	v_add_nc_u32_e32 v19, s4, v10
	v_add_nc_u32_e32 v50, 2, v31
	;; [unrolled: 1-line block ×3, first 2 shown]
	v_dual_mov_b32 v41, v20 :: v_dual_add_nc_u32 v42, 12, v31
	v_add_nc_u32_e32 v40, 1, v19
	v_lshlrev_b64 v[15:16], 4, v[19:20]
	s_delay_alu instid0(VALU_DEP_4) | instskip(SKIP_2) | instid1(VALU_DEP_4)
	v_lshlrev_b64 v[11:12], 4, v[11:12]
	v_add_co_u32 v38, vcc_lo, s8, v13
	v_add_co_ci_u32_e32 v39, vcc_lo, s9, v14, vcc_lo
	v_add_co_u32 v15, vcc_lo, s10, v15
	v_add_co_ci_u32_e32 v16, vcc_lo, s11, v16, vcc_lo
	;; [unrolled: 2-line block ×3, first 2 shown]
	global_load_b128 v[11:14], v[38:39], off
	global_load_b128 v[15:18], v[15:16], off
	;; [unrolled: 1-line block ×3, first 2 shown]
	v_lshlrev_b64 v[40:41], 4, v[40:41]
	v_lshlrev_b64 v[42:43], 4, v[42:43]
	v_dual_mov_b32 v53, v20 :: v_dual_add_nc_u32 v52, 2, v19
	v_lshlrev_b64 v[50:51], 4, v[50:51]
	s_cmp_eq_u32 s4, 8
	s_delay_alu instid0(VALU_DEP_4)
	v_add_co_u32 v44, vcc_lo, s10, v40
	v_add_co_ci_u32_e32 v45, vcc_lo, s11, v41, vcc_lo
	v_add_co_u32 v58, vcc_lo, s8, v42
	v_add_co_ci_u32_e32 v59, vcc_lo, s9, v43, vcc_lo
	global_load_b128 v[38:41], v[38:39], off offset:16
	global_load_b128 v[42:45], v[44:45], off
	global_load_b128 v[46:49], v[58:59], off
	v_lshlrev_b64 v[52:53], 4, v[52:53]
	v_add_co_u32 v50, vcc_lo, s8, v50
	v_add_co_ci_u32_e32 v51, vcc_lo, s9, v51, vcc_lo
	s_delay_alu instid0(VALU_DEP_3) | instskip(NEXT) | instid1(VALU_DEP_4)
	v_add_co_u32 v54, vcc_lo, s10, v52
	v_add_co_ci_u32_e32 v55, vcc_lo, s11, v53, vcc_lo
	global_load_b128 v[50:53], v[50:51], off
	global_load_b128 v[54:57], v[54:55], off
	global_load_b128 v[58:61], v[58:59], off offset:16
	s_waitcnt vmcnt(7)
	v_fma_f64 v[23:24], v[11:12], v[15:16], v[23:24]
	v_fma_f64 v[21:22], v[13:14], v[15:16], v[21:22]
	s_waitcnt vmcnt(6)
	v_fma_f64 v[25:26], v[34:35], v[15:16], v[25:26]
	v_fma_f64 v[15:16], v[36:37], v[15:16], v[27:28]
	s_delay_alu instid0(VALU_DEP_4) | instskip(NEXT) | instid1(VALU_DEP_4)
	v_fma_f64 v[13:14], -v[13:14], v[17:18], v[23:24]
	v_fma_f64 v[11:12], v[11:12], v[17:18], v[21:22]
	s_delay_alu instid0(VALU_DEP_4) | instskip(NEXT) | instid1(VALU_DEP_4)
	v_fma_f64 v[21:22], -v[36:37], v[17:18], v[25:26]
	v_fma_f64 v[15:16], v[34:35], v[17:18], v[15:16]
	s_waitcnt vmcnt(4)
	s_delay_alu instid0(VALU_DEP_4) | instskip(NEXT) | instid1(VALU_DEP_4)
	v_fma_f64 v[13:14], v[38:39], v[42:43], v[13:14]
	v_fma_f64 v[11:12], v[40:41], v[42:43], v[11:12]
	s_waitcnt vmcnt(3)
	s_delay_alu instid0(VALU_DEP_4) | instskip(NEXT) | instid1(VALU_DEP_4)
	v_fma_f64 v[17:18], v[46:47], v[42:43], v[21:22]
	v_fma_f64 v[15:16], v[48:49], v[42:43], v[15:16]
	s_delay_alu instid0(VALU_DEP_4) | instskip(NEXT) | instid1(VALU_DEP_4)
	v_fma_f64 v[13:14], -v[40:41], v[44:45], v[13:14]
	v_fma_f64 v[11:12], v[38:39], v[44:45], v[11:12]
	s_delay_alu instid0(VALU_DEP_4) | instskip(NEXT) | instid1(VALU_DEP_4)
	v_fma_f64 v[17:18], -v[48:49], v[44:45], v[17:18]
	v_fma_f64 v[15:16], v[46:47], v[44:45], v[15:16]
	s_waitcnt vmcnt(1)
	s_delay_alu instid0(VALU_DEP_4) | instskip(NEXT) | instid1(VALU_DEP_4)
	v_fma_f64 v[13:14], v[50:51], v[54:55], v[13:14]
	v_fma_f64 v[11:12], v[52:53], v[54:55], v[11:12]
	s_waitcnt vmcnt(0)
	s_delay_alu instid0(VALU_DEP_4) | instskip(NEXT) | instid1(VALU_DEP_4)
	v_fma_f64 v[17:18], v[58:59], v[54:55], v[17:18]
	v_fma_f64 v[21:22], v[60:61], v[54:55], v[15:16]
	s_delay_alu instid0(VALU_DEP_4) | instskip(NEXT) | instid1(VALU_DEP_4)
	v_fma_f64 v[13:14], -v[52:53], v[56:57], v[13:14]
	v_fma_f64 v[11:12], v[50:51], v[56:57], v[11:12]
	s_delay_alu instid0(VALU_DEP_4) | instskip(NEXT) | instid1(VALU_DEP_4)
	v_fma_f64 v[15:16], -v[60:61], v[56:57], v[17:18]
	v_fma_f64 v[17:18], v[58:59], v[56:57], v[21:22]
	s_cbranch_scc1 .LBB274_23
; %bb.25:                               ;   in Loop: Header=BB274_24 Depth=2
	v_dual_mov_b32 v22, v20 :: v_dual_add_nc_u32 v19, 3, v19
	v_add_nc_u32_e32 v21, 3, v31
	s_add_i32 s4, s4, 4
	s_delay_alu instid0(VALU_DEP_2) | instskip(SKIP_1) | instid1(VALU_DEP_3)
	v_lshlrev_b64 v[23:24], 4, v[19:20]
	v_add_nc_u32_e32 v19, 14, v31
	v_lshlrev_b64 v[21:22], 4, v[21:22]
	s_delay_alu instid0(VALU_DEP_2) | instskip(NEXT) | instid1(VALU_DEP_2)
	v_lshlrev_b64 v[25:26], 4, v[19:20]
	v_add_co_u32 v21, vcc_lo, s8, v21
	s_delay_alu instid0(VALU_DEP_3)
	v_add_co_ci_u32_e32 v22, vcc_lo, s9, v22, vcc_lo
	v_add_co_u32 v27, vcc_lo, s10, v23
	v_add_co_ci_u32_e32 v28, vcc_lo, s11, v24, vcc_lo
	v_add_co_u32 v34, vcc_lo, s8, v25
	v_add_co_ci_u32_e32 v35, vcc_lo, s9, v26, vcc_lo
	global_load_b128 v[21:24], v[21:22], off
	global_load_b128 v[25:28], v[27:28], off
	;; [unrolled: 1-line block ×3, first 2 shown]
	s_waitcnt vmcnt(1)
	v_fma_f64 v[38:39], v[21:22], v[25:26], v[13:14]
	v_fma_f64 v[40:41], v[23:24], v[25:26], v[11:12]
	s_waitcnt vmcnt(0)
	v_fma_f64 v[42:43], v[34:35], v[25:26], v[15:16]
	v_fma_f64 v[44:45], v[36:37], v[25:26], v[17:18]
	s_delay_alu instid0(VALU_DEP_4) | instskip(NEXT) | instid1(VALU_DEP_4)
	v_fma_f64 v[23:24], -v[23:24], v[27:28], v[38:39]
	v_fma_f64 v[21:22], v[21:22], v[27:28], v[40:41]
	s_delay_alu instid0(VALU_DEP_4) | instskip(NEXT) | instid1(VALU_DEP_4)
	v_fma_f64 v[25:26], -v[36:37], v[27:28], v[42:43]
	v_fma_f64 v[27:28], v[34:35], v[27:28], v[44:45]
	s_cbranch_execnz .LBB274_24
	s_branch .LBB274_21
.LBB274_26:
	s_or_b32 exec_lo, exec_lo, s0
.LBB274_27:
	s_delay_alu instid0(SALU_CYCLE_1)
	s_or_b32 exec_lo, exec_lo, s1
.LBB274_28:
	v_mbcnt_lo_u32_b32 v25, -1, 0
	s_delay_alu instid0(VALU_DEP_1) | instskip(NEXT) | instid1(VALU_DEP_1)
	v_xor_b32_e32 v9, 4, v25
	v_cmp_gt_i32_e32 vcc_lo, 32, v9
	v_cndmask_b32_e32 v9, v25, v9, vcc_lo
	s_delay_alu instid0(VALU_DEP_1)
	v_lshlrev_b32_e32 v24, 2, v9
	ds_bpermute_b32 v9, v24, v13
	ds_bpermute_b32 v10, v24, v14
	;; [unrolled: 1-line block ×4, first 2 shown]
	s_waitcnt lgkmcnt(2)
	v_add_f64 v[9:10], v[13:14], v[9:10]
	s_waitcnt lgkmcnt(0)
	v_add_f64 v[13:14], v[15:16], v[21:22]
	v_xor_b32_e32 v15, 2, v25
	s_delay_alu instid0(VALU_DEP_1)
	v_cmp_gt_i32_e32 vcc_lo, 32, v15
	v_cndmask_b32_e32 v15, v25, v15, vcc_lo
	ds_bpermute_b32 v19, v24, v11
	ds_bpermute_b32 v20, v24, v12
	;; [unrolled: 1-line block ×4, first 2 shown]
	s_waitcnt lgkmcnt(2)
	v_add_f64 v[11:12], v[11:12], v[19:20]
	s_waitcnt lgkmcnt(0)
	v_add_f64 v[17:18], v[17:18], v[23:24]
	v_lshlrev_b32_e32 v24, 2, v15
	ds_bpermute_b32 v15, v24, v9
	ds_bpermute_b32 v16, v24, v10
	;; [unrolled: 1-line block ×4, first 2 shown]
	s_waitcnt lgkmcnt(2)
	v_add_f64 v[9:10], v[9:10], v[15:16]
	ds_bpermute_b32 v19, v24, v11
	ds_bpermute_b32 v20, v24, v12
	ds_bpermute_b32 v23, v24, v17
	ds_bpermute_b32 v24, v24, v18
	s_waitcnt lgkmcnt(2)
	v_add_f64 v[15:16], v[11:12], v[19:20]
	v_add_f64 v[11:12], v[13:14], v[21:22]
	s_waitcnt lgkmcnt(0)
	v_add_f64 v[13:14], v[17:18], v[23:24]
	v_xor_b32_e32 v17, 1, v25
	s_delay_alu instid0(VALU_DEP_1) | instskip(SKIP_2) | instid1(VALU_DEP_2)
	v_cmp_gt_i32_e32 vcc_lo, 32, v17
	v_cndmask_b32_e32 v17, v25, v17, vcc_lo
	v_cmp_eq_u32_e32 vcc_lo, 7, v32
	v_lshlrev_b32_e32 v20, 2, v17
	ds_bpermute_b32 v23, v20, v9
	ds_bpermute_b32 v24, v20, v10
	;; [unrolled: 1-line block ×8, first 2 shown]
	s_and_b32 exec_lo, exec_lo, vcc_lo
	s_cbranch_execz .LBB274_33
; %bb.29:
	v_cmp_eq_f64_e32 vcc_lo, 0, v[4:5]
	v_cmp_eq_f64_e64 s0, 0, v[6:7]
	s_waitcnt lgkmcnt(6)
	v_add_f64 v[9:10], v[9:10], v[23:24]
	s_waitcnt lgkmcnt(4)
	v_add_f64 v[15:16], v[15:16], v[21:22]
	;; [unrolled: 2-line block ×4, first 2 shown]
	s_load_b64 s[2:3], s[2:3], 0x48
	s_and_b32 s0, vcc_lo, s0
	s_delay_alu instid0(SALU_CYCLE_1) | instskip(NEXT) | instid1(SALU_CYCLE_1)
	s_and_saveexec_b32 s1, s0
	s_xor_b32 s0, exec_lo, s1
	s_cbranch_execz .LBB274_31
; %bb.30:
	s_delay_alu instid0(VALU_DEP_3) | instskip(SKIP_1) | instid1(VALU_DEP_3)
	v_mul_f64 v[4:5], v[15:16], -v[2:3]
	v_mul_f64 v[6:7], v[0:1], v[15:16]
	v_mul_f64 v[15:16], v[13:14], -v[2:3]
	v_mul_f64 v[13:14], v[0:1], v[13:14]
	v_lshlrev_b32_e32 v8, 1, v8
	v_fma_f64 v[4:5], v[0:1], v[9:10], v[4:5]
	v_fma_f64 v[6:7], v[2:3], v[9:10], v[6:7]
	;; [unrolled: 1-line block ×4, first 2 shown]
	v_ashrrev_i32_e32 v9, 31, v8
                                        ; implicit-def: $vgpr15_vgpr16
                                        ; implicit-def: $vgpr11_vgpr12
                                        ; implicit-def: $vgpr13_vgpr14
	s_delay_alu instid0(VALU_DEP_1) | instskip(SKIP_1) | instid1(VALU_DEP_1)
	v_lshlrev_b64 v[8:9], 4, v[8:9]
	s_waitcnt lgkmcnt(0)
	v_add_co_u32 v8, vcc_lo, s2, v8
	s_delay_alu instid0(VALU_DEP_2)
	v_add_co_ci_u32_e32 v9, vcc_lo, s3, v9, vcc_lo
	s_clause 0x1
	global_store_b128 v[8:9], v[4:7], off
	global_store_b128 v[8:9], v[0:3], off offset:16
                                        ; implicit-def: $vgpr0_vgpr1
                                        ; implicit-def: $vgpr2_vgpr3
                                        ; implicit-def: $vgpr4_vgpr5
                                        ; implicit-def: $vgpr6_vgpr7
                                        ; implicit-def: $vgpr8
                                        ; implicit-def: $vgpr9_vgpr10
.LBB274_31:
	s_and_not1_saveexec_b32 s0, s0
	s_cbranch_execz .LBB274_33
; %bb.32:
	v_lshlrev_b32_e32 v17, 1, v8
	s_delay_alu instid0(VALU_DEP_4) | instskip(SKIP_1) | instid1(VALU_DEP_4)
	v_mul_f64 v[27:28], v[15:16], -v[2:3]
	v_mul_f64 v[15:16], v[0:1], v[15:16]
	v_mul_f64 v[29:30], v[13:14], -v[2:3]
	v_mul_f64 v[13:14], v[0:1], v[13:14]
	v_ashrrev_i32_e32 v18, 31, v17
	s_delay_alu instid0(VALU_DEP_1) | instskip(SKIP_1) | instid1(VALU_DEP_1)
	v_lshlrev_b64 v[17:18], 4, v[17:18]
	s_waitcnt lgkmcnt(0)
	v_add_co_u32 v25, vcc_lo, s2, v17
	s_delay_alu instid0(VALU_DEP_2)
	v_add_co_ci_u32_e32 v26, vcc_lo, s3, v18, vcc_lo
	s_clause 0x1
	global_load_b128 v[17:20], v[25:26], off
	global_load_b128 v[21:24], v[25:26], off offset:16
	v_fma_f64 v[27:28], v[0:1], v[9:10], v[27:28]
	v_fma_f64 v[8:9], v[2:3], v[9:10], v[15:16]
	;; [unrolled: 1-line block ×4, first 2 shown]
	s_waitcnt vmcnt(1)
	s_delay_alu instid0(VALU_DEP_4) | instskip(NEXT) | instid1(VALU_DEP_4)
	v_fma_f64 v[10:11], v[4:5], v[17:18], v[27:28]
	v_fma_f64 v[8:9], v[6:7], v[17:18], v[8:9]
	s_waitcnt vmcnt(0)
	s_delay_alu instid0(VALU_DEP_4) | instskip(NEXT) | instid1(VALU_DEP_4)
	v_fma_f64 v[12:13], v[4:5], v[21:22], v[0:1]
	v_fma_f64 v[14:15], v[6:7], v[21:22], v[2:3]
	s_delay_alu instid0(VALU_DEP_4) | instskip(NEXT) | instid1(VALU_DEP_4)
	v_fma_f64 v[0:1], -v[6:7], v[19:20], v[10:11]
	v_fma_f64 v[2:3], v[4:5], v[19:20], v[8:9]
	s_delay_alu instid0(VALU_DEP_4) | instskip(NEXT) | instid1(VALU_DEP_4)
	v_fma_f64 v[6:7], -v[6:7], v[23:24], v[12:13]
	v_fma_f64 v[8:9], v[4:5], v[23:24], v[14:15]
	s_clause 0x1
	global_store_b128 v[25:26], v[0:3], off
	global_store_b128 v[25:26], v[6:9], off offset:16
.LBB274_33:
	s_nop 0
	s_sendmsg sendmsg(MSG_DEALLOC_VGPRS)
	s_endpgm
	.section	.rodata,"a",@progbits
	.p2align	6, 0x0
	.amdhsa_kernel _ZN9rocsparseL19gebsrmvn_2xn_kernelILj128ELj11ELj8E21rocsparse_complex_numIdEEEvi20rocsparse_direction_NS_24const_host_device_scalarIT2_EEPKiS8_PKS5_SA_S6_PS5_21rocsparse_index_base_b
		.amdhsa_group_segment_fixed_size 2048
		.amdhsa_private_segment_fixed_size 0
		.amdhsa_kernarg_size 88
		.amdhsa_user_sgpr_count 15
		.amdhsa_user_sgpr_dispatch_ptr 1
		.amdhsa_user_sgpr_queue_ptr 0
		.amdhsa_user_sgpr_kernarg_segment_ptr 1
		.amdhsa_user_sgpr_dispatch_id 0
		.amdhsa_user_sgpr_private_segment_size 0
		.amdhsa_wavefront_size32 1
		.amdhsa_uses_dynamic_stack 0
		.amdhsa_enable_private_segment 0
		.amdhsa_system_sgpr_workgroup_id_x 1
		.amdhsa_system_sgpr_workgroup_id_y 0
		.amdhsa_system_sgpr_workgroup_id_z 0
		.amdhsa_system_sgpr_workgroup_info 0
		.amdhsa_system_vgpr_workitem_id 2
		.amdhsa_next_free_vgpr 64
		.amdhsa_next_free_sgpr 18
		.amdhsa_reserve_vcc 1
		.amdhsa_float_round_mode_32 0
		.amdhsa_float_round_mode_16_64 0
		.amdhsa_float_denorm_mode_32 3
		.amdhsa_float_denorm_mode_16_64 3
		.amdhsa_dx10_clamp 1
		.amdhsa_ieee_mode 1
		.amdhsa_fp16_overflow 0
		.amdhsa_workgroup_processor_mode 1
		.amdhsa_memory_ordered 1
		.amdhsa_forward_progress 0
		.amdhsa_shared_vgpr_count 0
		.amdhsa_exception_fp_ieee_invalid_op 0
		.amdhsa_exception_fp_denorm_src 0
		.amdhsa_exception_fp_ieee_div_zero 0
		.amdhsa_exception_fp_ieee_overflow 0
		.amdhsa_exception_fp_ieee_underflow 0
		.amdhsa_exception_fp_ieee_inexact 0
		.amdhsa_exception_int_div_zero 0
	.end_amdhsa_kernel
	.section	.text._ZN9rocsparseL19gebsrmvn_2xn_kernelILj128ELj11ELj8E21rocsparse_complex_numIdEEEvi20rocsparse_direction_NS_24const_host_device_scalarIT2_EEPKiS8_PKS5_SA_S6_PS5_21rocsparse_index_base_b,"axG",@progbits,_ZN9rocsparseL19gebsrmvn_2xn_kernelILj128ELj11ELj8E21rocsparse_complex_numIdEEEvi20rocsparse_direction_NS_24const_host_device_scalarIT2_EEPKiS8_PKS5_SA_S6_PS5_21rocsparse_index_base_b,comdat
.Lfunc_end274:
	.size	_ZN9rocsparseL19gebsrmvn_2xn_kernelILj128ELj11ELj8E21rocsparse_complex_numIdEEEvi20rocsparse_direction_NS_24const_host_device_scalarIT2_EEPKiS8_PKS5_SA_S6_PS5_21rocsparse_index_base_b, .Lfunc_end274-_ZN9rocsparseL19gebsrmvn_2xn_kernelILj128ELj11ELj8E21rocsparse_complex_numIdEEEvi20rocsparse_direction_NS_24const_host_device_scalarIT2_EEPKiS8_PKS5_SA_S6_PS5_21rocsparse_index_base_b
                                        ; -- End function
	.section	.AMDGPU.csdata,"",@progbits
; Kernel info:
; codeLenInByte = 3316
; NumSgprs: 20
; NumVgprs: 64
; ScratchSize: 0
; MemoryBound: 0
; FloatMode: 240
; IeeeMode: 1
; LDSByteSize: 2048 bytes/workgroup (compile time only)
; SGPRBlocks: 2
; VGPRBlocks: 7
; NumSGPRsForWavesPerEU: 20
; NumVGPRsForWavesPerEU: 64
; Occupancy: 16
; WaveLimiterHint : 1
; COMPUTE_PGM_RSRC2:SCRATCH_EN: 0
; COMPUTE_PGM_RSRC2:USER_SGPR: 15
; COMPUTE_PGM_RSRC2:TRAP_HANDLER: 0
; COMPUTE_PGM_RSRC2:TGID_X_EN: 1
; COMPUTE_PGM_RSRC2:TGID_Y_EN: 0
; COMPUTE_PGM_RSRC2:TGID_Z_EN: 0
; COMPUTE_PGM_RSRC2:TIDIG_COMP_CNT: 2
	.section	.text._ZN9rocsparseL19gebsrmvn_2xn_kernelILj128ELj11ELj16E21rocsparse_complex_numIdEEEvi20rocsparse_direction_NS_24const_host_device_scalarIT2_EEPKiS8_PKS5_SA_S6_PS5_21rocsparse_index_base_b,"axG",@progbits,_ZN9rocsparseL19gebsrmvn_2xn_kernelILj128ELj11ELj16E21rocsparse_complex_numIdEEEvi20rocsparse_direction_NS_24const_host_device_scalarIT2_EEPKiS8_PKS5_SA_S6_PS5_21rocsparse_index_base_b,comdat
	.globl	_ZN9rocsparseL19gebsrmvn_2xn_kernelILj128ELj11ELj16E21rocsparse_complex_numIdEEEvi20rocsparse_direction_NS_24const_host_device_scalarIT2_EEPKiS8_PKS5_SA_S6_PS5_21rocsparse_index_base_b ; -- Begin function _ZN9rocsparseL19gebsrmvn_2xn_kernelILj128ELj11ELj16E21rocsparse_complex_numIdEEEvi20rocsparse_direction_NS_24const_host_device_scalarIT2_EEPKiS8_PKS5_SA_S6_PS5_21rocsparse_index_base_b
	.p2align	8
	.type	_ZN9rocsparseL19gebsrmvn_2xn_kernelILj128ELj11ELj16E21rocsparse_complex_numIdEEEvi20rocsparse_direction_NS_24const_host_device_scalarIT2_EEPKiS8_PKS5_SA_S6_PS5_21rocsparse_index_base_b,@function
_ZN9rocsparseL19gebsrmvn_2xn_kernelILj128ELj11ELj16E21rocsparse_complex_numIdEEEvi20rocsparse_direction_NS_24const_host_device_scalarIT2_EEPKiS8_PKS5_SA_S6_PS5_21rocsparse_index_base_b: ; @_ZN9rocsparseL19gebsrmvn_2xn_kernelILj128ELj11ELj16E21rocsparse_complex_numIdEEEvi20rocsparse_direction_NS_24const_host_device_scalarIT2_EEPKiS8_PKS5_SA_S6_PS5_21rocsparse_index_base_b
; %bb.0:
	s_load_b64 s[12:13], s[2:3], 0x50
	s_load_b64 s[16:17], s[0:1], 0x4
	s_load_b128 s[8:11], s[2:3], 0x8
	v_bfe_u32 v1, v0, 10, 10
	s_mov_b64 s[0:1], src_shared_base
	s_load_b128 s[4:7], s[2:3], 0x38
	v_and_b32_e32 v12, 0x3ff, v0
	v_bfe_u32 v0, v0, 20, 10
	s_waitcnt lgkmcnt(0)
	s_bitcmp1_b32 s13, 0
	v_mul_u32_u24_e32 v1, s17, v1
	s_cselect_b32 s0, -1, 0
	s_delay_alu instid0(SALU_CYCLE_1)
	s_and_b32 vcc_lo, s0, exec_lo
	s_cselect_b32 s13, s1, s9
	s_lshr_b32 s14, s16, 16
	v_dual_mov_b32 v2, s4 :: v_dual_mov_b32 v3, s5
	s_mul_i32 s14, s14, s17
	v_mov_b32_e32 v6, s13
	v_mad_u32_u24 v1, s14, v12, v1
	s_delay_alu instid0(VALU_DEP_1) | instskip(SKIP_1) | instid1(VALU_DEP_2)
	v_add_lshl_u32 v4, v1, v0, 3
	v_dual_mov_b32 v0, s8 :: v_dual_mov_b32 v1, s9
	v_add_nc_u32_e32 v5, 0x400, v4
	ds_store_2addr_stride64_b64 v4, v[2:3], v[0:1] offset1:2
	v_dual_mov_b32 v2, s10 :: v_dual_mov_b32 v3, s11
	v_cndmask_b32_e64 v5, s8, v5, s0
	s_xor_b32 s10, s0, -1
	flat_load_b64 v[0:1], v[5:6]
	s_cbranch_vccnz .LBB275_2
; %bb.1:
	v_dual_mov_b32 v2, s8 :: v_dual_mov_b32 v3, s9
	flat_load_b64 v[2:3], v[2:3] offset:8
.LBB275_2:
	s_and_b32 s8, s0, exec_lo
	s_cselect_b32 s1, s1, s5
	v_cndmask_b32_e64 v4, s4, v4, s0
	v_dual_mov_b32 v5, s1 :: v_dual_mov_b32 v6, s6
	v_mov_b32_e32 v7, s7
	s_and_not1_b32 vcc_lo, exec_lo, s10
	flat_load_b64 v[4:5], v[4:5]
	s_cbranch_vccnz .LBB275_4
; %bb.3:
	v_dual_mov_b32 v7, s5 :: v_dual_mov_b32 v6, s4
	flat_load_b64 v[6:7], v[6:7] offset:8
.LBB275_4:
	s_waitcnt vmcnt(1) lgkmcnt(1)
	v_cmp_eq_f64_e32 vcc_lo, 0, v[0:1]
	v_cmp_eq_f64_e64 s0, 0, v[2:3]
	s_delay_alu instid0(VALU_DEP_1)
	s_and_b32 s4, vcc_lo, s0
	s_mov_b32 s0, -1
	s_and_saveexec_b32 s1, s4
	s_cbranch_execz .LBB275_6
; %bb.5:
	s_waitcnt vmcnt(0) lgkmcnt(0)
	v_cmp_neq_f64_e32 vcc_lo, 1.0, v[4:5]
	v_cmp_neq_f64_e64 s0, 0, v[6:7]
	s_delay_alu instid0(VALU_DEP_1) | instskip(NEXT) | instid1(SALU_CYCLE_1)
	s_or_b32 s0, vcc_lo, s0
	s_or_not1_b32 s0, s0, exec_lo
.LBB275_6:
	s_or_b32 exec_lo, exec_lo, s1
	s_and_saveexec_b32 s1, s0
	s_cbranch_execz .LBB275_33
; %bb.7:
	s_load_b64 s[0:1], s[2:3], 0x0
	v_lshrrev_b32_e32 v8, 4, v12
	s_delay_alu instid0(VALU_DEP_1) | instskip(SKIP_1) | instid1(VALU_DEP_1)
	v_lshl_or_b32 v8, s15, 3, v8
	s_waitcnt lgkmcnt(0)
	v_cmp_gt_i32_e32 vcc_lo, s0, v8
	s_and_b32 exec_lo, exec_lo, vcc_lo
	s_cbranch_execz .LBB275_33
; %bb.8:
	s_load_b256 s[4:11], s[2:3], 0x18
	v_ashrrev_i32_e32 v9, 31, v8
	v_and_b32_e32 v32, 15, v12
	s_cmp_lg_u32 s1, 0
	s_delay_alu instid0(VALU_DEP_2) | instskip(SKIP_1) | instid1(VALU_DEP_1)
	v_lshlrev_b64 v[9:10], 2, v[8:9]
	s_waitcnt lgkmcnt(0)
	v_add_co_u32 v9, vcc_lo, s4, v9
	s_delay_alu instid0(VALU_DEP_2) | instskip(SKIP_4) | instid1(VALU_DEP_2)
	v_add_co_ci_u32_e32 v10, vcc_lo, s5, v10, vcc_lo
	global_load_b64 v[10:11], v[9:10], off
	s_waitcnt vmcnt(0)
	v_subrev_nc_u32_e32 v9, s12, v10
	v_subrev_nc_u32_e32 v33, s12, v11
	v_add_nc_u32_e32 v9, v9, v32
	s_delay_alu instid0(VALU_DEP_1)
	v_cmp_lt_i32_e64 s0, v9, v33
	s_cbranch_scc0 .LBB275_16
; %bb.9:
	v_mov_b32_e32 v11, 0
	v_mov_b32_e32 v12, 0
	s_delay_alu instid0(VALU_DEP_1)
	v_dual_mov_b32 v14, v12 :: v_dual_mov_b32 v13, v11
	v_dual_mov_b32 v16, v12 :: v_dual_mov_b32 v15, v11
	;; [unrolled: 1-line block ×3, first 2 shown]
	s_and_saveexec_b32 s1, s0
	s_cbranch_execz .LBB275_18
; %bb.10:
	v_mul_lo_u32 v13, v10, 22
	v_dual_mov_b32 v11, 0 :: v_dual_mov_b32 v20, 0
	v_dual_mov_b32 v12, 0 :: v_dual_mov_b32 v21, v9
	v_mul_lo_u32 v34, v9, 22
	s_mul_i32 s4, s12, 22
	s_delay_alu instid0(VALU_DEP_2) | instskip(SKIP_2) | instid1(VALU_DEP_2)
	v_dual_mov_b32 v16, v12 :: v_dual_mov_b32 v15, v11
	v_mad_u32_u24 v17, v32, 22, v13
	v_dual_mov_b32 v14, v12 :: v_dual_mov_b32 v13, v11
	v_subrev_nc_u32_e32 v35, s4, v17
	v_dual_mov_b32 v18, v12 :: v_dual_mov_b32 v17, v11
	s_mov_b32 s4, 0
	s_branch .LBB275_12
.LBB275_11:                             ;   in Loop: Header=BB275_12 Depth=1
	v_add_nc_u32_e32 v21, 16, v21
	v_add_nc_u32_e32 v34, 0x160, v34
	;; [unrolled: 1-line block ×3, first 2 shown]
	s_delay_alu instid0(VALU_DEP_3) | instskip(SKIP_1) | instid1(SALU_CYCLE_1)
	v_cmp_ge_i32_e32 vcc_lo, v21, v33
	s_or_b32 s4, vcc_lo, s4
	s_and_not1_b32 exec_lo, exec_lo, s4
	s_cbranch_execz .LBB275_17
.LBB275_12:                             ; =>This Loop Header: Depth=1
                                        ;     Child Loop BB275_14 Depth 2
	v_ashrrev_i32_e32 v22, 31, v21
	v_dual_mov_b32 v25, v12 :: v_dual_mov_b32 v24, v11
	v_dual_mov_b32 v27, v14 :: v_dual_mov_b32 v26, v13
	s_delay_alu instid0(VALU_DEP_3) | instskip(SKIP_3) | instid1(VALU_DEP_3)
	v_lshlrev_b64 v[22:23], 2, v[21:22]
	v_dual_mov_b32 v29, v16 :: v_dual_mov_b32 v28, v15
	v_dual_mov_b32 v31, v18 :: v_dual_mov_b32 v30, v17
	s_mov_b32 s5, 0
	v_add_co_u32 v22, vcc_lo, s6, v22
	s_delay_alu instid0(VALU_DEP_4) | instskip(SKIP_3) | instid1(VALU_DEP_1)
	v_add_co_ci_u32_e32 v23, vcc_lo, s7, v23, vcc_lo
	global_load_b32 v19, v[22:23], off
	s_waitcnt vmcnt(0)
	v_subrev_nc_u32_e32 v19, s12, v19
	v_mul_lo_u32 v22, v19, 11
	s_branch .LBB275_14
.LBB275_13:                             ;   in Loop: Header=BB275_12 Depth=1
                                        ; implicit-def: $vgpr30_vgpr31
                                        ; implicit-def: $vgpr28_vgpr29
                                        ; implicit-def: $vgpr26_vgpr27
                                        ; implicit-def: $vgpr24_vgpr25
                                        ; implicit-def: $sgpr5
                                        ; implicit-def: $vgpr22
	s_branch .LBB275_11
.LBB275_14:                             ;   Parent Loop BB275_12 Depth=1
                                        ; =>  This Inner Loop Header: Depth=2
	v_add_nc_u32_e32 v19, s5, v35
	v_mov_b32_e32 v23, v20
	s_cmp_eq_u32 s5, 16
	s_delay_alu instid0(VALU_DEP_2) | instskip(NEXT) | instid1(VALU_DEP_2)
	v_lshlrev_b64 v[11:12], 4, v[19:20]
	v_lshlrev_b64 v[13:14], 4, v[22:23]
	v_add_nc_u32_e32 v23, s5, v34
	s_delay_alu instid0(VALU_DEP_3) | instskip(NEXT) | instid1(VALU_DEP_4)
	v_add_co_u32 v36, vcc_lo, s8, v11
	v_add_co_ci_u32_e32 v37, vcc_lo, s9, v12, vcc_lo
	s_delay_alu instid0(VALU_DEP_4)
	v_add_co_u32 v15, vcc_lo, s10, v13
	v_add_co_ci_u32_e32 v16, vcc_lo, s11, v14, vcc_lo
	v_add_nc_u32_e32 v19, 2, v23
	global_load_b128 v[11:14], v[36:37], off
	global_load_b128 v[15:18], v[15:16], off
	global_load_b128 v[36:39], v[36:37], off offset:16
	v_lshlrev_b64 v[40:41], 4, v[19:20]
	v_add_nc_u32_e32 v19, 1, v22
	s_delay_alu instid0(VALU_DEP_1) | instskip(NEXT) | instid1(VALU_DEP_3)
	v_lshlrev_b64 v[42:43], 4, v[19:20]
	v_add_co_u32 v48, vcc_lo, s8, v40
	s_delay_alu instid0(VALU_DEP_4) | instskip(SKIP_1) | instid1(VALU_DEP_4)
	v_add_co_ci_u32_e32 v49, vcc_lo, s9, v41, vcc_lo
	v_add_nc_u32_e32 v19, 4, v23
	v_add_co_u32 v44, vcc_lo, s10, v42
	v_add_co_ci_u32_e32 v45, vcc_lo, s11, v43, vcc_lo
	global_load_b128 v[40:43], v[48:49], off
	global_load_b128 v[44:47], v[44:45], off
	global_load_b128 v[48:51], v[48:49], off offset:16
	v_lshlrev_b64 v[52:53], 4, v[19:20]
	v_add_nc_u32_e32 v19, 2, v22
	s_delay_alu instid0(VALU_DEP_1) | instskip(NEXT) | instid1(VALU_DEP_3)
	v_lshlrev_b64 v[54:55], 4, v[19:20]
	v_add_co_u32 v60, vcc_lo, s8, v52
	s_delay_alu instid0(VALU_DEP_4) | instskip(NEXT) | instid1(VALU_DEP_3)
	v_add_co_ci_u32_e32 v61, vcc_lo, s9, v53, vcc_lo
	v_add_co_u32 v56, vcc_lo, s10, v54
	s_delay_alu instid0(VALU_DEP_4)
	v_add_co_ci_u32_e32 v57, vcc_lo, s11, v55, vcc_lo
	global_load_b128 v[52:55], v[60:61], off
	global_load_b128 v[56:59], v[56:57], off
	global_load_b128 v[60:63], v[60:61], off offset:16
	s_waitcnt vmcnt(7)
	v_fma_f64 v[26:27], v[11:12], v[15:16], v[26:27]
	v_fma_f64 v[24:25], v[13:14], v[15:16], v[24:25]
	s_waitcnt vmcnt(6)
	v_fma_f64 v[28:29], v[36:37], v[15:16], v[28:29]
	v_fma_f64 v[15:16], v[38:39], v[15:16], v[30:31]
	s_delay_alu instid0(VALU_DEP_4) | instskip(NEXT) | instid1(VALU_DEP_4)
	v_fma_f64 v[13:14], -v[13:14], v[17:18], v[26:27]
	v_fma_f64 v[11:12], v[11:12], v[17:18], v[24:25]
	s_delay_alu instid0(VALU_DEP_4) | instskip(NEXT) | instid1(VALU_DEP_4)
	v_fma_f64 v[24:25], -v[38:39], v[17:18], v[28:29]
	v_fma_f64 v[15:16], v[36:37], v[17:18], v[15:16]
	s_waitcnt vmcnt(4)
	s_delay_alu instid0(VALU_DEP_4) | instskip(NEXT) | instid1(VALU_DEP_4)
	v_fma_f64 v[13:14], v[40:41], v[44:45], v[13:14]
	v_fma_f64 v[11:12], v[42:43], v[44:45], v[11:12]
	s_waitcnt vmcnt(3)
	s_delay_alu instid0(VALU_DEP_4) | instskip(NEXT) | instid1(VALU_DEP_4)
	v_fma_f64 v[17:18], v[48:49], v[44:45], v[24:25]
	v_fma_f64 v[15:16], v[50:51], v[44:45], v[15:16]
	s_delay_alu instid0(VALU_DEP_4) | instskip(NEXT) | instid1(VALU_DEP_4)
	v_fma_f64 v[13:14], -v[42:43], v[46:47], v[13:14]
	v_fma_f64 v[11:12], v[40:41], v[46:47], v[11:12]
	s_delay_alu instid0(VALU_DEP_4) | instskip(NEXT) | instid1(VALU_DEP_4)
	v_fma_f64 v[17:18], -v[50:51], v[46:47], v[17:18]
	v_fma_f64 v[15:16], v[48:49], v[46:47], v[15:16]
	s_waitcnt vmcnt(1)
	s_delay_alu instid0(VALU_DEP_4) | instskip(NEXT) | instid1(VALU_DEP_4)
	v_fma_f64 v[13:14], v[52:53], v[56:57], v[13:14]
	v_fma_f64 v[11:12], v[54:55], v[56:57], v[11:12]
	s_waitcnt vmcnt(0)
	s_delay_alu instid0(VALU_DEP_4) | instskip(NEXT) | instid1(VALU_DEP_4)
	v_fma_f64 v[17:18], v[60:61], v[56:57], v[17:18]
	v_fma_f64 v[24:25], v[62:63], v[56:57], v[15:16]
	s_delay_alu instid0(VALU_DEP_4) | instskip(NEXT) | instid1(VALU_DEP_4)
	v_fma_f64 v[13:14], -v[54:55], v[58:59], v[13:14]
	v_fma_f64 v[11:12], v[52:53], v[58:59], v[11:12]
	s_delay_alu instid0(VALU_DEP_4) | instskip(NEXT) | instid1(VALU_DEP_4)
	v_fma_f64 v[15:16], -v[62:63], v[58:59], v[17:18]
	v_fma_f64 v[17:18], v[60:61], v[58:59], v[24:25]
	s_cbranch_scc1 .LBB275_13
; %bb.15:                               ;   in Loop: Header=BB275_14 Depth=2
	v_add_nc_u32_e32 v19, 6, v23
	s_add_i32 s5, s5, 8
	s_delay_alu instid0(VALU_DEP_1) | instskip(SKIP_2) | instid1(VALU_DEP_2)
	v_lshlrev_b64 v[23:24], 4, v[19:20]
	v_add_nc_u32_e32 v19, 3, v22
	v_add_nc_u32_e32 v22, 4, v22
	v_lshlrev_b64 v[25:26], 4, v[19:20]
	s_delay_alu instid0(VALU_DEP_4) | instskip(SKIP_1) | instid1(VALU_DEP_3)
	v_add_co_u32 v36, vcc_lo, s8, v23
	v_add_co_ci_u32_e32 v37, vcc_lo, s9, v24, vcc_lo
	v_add_co_u32 v27, vcc_lo, s10, v25
	s_delay_alu instid0(VALU_DEP_4)
	v_add_co_ci_u32_e32 v28, vcc_lo, s11, v26, vcc_lo
	global_load_b128 v[23:26], v[36:37], off
	global_load_b128 v[28:31], v[27:28], off
	global_load_b128 v[36:39], v[36:37], off offset:16
	s_waitcnt vmcnt(1)
	v_fma_f64 v[40:41], v[23:24], v[28:29], v[13:14]
	v_fma_f64 v[42:43], v[25:26], v[28:29], v[11:12]
	s_waitcnt vmcnt(0)
	v_fma_f64 v[44:45], v[36:37], v[28:29], v[15:16]
	v_fma_f64 v[46:47], v[38:39], v[28:29], v[17:18]
	s_delay_alu instid0(VALU_DEP_4) | instskip(NEXT) | instid1(VALU_DEP_4)
	v_fma_f64 v[26:27], -v[25:26], v[30:31], v[40:41]
	v_fma_f64 v[24:25], v[23:24], v[30:31], v[42:43]
	s_delay_alu instid0(VALU_DEP_4) | instskip(NEXT) | instid1(VALU_DEP_4)
	v_fma_f64 v[28:29], -v[38:39], v[30:31], v[44:45]
	v_fma_f64 v[30:31], v[36:37], v[30:31], v[46:47]
	s_cbranch_execnz .LBB275_14
	s_branch .LBB275_11
.LBB275_16:
                                        ; implicit-def: $vgpr11_vgpr12
                                        ; implicit-def: $vgpr13_vgpr14
                                        ; implicit-def: $vgpr15_vgpr16
                                        ; implicit-def: $vgpr17_vgpr18
	s_branch .LBB275_19
.LBB275_17:
	s_or_b32 exec_lo, exec_lo, s4
.LBB275_18:
	s_delay_alu instid0(SALU_CYCLE_1)
	s_or_b32 exec_lo, exec_lo, s1
	s_cbranch_execnz .LBB275_28
.LBB275_19:
	v_mov_b32_e32 v11, 0
	v_mov_b32_e32 v12, 0
	s_delay_alu instid0(VALU_DEP_1)
	v_dual_mov_b32 v14, v12 :: v_dual_mov_b32 v13, v11
	v_dual_mov_b32 v16, v12 :: v_dual_mov_b32 v15, v11
	v_dual_mov_b32 v18, v12 :: v_dual_mov_b32 v17, v11
	s_and_saveexec_b32 s1, s0
	s_cbranch_execz .LBB275_27
; %bb.20:
	v_mul_lo_u32 v10, v10, 22
	v_dual_mov_b32 v11, 0 :: v_dual_mov_b32 v20, 0
	v_mov_b32_e32 v12, 0
	v_mul_lo_u32 v29, v9, 22
	s_mul_i32 s0, s12, 22
	s_delay_alu instid0(VALU_DEP_2) | instskip(SKIP_3) | instid1(VALU_DEP_3)
	v_dual_mov_b32 v14, v12 :: v_dual_mov_b32 v13, v11
	v_mad_u32_u24 v10, v32, 22, v10
	v_dual_mov_b32 v16, v12 :: v_dual_mov_b32 v15, v11
	v_dual_mov_b32 v18, v12 :: v_dual_mov_b32 v17, v11
	v_subrev_nc_u32_e32 v30, s0, v10
	s_mov_b32 s0, 0
	s_branch .LBB275_22
.LBB275_21:                             ;   in Loop: Header=BB275_22 Depth=1
	v_add_nc_u32_e32 v9, 16, v9
	v_add_nc_u32_e32 v29, 0x160, v29
	;; [unrolled: 1-line block ×3, first 2 shown]
	s_delay_alu instid0(VALU_DEP_3) | instskip(SKIP_1) | instid1(SALU_CYCLE_1)
	v_cmp_ge_i32_e32 vcc_lo, v9, v33
	s_or_b32 s0, vcc_lo, s0
	s_and_not1_b32 exec_lo, exec_lo, s0
	s_cbranch_execz .LBB275_26
.LBB275_22:                             ; =>This Loop Header: Depth=1
                                        ;     Child Loop BB275_24 Depth 2
	v_ashrrev_i32_e32 v10, 31, v9
	v_dual_mov_b32 v24, v14 :: v_dual_mov_b32 v23, v13
	v_dual_mov_b32 v26, v16 :: v_dual_mov_b32 v25, v15
	s_delay_alu instid0(VALU_DEP_3) | instskip(SKIP_2) | instid1(VALU_DEP_2)
	v_lshlrev_b64 v[21:22], 2, v[9:10]
	v_dual_mov_b32 v28, v18 :: v_dual_mov_b32 v27, v17
	s_mov_b32 s4, 0
	v_add_co_u32 v21, vcc_lo, s6, v21
	s_delay_alu instid0(VALU_DEP_3) | instskip(SKIP_4) | instid1(VALU_DEP_1)
	v_add_co_ci_u32_e32 v22, vcc_lo, s7, v22, vcc_lo
	global_load_b32 v10, v[21:22], off
	v_dual_mov_b32 v22, v12 :: v_dual_mov_b32 v21, v11
	s_waitcnt vmcnt(0)
	v_subrev_nc_u32_e32 v10, s12, v10
	v_mul_lo_u32 v10, v10, 11
	s_branch .LBB275_24
.LBB275_23:                             ;   in Loop: Header=BB275_22 Depth=1
                                        ; implicit-def: $vgpr27_vgpr28
                                        ; implicit-def: $vgpr25_vgpr26
                                        ; implicit-def: $vgpr23_vgpr24
                                        ; implicit-def: $vgpr21_vgpr22
                                        ; implicit-def: $sgpr4
	s_branch .LBB275_21
.LBB275_24:                             ;   Parent Loop BB275_22 Depth=1
                                        ; =>  This Inner Loop Header: Depth=2
	v_dual_mov_b32 v12, v20 :: v_dual_add_nc_u32 v19, s4, v30
	v_add_nc_u32_e32 v31, s4, v29
	v_mov_b32_e32 v43, v20
	v_mov_b32_e32 v51, v20
	s_delay_alu instid0(VALU_DEP_4) | instskip(SKIP_4) | instid1(VALU_DEP_4)
	v_lshlrev_b64 v[13:14], 4, v[19:20]
	v_add_nc_u32_e32 v19, s4, v10
	v_add_nc_u32_e32 v50, 2, v31
	;; [unrolled: 1-line block ×3, first 2 shown]
	v_dual_mov_b32 v41, v20 :: v_dual_add_nc_u32 v42, 12, v31
	v_add_nc_u32_e32 v40, 1, v19
	v_lshlrev_b64 v[15:16], 4, v[19:20]
	s_delay_alu instid0(VALU_DEP_4) | instskip(SKIP_2) | instid1(VALU_DEP_4)
	v_lshlrev_b64 v[11:12], 4, v[11:12]
	v_add_co_u32 v38, vcc_lo, s8, v13
	v_add_co_ci_u32_e32 v39, vcc_lo, s9, v14, vcc_lo
	v_add_co_u32 v15, vcc_lo, s10, v15
	v_add_co_ci_u32_e32 v16, vcc_lo, s11, v16, vcc_lo
	;; [unrolled: 2-line block ×3, first 2 shown]
	global_load_b128 v[11:14], v[38:39], off
	global_load_b128 v[15:18], v[15:16], off
	;; [unrolled: 1-line block ×3, first 2 shown]
	v_lshlrev_b64 v[40:41], 4, v[40:41]
	v_lshlrev_b64 v[42:43], 4, v[42:43]
	v_dual_mov_b32 v53, v20 :: v_dual_add_nc_u32 v52, 2, v19
	v_lshlrev_b64 v[50:51], 4, v[50:51]
	s_cmp_eq_u32 s4, 8
	s_delay_alu instid0(VALU_DEP_4)
	v_add_co_u32 v44, vcc_lo, s10, v40
	v_add_co_ci_u32_e32 v45, vcc_lo, s11, v41, vcc_lo
	v_add_co_u32 v58, vcc_lo, s8, v42
	v_add_co_ci_u32_e32 v59, vcc_lo, s9, v43, vcc_lo
	global_load_b128 v[38:41], v[38:39], off offset:16
	global_load_b128 v[42:45], v[44:45], off
	global_load_b128 v[46:49], v[58:59], off
	v_lshlrev_b64 v[52:53], 4, v[52:53]
	v_add_co_u32 v50, vcc_lo, s8, v50
	v_add_co_ci_u32_e32 v51, vcc_lo, s9, v51, vcc_lo
	s_delay_alu instid0(VALU_DEP_3) | instskip(NEXT) | instid1(VALU_DEP_4)
	v_add_co_u32 v54, vcc_lo, s10, v52
	v_add_co_ci_u32_e32 v55, vcc_lo, s11, v53, vcc_lo
	global_load_b128 v[50:53], v[50:51], off
	global_load_b128 v[54:57], v[54:55], off
	global_load_b128 v[58:61], v[58:59], off offset:16
	s_waitcnt vmcnt(7)
	v_fma_f64 v[23:24], v[11:12], v[15:16], v[23:24]
	v_fma_f64 v[21:22], v[13:14], v[15:16], v[21:22]
	s_waitcnt vmcnt(6)
	v_fma_f64 v[25:26], v[34:35], v[15:16], v[25:26]
	v_fma_f64 v[15:16], v[36:37], v[15:16], v[27:28]
	s_delay_alu instid0(VALU_DEP_4) | instskip(NEXT) | instid1(VALU_DEP_4)
	v_fma_f64 v[13:14], -v[13:14], v[17:18], v[23:24]
	v_fma_f64 v[11:12], v[11:12], v[17:18], v[21:22]
	s_delay_alu instid0(VALU_DEP_4) | instskip(NEXT) | instid1(VALU_DEP_4)
	v_fma_f64 v[21:22], -v[36:37], v[17:18], v[25:26]
	v_fma_f64 v[15:16], v[34:35], v[17:18], v[15:16]
	s_waitcnt vmcnt(4)
	s_delay_alu instid0(VALU_DEP_4) | instskip(NEXT) | instid1(VALU_DEP_4)
	v_fma_f64 v[13:14], v[38:39], v[42:43], v[13:14]
	v_fma_f64 v[11:12], v[40:41], v[42:43], v[11:12]
	s_waitcnt vmcnt(3)
	s_delay_alu instid0(VALU_DEP_4) | instskip(NEXT) | instid1(VALU_DEP_4)
	v_fma_f64 v[17:18], v[46:47], v[42:43], v[21:22]
	v_fma_f64 v[15:16], v[48:49], v[42:43], v[15:16]
	s_delay_alu instid0(VALU_DEP_4) | instskip(NEXT) | instid1(VALU_DEP_4)
	v_fma_f64 v[13:14], -v[40:41], v[44:45], v[13:14]
	v_fma_f64 v[11:12], v[38:39], v[44:45], v[11:12]
	s_delay_alu instid0(VALU_DEP_4) | instskip(NEXT) | instid1(VALU_DEP_4)
	v_fma_f64 v[17:18], -v[48:49], v[44:45], v[17:18]
	v_fma_f64 v[15:16], v[46:47], v[44:45], v[15:16]
	s_waitcnt vmcnt(1)
	s_delay_alu instid0(VALU_DEP_4) | instskip(NEXT) | instid1(VALU_DEP_4)
	v_fma_f64 v[13:14], v[50:51], v[54:55], v[13:14]
	v_fma_f64 v[11:12], v[52:53], v[54:55], v[11:12]
	s_waitcnt vmcnt(0)
	s_delay_alu instid0(VALU_DEP_4) | instskip(NEXT) | instid1(VALU_DEP_4)
	v_fma_f64 v[17:18], v[58:59], v[54:55], v[17:18]
	v_fma_f64 v[21:22], v[60:61], v[54:55], v[15:16]
	s_delay_alu instid0(VALU_DEP_4) | instskip(NEXT) | instid1(VALU_DEP_4)
	v_fma_f64 v[13:14], -v[52:53], v[56:57], v[13:14]
	v_fma_f64 v[11:12], v[50:51], v[56:57], v[11:12]
	s_delay_alu instid0(VALU_DEP_4) | instskip(NEXT) | instid1(VALU_DEP_4)
	v_fma_f64 v[15:16], -v[60:61], v[56:57], v[17:18]
	v_fma_f64 v[17:18], v[58:59], v[56:57], v[21:22]
	s_cbranch_scc1 .LBB275_23
; %bb.25:                               ;   in Loop: Header=BB275_24 Depth=2
	v_dual_mov_b32 v22, v20 :: v_dual_add_nc_u32 v19, 3, v19
	v_add_nc_u32_e32 v21, 3, v31
	s_add_i32 s4, s4, 4
	s_delay_alu instid0(VALU_DEP_2) | instskip(SKIP_1) | instid1(VALU_DEP_3)
	v_lshlrev_b64 v[23:24], 4, v[19:20]
	v_add_nc_u32_e32 v19, 14, v31
	v_lshlrev_b64 v[21:22], 4, v[21:22]
	s_delay_alu instid0(VALU_DEP_2) | instskip(NEXT) | instid1(VALU_DEP_2)
	v_lshlrev_b64 v[25:26], 4, v[19:20]
	v_add_co_u32 v21, vcc_lo, s8, v21
	s_delay_alu instid0(VALU_DEP_3)
	v_add_co_ci_u32_e32 v22, vcc_lo, s9, v22, vcc_lo
	v_add_co_u32 v27, vcc_lo, s10, v23
	v_add_co_ci_u32_e32 v28, vcc_lo, s11, v24, vcc_lo
	v_add_co_u32 v34, vcc_lo, s8, v25
	v_add_co_ci_u32_e32 v35, vcc_lo, s9, v26, vcc_lo
	global_load_b128 v[21:24], v[21:22], off
	global_load_b128 v[25:28], v[27:28], off
	;; [unrolled: 1-line block ×3, first 2 shown]
	s_waitcnt vmcnt(1)
	v_fma_f64 v[38:39], v[21:22], v[25:26], v[13:14]
	v_fma_f64 v[40:41], v[23:24], v[25:26], v[11:12]
	s_waitcnt vmcnt(0)
	v_fma_f64 v[42:43], v[34:35], v[25:26], v[15:16]
	v_fma_f64 v[44:45], v[36:37], v[25:26], v[17:18]
	s_delay_alu instid0(VALU_DEP_4) | instskip(NEXT) | instid1(VALU_DEP_4)
	v_fma_f64 v[23:24], -v[23:24], v[27:28], v[38:39]
	v_fma_f64 v[21:22], v[21:22], v[27:28], v[40:41]
	s_delay_alu instid0(VALU_DEP_4) | instskip(NEXT) | instid1(VALU_DEP_4)
	v_fma_f64 v[25:26], -v[36:37], v[27:28], v[42:43]
	v_fma_f64 v[27:28], v[34:35], v[27:28], v[44:45]
	s_cbranch_execnz .LBB275_24
	s_branch .LBB275_21
.LBB275_26:
	s_or_b32 exec_lo, exec_lo, s0
.LBB275_27:
	s_delay_alu instid0(SALU_CYCLE_1)
	s_or_b32 exec_lo, exec_lo, s1
.LBB275_28:
	v_mbcnt_lo_u32_b32 v25, -1, 0
	s_delay_alu instid0(VALU_DEP_1) | instskip(NEXT) | instid1(VALU_DEP_1)
	v_xor_b32_e32 v9, 8, v25
	v_cmp_gt_i32_e32 vcc_lo, 32, v9
	v_cndmask_b32_e32 v9, v25, v9, vcc_lo
	s_delay_alu instid0(VALU_DEP_1)
	v_lshlrev_b32_e32 v24, 2, v9
	ds_bpermute_b32 v9, v24, v13
	ds_bpermute_b32 v10, v24, v14
	;; [unrolled: 1-line block ×8, first 2 shown]
	s_waitcnt lgkmcnt(6)
	v_add_f64 v[9:10], v[13:14], v[9:10]
	s_waitcnt lgkmcnt(4)
	v_add_f64 v[11:12], v[11:12], v[19:20]
	;; [unrolled: 2-line block ×4, first 2 shown]
	v_xor_b32_e32 v17, 4, v25
	s_delay_alu instid0(VALU_DEP_1) | instskip(SKIP_1) | instid1(VALU_DEP_1)
	v_cmp_gt_i32_e32 vcc_lo, 32, v17
	v_cndmask_b32_e32 v17, v25, v17, vcc_lo
	v_lshlrev_b32_e32 v24, 2, v17
	ds_bpermute_b32 v17, v24, v9
	ds_bpermute_b32 v18, v24, v10
	ds_bpermute_b32 v19, v24, v11
	ds_bpermute_b32 v20, v24, v12
	ds_bpermute_b32 v21, v24, v13
	ds_bpermute_b32 v22, v24, v14
	ds_bpermute_b32 v23, v24, v15
	ds_bpermute_b32 v24, v24, v16
	s_waitcnt lgkmcnt(6)
	v_add_f64 v[9:10], v[9:10], v[17:18]
	s_waitcnt lgkmcnt(4)
	v_add_f64 v[11:12], v[11:12], v[19:20]
	;; [unrolled: 2-line block ×4, first 2 shown]
	v_xor_b32_e32 v15, 2, v25
	s_delay_alu instid0(VALU_DEP_1) | instskip(SKIP_1) | instid1(VALU_DEP_1)
	v_cmp_gt_i32_e32 vcc_lo, 32, v15
	v_cndmask_b32_e32 v15, v25, v15, vcc_lo
	v_lshlrev_b32_e32 v24, 2, v15
	ds_bpermute_b32 v15, v24, v9
	ds_bpermute_b32 v16, v24, v10
	;; [unrolled: 1-line block ×8, first 2 shown]
	s_waitcnt lgkmcnt(6)
	v_add_f64 v[9:10], v[9:10], v[15:16]
	s_waitcnt lgkmcnt(4)
	v_add_f64 v[15:16], v[11:12], v[19:20]
	;; [unrolled: 2-line block ×4, first 2 shown]
	v_xor_b32_e32 v17, 1, v25
	s_delay_alu instid0(VALU_DEP_1) | instskip(SKIP_2) | instid1(VALU_DEP_2)
	v_cmp_gt_i32_e32 vcc_lo, 32, v17
	v_cndmask_b32_e32 v17, v25, v17, vcc_lo
	v_cmp_eq_u32_e32 vcc_lo, 15, v32
	v_lshlrev_b32_e32 v20, 2, v17
	ds_bpermute_b32 v23, v20, v9
	ds_bpermute_b32 v24, v20, v10
	;; [unrolled: 1-line block ×8, first 2 shown]
	s_and_b32 exec_lo, exec_lo, vcc_lo
	s_cbranch_execz .LBB275_33
; %bb.29:
	v_cmp_eq_f64_e32 vcc_lo, 0, v[4:5]
	v_cmp_eq_f64_e64 s0, 0, v[6:7]
	s_waitcnt lgkmcnt(6)
	v_add_f64 v[9:10], v[9:10], v[23:24]
	s_waitcnt lgkmcnt(4)
	v_add_f64 v[15:16], v[15:16], v[21:22]
	;; [unrolled: 2-line block ×4, first 2 shown]
	s_load_b64 s[2:3], s[2:3], 0x48
	s_and_b32 s0, vcc_lo, s0
	s_delay_alu instid0(SALU_CYCLE_1) | instskip(NEXT) | instid1(SALU_CYCLE_1)
	s_and_saveexec_b32 s1, s0
	s_xor_b32 s0, exec_lo, s1
	s_cbranch_execz .LBB275_31
; %bb.30:
	s_delay_alu instid0(VALU_DEP_3) | instskip(SKIP_1) | instid1(VALU_DEP_3)
	v_mul_f64 v[4:5], v[15:16], -v[2:3]
	v_mul_f64 v[6:7], v[0:1], v[15:16]
	v_mul_f64 v[15:16], v[13:14], -v[2:3]
	v_mul_f64 v[13:14], v[0:1], v[13:14]
	v_lshlrev_b32_e32 v8, 1, v8
	v_fma_f64 v[4:5], v[0:1], v[9:10], v[4:5]
	v_fma_f64 v[6:7], v[2:3], v[9:10], v[6:7]
	v_fma_f64 v[0:1], v[0:1], v[11:12], v[15:16]
	v_fma_f64 v[2:3], v[2:3], v[11:12], v[13:14]
	v_ashrrev_i32_e32 v9, 31, v8
                                        ; implicit-def: $vgpr15_vgpr16
                                        ; implicit-def: $vgpr11_vgpr12
                                        ; implicit-def: $vgpr13_vgpr14
	s_delay_alu instid0(VALU_DEP_1) | instskip(SKIP_1) | instid1(VALU_DEP_1)
	v_lshlrev_b64 v[8:9], 4, v[8:9]
	s_waitcnt lgkmcnt(0)
	v_add_co_u32 v8, vcc_lo, s2, v8
	s_delay_alu instid0(VALU_DEP_2)
	v_add_co_ci_u32_e32 v9, vcc_lo, s3, v9, vcc_lo
	s_clause 0x1
	global_store_b128 v[8:9], v[4:7], off
	global_store_b128 v[8:9], v[0:3], off offset:16
                                        ; implicit-def: $vgpr0_vgpr1
                                        ; implicit-def: $vgpr2_vgpr3
                                        ; implicit-def: $vgpr4_vgpr5
                                        ; implicit-def: $vgpr6_vgpr7
                                        ; implicit-def: $vgpr8
                                        ; implicit-def: $vgpr9_vgpr10
.LBB275_31:
	s_and_not1_saveexec_b32 s0, s0
	s_cbranch_execz .LBB275_33
; %bb.32:
	v_lshlrev_b32_e32 v17, 1, v8
	s_delay_alu instid0(VALU_DEP_4) | instskip(SKIP_1) | instid1(VALU_DEP_4)
	v_mul_f64 v[27:28], v[15:16], -v[2:3]
	v_mul_f64 v[15:16], v[0:1], v[15:16]
	v_mul_f64 v[29:30], v[13:14], -v[2:3]
	v_mul_f64 v[13:14], v[0:1], v[13:14]
	v_ashrrev_i32_e32 v18, 31, v17
	s_delay_alu instid0(VALU_DEP_1) | instskip(SKIP_1) | instid1(VALU_DEP_1)
	v_lshlrev_b64 v[17:18], 4, v[17:18]
	s_waitcnt lgkmcnt(0)
	v_add_co_u32 v25, vcc_lo, s2, v17
	s_delay_alu instid0(VALU_DEP_2)
	v_add_co_ci_u32_e32 v26, vcc_lo, s3, v18, vcc_lo
	s_clause 0x1
	global_load_b128 v[17:20], v[25:26], off
	global_load_b128 v[21:24], v[25:26], off offset:16
	v_fma_f64 v[27:28], v[0:1], v[9:10], v[27:28]
	v_fma_f64 v[8:9], v[2:3], v[9:10], v[15:16]
	;; [unrolled: 1-line block ×4, first 2 shown]
	s_waitcnt vmcnt(1)
	s_delay_alu instid0(VALU_DEP_4) | instskip(NEXT) | instid1(VALU_DEP_4)
	v_fma_f64 v[10:11], v[4:5], v[17:18], v[27:28]
	v_fma_f64 v[8:9], v[6:7], v[17:18], v[8:9]
	s_waitcnt vmcnt(0)
	s_delay_alu instid0(VALU_DEP_4) | instskip(NEXT) | instid1(VALU_DEP_4)
	v_fma_f64 v[12:13], v[4:5], v[21:22], v[0:1]
	v_fma_f64 v[14:15], v[6:7], v[21:22], v[2:3]
	s_delay_alu instid0(VALU_DEP_4) | instskip(NEXT) | instid1(VALU_DEP_4)
	v_fma_f64 v[0:1], -v[6:7], v[19:20], v[10:11]
	v_fma_f64 v[2:3], v[4:5], v[19:20], v[8:9]
	s_delay_alu instid0(VALU_DEP_4) | instskip(NEXT) | instid1(VALU_DEP_4)
	v_fma_f64 v[6:7], -v[6:7], v[23:24], v[12:13]
	v_fma_f64 v[8:9], v[4:5], v[23:24], v[14:15]
	s_clause 0x1
	global_store_b128 v[25:26], v[0:3], off
	global_store_b128 v[25:26], v[6:9], off offset:16
.LBB275_33:
	s_nop 0
	s_sendmsg sendmsg(MSG_DEALLOC_VGPRS)
	s_endpgm
	.section	.rodata,"a",@progbits
	.p2align	6, 0x0
	.amdhsa_kernel _ZN9rocsparseL19gebsrmvn_2xn_kernelILj128ELj11ELj16E21rocsparse_complex_numIdEEEvi20rocsparse_direction_NS_24const_host_device_scalarIT2_EEPKiS8_PKS5_SA_S6_PS5_21rocsparse_index_base_b
		.amdhsa_group_segment_fixed_size 2048
		.amdhsa_private_segment_fixed_size 0
		.amdhsa_kernarg_size 88
		.amdhsa_user_sgpr_count 15
		.amdhsa_user_sgpr_dispatch_ptr 1
		.amdhsa_user_sgpr_queue_ptr 0
		.amdhsa_user_sgpr_kernarg_segment_ptr 1
		.amdhsa_user_sgpr_dispatch_id 0
		.amdhsa_user_sgpr_private_segment_size 0
		.amdhsa_wavefront_size32 1
		.amdhsa_uses_dynamic_stack 0
		.amdhsa_enable_private_segment 0
		.amdhsa_system_sgpr_workgroup_id_x 1
		.amdhsa_system_sgpr_workgroup_id_y 0
		.amdhsa_system_sgpr_workgroup_id_z 0
		.amdhsa_system_sgpr_workgroup_info 0
		.amdhsa_system_vgpr_workitem_id 2
		.amdhsa_next_free_vgpr 64
		.amdhsa_next_free_sgpr 18
		.amdhsa_reserve_vcc 1
		.amdhsa_float_round_mode_32 0
		.amdhsa_float_round_mode_16_64 0
		.amdhsa_float_denorm_mode_32 3
		.amdhsa_float_denorm_mode_16_64 3
		.amdhsa_dx10_clamp 1
		.amdhsa_ieee_mode 1
		.amdhsa_fp16_overflow 0
		.amdhsa_workgroup_processor_mode 1
		.amdhsa_memory_ordered 1
		.amdhsa_forward_progress 0
		.amdhsa_shared_vgpr_count 0
		.amdhsa_exception_fp_ieee_invalid_op 0
		.amdhsa_exception_fp_denorm_src 0
		.amdhsa_exception_fp_ieee_div_zero 0
		.amdhsa_exception_fp_ieee_overflow 0
		.amdhsa_exception_fp_ieee_underflow 0
		.amdhsa_exception_fp_ieee_inexact 0
		.amdhsa_exception_int_div_zero 0
	.end_amdhsa_kernel
	.section	.text._ZN9rocsparseL19gebsrmvn_2xn_kernelILj128ELj11ELj16E21rocsparse_complex_numIdEEEvi20rocsparse_direction_NS_24const_host_device_scalarIT2_EEPKiS8_PKS5_SA_S6_PS5_21rocsparse_index_base_b,"axG",@progbits,_ZN9rocsparseL19gebsrmvn_2xn_kernelILj128ELj11ELj16E21rocsparse_complex_numIdEEEvi20rocsparse_direction_NS_24const_host_device_scalarIT2_EEPKiS8_PKS5_SA_S6_PS5_21rocsparse_index_base_b,comdat
.Lfunc_end275:
	.size	_ZN9rocsparseL19gebsrmvn_2xn_kernelILj128ELj11ELj16E21rocsparse_complex_numIdEEEvi20rocsparse_direction_NS_24const_host_device_scalarIT2_EEPKiS8_PKS5_SA_S6_PS5_21rocsparse_index_base_b, .Lfunc_end275-_ZN9rocsparseL19gebsrmvn_2xn_kernelILj128ELj11ELj16E21rocsparse_complex_numIdEEEvi20rocsparse_direction_NS_24const_host_device_scalarIT2_EEPKiS8_PKS5_SA_S6_PS5_21rocsparse_index_base_b
                                        ; -- End function
	.section	.AMDGPU.csdata,"",@progbits
; Kernel info:
; codeLenInByte = 3452
; NumSgprs: 20
; NumVgprs: 64
; ScratchSize: 0
; MemoryBound: 0
; FloatMode: 240
; IeeeMode: 1
; LDSByteSize: 2048 bytes/workgroup (compile time only)
; SGPRBlocks: 2
; VGPRBlocks: 7
; NumSGPRsForWavesPerEU: 20
; NumVGPRsForWavesPerEU: 64
; Occupancy: 16
; WaveLimiterHint : 1
; COMPUTE_PGM_RSRC2:SCRATCH_EN: 0
; COMPUTE_PGM_RSRC2:USER_SGPR: 15
; COMPUTE_PGM_RSRC2:TRAP_HANDLER: 0
; COMPUTE_PGM_RSRC2:TGID_X_EN: 1
; COMPUTE_PGM_RSRC2:TGID_Y_EN: 0
; COMPUTE_PGM_RSRC2:TGID_Z_EN: 0
; COMPUTE_PGM_RSRC2:TIDIG_COMP_CNT: 2
	.section	.text._ZN9rocsparseL19gebsrmvn_2xn_kernelILj128ELj11ELj32E21rocsparse_complex_numIdEEEvi20rocsparse_direction_NS_24const_host_device_scalarIT2_EEPKiS8_PKS5_SA_S6_PS5_21rocsparse_index_base_b,"axG",@progbits,_ZN9rocsparseL19gebsrmvn_2xn_kernelILj128ELj11ELj32E21rocsparse_complex_numIdEEEvi20rocsparse_direction_NS_24const_host_device_scalarIT2_EEPKiS8_PKS5_SA_S6_PS5_21rocsparse_index_base_b,comdat
	.globl	_ZN9rocsparseL19gebsrmvn_2xn_kernelILj128ELj11ELj32E21rocsparse_complex_numIdEEEvi20rocsparse_direction_NS_24const_host_device_scalarIT2_EEPKiS8_PKS5_SA_S6_PS5_21rocsparse_index_base_b ; -- Begin function _ZN9rocsparseL19gebsrmvn_2xn_kernelILj128ELj11ELj32E21rocsparse_complex_numIdEEEvi20rocsparse_direction_NS_24const_host_device_scalarIT2_EEPKiS8_PKS5_SA_S6_PS5_21rocsparse_index_base_b
	.p2align	8
	.type	_ZN9rocsparseL19gebsrmvn_2xn_kernelILj128ELj11ELj32E21rocsparse_complex_numIdEEEvi20rocsparse_direction_NS_24const_host_device_scalarIT2_EEPKiS8_PKS5_SA_S6_PS5_21rocsparse_index_base_b,@function
_ZN9rocsparseL19gebsrmvn_2xn_kernelILj128ELj11ELj32E21rocsparse_complex_numIdEEEvi20rocsparse_direction_NS_24const_host_device_scalarIT2_EEPKiS8_PKS5_SA_S6_PS5_21rocsparse_index_base_b: ; @_ZN9rocsparseL19gebsrmvn_2xn_kernelILj128ELj11ELj32E21rocsparse_complex_numIdEEEvi20rocsparse_direction_NS_24const_host_device_scalarIT2_EEPKiS8_PKS5_SA_S6_PS5_21rocsparse_index_base_b
; %bb.0:
	s_load_b64 s[12:13], s[2:3], 0x50
	s_load_b64 s[16:17], s[0:1], 0x4
	s_load_b128 s[8:11], s[2:3], 0x8
	v_bfe_u32 v1, v0, 10, 10
	s_mov_b64 s[0:1], src_shared_base
	s_load_b128 s[4:7], s[2:3], 0x38
	v_and_b32_e32 v12, 0x3ff, v0
	v_bfe_u32 v0, v0, 20, 10
	s_waitcnt lgkmcnt(0)
	s_bitcmp1_b32 s13, 0
	v_mul_u32_u24_e32 v1, s17, v1
	s_cselect_b32 s0, -1, 0
	s_delay_alu instid0(SALU_CYCLE_1)
	s_and_b32 vcc_lo, s0, exec_lo
	s_cselect_b32 s13, s1, s9
	s_lshr_b32 s14, s16, 16
	v_dual_mov_b32 v2, s4 :: v_dual_mov_b32 v3, s5
	s_mul_i32 s14, s14, s17
	v_mov_b32_e32 v6, s13
	v_mad_u32_u24 v1, s14, v12, v1
	s_delay_alu instid0(VALU_DEP_1) | instskip(SKIP_1) | instid1(VALU_DEP_2)
	v_add_lshl_u32 v4, v1, v0, 3
	v_dual_mov_b32 v0, s8 :: v_dual_mov_b32 v1, s9
	v_add_nc_u32_e32 v5, 0x400, v4
	ds_store_2addr_stride64_b64 v4, v[2:3], v[0:1] offset1:2
	v_dual_mov_b32 v2, s10 :: v_dual_mov_b32 v3, s11
	v_cndmask_b32_e64 v5, s8, v5, s0
	s_xor_b32 s10, s0, -1
	flat_load_b64 v[0:1], v[5:6]
	s_cbranch_vccnz .LBB276_2
; %bb.1:
	v_dual_mov_b32 v2, s8 :: v_dual_mov_b32 v3, s9
	flat_load_b64 v[2:3], v[2:3] offset:8
.LBB276_2:
	s_and_b32 s8, s0, exec_lo
	s_cselect_b32 s1, s1, s5
	v_cndmask_b32_e64 v4, s4, v4, s0
	v_dual_mov_b32 v5, s1 :: v_dual_mov_b32 v6, s6
	v_mov_b32_e32 v7, s7
	s_and_not1_b32 vcc_lo, exec_lo, s10
	flat_load_b64 v[4:5], v[4:5]
	s_cbranch_vccnz .LBB276_4
; %bb.3:
	v_dual_mov_b32 v7, s5 :: v_dual_mov_b32 v6, s4
	flat_load_b64 v[6:7], v[6:7] offset:8
.LBB276_4:
	s_waitcnt vmcnt(1) lgkmcnt(1)
	v_cmp_eq_f64_e32 vcc_lo, 0, v[0:1]
	v_cmp_eq_f64_e64 s0, 0, v[2:3]
	s_delay_alu instid0(VALU_DEP_1)
	s_and_b32 s4, vcc_lo, s0
	s_mov_b32 s0, -1
	s_and_saveexec_b32 s1, s4
	s_cbranch_execz .LBB276_6
; %bb.5:
	s_waitcnt vmcnt(0) lgkmcnt(0)
	v_cmp_neq_f64_e32 vcc_lo, 1.0, v[4:5]
	v_cmp_neq_f64_e64 s0, 0, v[6:7]
	s_delay_alu instid0(VALU_DEP_1) | instskip(NEXT) | instid1(SALU_CYCLE_1)
	s_or_b32 s0, vcc_lo, s0
	s_or_not1_b32 s0, s0, exec_lo
.LBB276_6:
	s_or_b32 exec_lo, exec_lo, s1
	s_and_saveexec_b32 s1, s0
	s_cbranch_execz .LBB276_33
; %bb.7:
	s_load_b64 s[0:1], s[2:3], 0x0
	v_lshrrev_b32_e32 v8, 5, v12
	s_delay_alu instid0(VALU_DEP_1) | instskip(SKIP_1) | instid1(VALU_DEP_1)
	v_lshl_or_b32 v8, s15, 2, v8
	s_waitcnt lgkmcnt(0)
	v_cmp_gt_i32_e32 vcc_lo, s0, v8
	s_and_b32 exec_lo, exec_lo, vcc_lo
	s_cbranch_execz .LBB276_33
; %bb.8:
	s_load_b256 s[4:11], s[2:3], 0x18
	v_ashrrev_i32_e32 v9, 31, v8
	v_and_b32_e32 v32, 31, v12
	s_cmp_lg_u32 s1, 0
	s_delay_alu instid0(VALU_DEP_2) | instskip(SKIP_1) | instid1(VALU_DEP_1)
	v_lshlrev_b64 v[9:10], 2, v[8:9]
	s_waitcnt lgkmcnt(0)
	v_add_co_u32 v9, vcc_lo, s4, v9
	s_delay_alu instid0(VALU_DEP_2) | instskip(SKIP_4) | instid1(VALU_DEP_2)
	v_add_co_ci_u32_e32 v10, vcc_lo, s5, v10, vcc_lo
	global_load_b64 v[10:11], v[9:10], off
	s_waitcnt vmcnt(0)
	v_subrev_nc_u32_e32 v9, s12, v10
	v_subrev_nc_u32_e32 v33, s12, v11
	v_add_nc_u32_e32 v9, v9, v32
	s_delay_alu instid0(VALU_DEP_1)
	v_cmp_lt_i32_e64 s0, v9, v33
	s_cbranch_scc0 .LBB276_16
; %bb.9:
	v_mov_b32_e32 v11, 0
	v_mov_b32_e32 v12, 0
	s_delay_alu instid0(VALU_DEP_1)
	v_dual_mov_b32 v14, v12 :: v_dual_mov_b32 v13, v11
	v_dual_mov_b32 v16, v12 :: v_dual_mov_b32 v15, v11
	;; [unrolled: 1-line block ×3, first 2 shown]
	s_and_saveexec_b32 s1, s0
	s_cbranch_execz .LBB276_18
; %bb.10:
	v_mul_lo_u32 v13, v10, 22
	v_dual_mov_b32 v11, 0 :: v_dual_mov_b32 v20, 0
	v_dual_mov_b32 v12, 0 :: v_dual_mov_b32 v21, v9
	v_mul_lo_u32 v34, v9, 22
	s_mul_i32 s4, s12, 22
	s_delay_alu instid0(VALU_DEP_2) | instskip(SKIP_2) | instid1(VALU_DEP_2)
	v_dual_mov_b32 v16, v12 :: v_dual_mov_b32 v15, v11
	v_mad_u32_u24 v17, v32, 22, v13
	v_dual_mov_b32 v14, v12 :: v_dual_mov_b32 v13, v11
	v_subrev_nc_u32_e32 v35, s4, v17
	v_dual_mov_b32 v18, v12 :: v_dual_mov_b32 v17, v11
	s_mov_b32 s4, 0
	s_branch .LBB276_12
.LBB276_11:                             ;   in Loop: Header=BB276_12 Depth=1
	v_add_nc_u32_e32 v21, 32, v21
	v_add_nc_u32_e32 v34, 0x2c0, v34
	;; [unrolled: 1-line block ×3, first 2 shown]
	s_delay_alu instid0(VALU_DEP_3) | instskip(SKIP_1) | instid1(SALU_CYCLE_1)
	v_cmp_ge_i32_e32 vcc_lo, v21, v33
	s_or_b32 s4, vcc_lo, s4
	s_and_not1_b32 exec_lo, exec_lo, s4
	s_cbranch_execz .LBB276_17
.LBB276_12:                             ; =>This Loop Header: Depth=1
                                        ;     Child Loop BB276_14 Depth 2
	v_ashrrev_i32_e32 v22, 31, v21
	v_dual_mov_b32 v25, v12 :: v_dual_mov_b32 v24, v11
	v_dual_mov_b32 v27, v14 :: v_dual_mov_b32 v26, v13
	s_delay_alu instid0(VALU_DEP_3) | instskip(SKIP_3) | instid1(VALU_DEP_3)
	v_lshlrev_b64 v[22:23], 2, v[21:22]
	v_dual_mov_b32 v29, v16 :: v_dual_mov_b32 v28, v15
	v_dual_mov_b32 v31, v18 :: v_dual_mov_b32 v30, v17
	s_mov_b32 s5, 0
	v_add_co_u32 v22, vcc_lo, s6, v22
	s_delay_alu instid0(VALU_DEP_4) | instskip(SKIP_3) | instid1(VALU_DEP_1)
	v_add_co_ci_u32_e32 v23, vcc_lo, s7, v23, vcc_lo
	global_load_b32 v19, v[22:23], off
	s_waitcnt vmcnt(0)
	v_subrev_nc_u32_e32 v19, s12, v19
	v_mul_lo_u32 v22, v19, 11
	s_branch .LBB276_14
.LBB276_13:                             ;   in Loop: Header=BB276_12 Depth=1
                                        ; implicit-def: $vgpr30_vgpr31
                                        ; implicit-def: $vgpr28_vgpr29
                                        ; implicit-def: $vgpr26_vgpr27
                                        ; implicit-def: $vgpr24_vgpr25
                                        ; implicit-def: $sgpr5
                                        ; implicit-def: $vgpr22
	s_branch .LBB276_11
.LBB276_14:                             ;   Parent Loop BB276_12 Depth=1
                                        ; =>  This Inner Loop Header: Depth=2
	v_add_nc_u32_e32 v19, s5, v35
	v_mov_b32_e32 v23, v20
	s_cmp_eq_u32 s5, 16
	s_delay_alu instid0(VALU_DEP_2) | instskip(NEXT) | instid1(VALU_DEP_2)
	v_lshlrev_b64 v[11:12], 4, v[19:20]
	v_lshlrev_b64 v[13:14], 4, v[22:23]
	v_add_nc_u32_e32 v23, s5, v34
	s_delay_alu instid0(VALU_DEP_3) | instskip(NEXT) | instid1(VALU_DEP_4)
	v_add_co_u32 v36, vcc_lo, s8, v11
	v_add_co_ci_u32_e32 v37, vcc_lo, s9, v12, vcc_lo
	s_delay_alu instid0(VALU_DEP_4)
	v_add_co_u32 v15, vcc_lo, s10, v13
	v_add_co_ci_u32_e32 v16, vcc_lo, s11, v14, vcc_lo
	v_add_nc_u32_e32 v19, 2, v23
	global_load_b128 v[11:14], v[36:37], off
	global_load_b128 v[15:18], v[15:16], off
	global_load_b128 v[36:39], v[36:37], off offset:16
	v_lshlrev_b64 v[40:41], 4, v[19:20]
	v_add_nc_u32_e32 v19, 1, v22
	s_delay_alu instid0(VALU_DEP_1) | instskip(NEXT) | instid1(VALU_DEP_3)
	v_lshlrev_b64 v[42:43], 4, v[19:20]
	v_add_co_u32 v48, vcc_lo, s8, v40
	s_delay_alu instid0(VALU_DEP_4) | instskip(SKIP_1) | instid1(VALU_DEP_4)
	v_add_co_ci_u32_e32 v49, vcc_lo, s9, v41, vcc_lo
	v_add_nc_u32_e32 v19, 4, v23
	v_add_co_u32 v44, vcc_lo, s10, v42
	v_add_co_ci_u32_e32 v45, vcc_lo, s11, v43, vcc_lo
	global_load_b128 v[40:43], v[48:49], off
	global_load_b128 v[44:47], v[44:45], off
	global_load_b128 v[48:51], v[48:49], off offset:16
	v_lshlrev_b64 v[52:53], 4, v[19:20]
	v_add_nc_u32_e32 v19, 2, v22
	s_delay_alu instid0(VALU_DEP_1) | instskip(NEXT) | instid1(VALU_DEP_3)
	v_lshlrev_b64 v[54:55], 4, v[19:20]
	v_add_co_u32 v60, vcc_lo, s8, v52
	s_delay_alu instid0(VALU_DEP_4) | instskip(NEXT) | instid1(VALU_DEP_3)
	v_add_co_ci_u32_e32 v61, vcc_lo, s9, v53, vcc_lo
	v_add_co_u32 v56, vcc_lo, s10, v54
	s_delay_alu instid0(VALU_DEP_4)
	v_add_co_ci_u32_e32 v57, vcc_lo, s11, v55, vcc_lo
	global_load_b128 v[52:55], v[60:61], off
	global_load_b128 v[56:59], v[56:57], off
	global_load_b128 v[60:63], v[60:61], off offset:16
	s_waitcnt vmcnt(7)
	v_fma_f64 v[26:27], v[11:12], v[15:16], v[26:27]
	v_fma_f64 v[24:25], v[13:14], v[15:16], v[24:25]
	s_waitcnt vmcnt(6)
	v_fma_f64 v[28:29], v[36:37], v[15:16], v[28:29]
	v_fma_f64 v[15:16], v[38:39], v[15:16], v[30:31]
	s_delay_alu instid0(VALU_DEP_4) | instskip(NEXT) | instid1(VALU_DEP_4)
	v_fma_f64 v[13:14], -v[13:14], v[17:18], v[26:27]
	v_fma_f64 v[11:12], v[11:12], v[17:18], v[24:25]
	s_delay_alu instid0(VALU_DEP_4) | instskip(NEXT) | instid1(VALU_DEP_4)
	v_fma_f64 v[24:25], -v[38:39], v[17:18], v[28:29]
	v_fma_f64 v[15:16], v[36:37], v[17:18], v[15:16]
	s_waitcnt vmcnt(4)
	s_delay_alu instid0(VALU_DEP_4) | instskip(NEXT) | instid1(VALU_DEP_4)
	v_fma_f64 v[13:14], v[40:41], v[44:45], v[13:14]
	v_fma_f64 v[11:12], v[42:43], v[44:45], v[11:12]
	s_waitcnt vmcnt(3)
	s_delay_alu instid0(VALU_DEP_4) | instskip(NEXT) | instid1(VALU_DEP_4)
	v_fma_f64 v[17:18], v[48:49], v[44:45], v[24:25]
	v_fma_f64 v[15:16], v[50:51], v[44:45], v[15:16]
	s_delay_alu instid0(VALU_DEP_4) | instskip(NEXT) | instid1(VALU_DEP_4)
	v_fma_f64 v[13:14], -v[42:43], v[46:47], v[13:14]
	v_fma_f64 v[11:12], v[40:41], v[46:47], v[11:12]
	s_delay_alu instid0(VALU_DEP_4) | instskip(NEXT) | instid1(VALU_DEP_4)
	v_fma_f64 v[17:18], -v[50:51], v[46:47], v[17:18]
	v_fma_f64 v[15:16], v[48:49], v[46:47], v[15:16]
	s_waitcnt vmcnt(1)
	s_delay_alu instid0(VALU_DEP_4) | instskip(NEXT) | instid1(VALU_DEP_4)
	v_fma_f64 v[13:14], v[52:53], v[56:57], v[13:14]
	v_fma_f64 v[11:12], v[54:55], v[56:57], v[11:12]
	s_waitcnt vmcnt(0)
	s_delay_alu instid0(VALU_DEP_4) | instskip(NEXT) | instid1(VALU_DEP_4)
	v_fma_f64 v[17:18], v[60:61], v[56:57], v[17:18]
	v_fma_f64 v[24:25], v[62:63], v[56:57], v[15:16]
	s_delay_alu instid0(VALU_DEP_4) | instskip(NEXT) | instid1(VALU_DEP_4)
	v_fma_f64 v[13:14], -v[54:55], v[58:59], v[13:14]
	v_fma_f64 v[11:12], v[52:53], v[58:59], v[11:12]
	s_delay_alu instid0(VALU_DEP_4) | instskip(NEXT) | instid1(VALU_DEP_4)
	v_fma_f64 v[15:16], -v[62:63], v[58:59], v[17:18]
	v_fma_f64 v[17:18], v[60:61], v[58:59], v[24:25]
	s_cbranch_scc1 .LBB276_13
; %bb.15:                               ;   in Loop: Header=BB276_14 Depth=2
	v_add_nc_u32_e32 v19, 6, v23
	s_add_i32 s5, s5, 8
	s_delay_alu instid0(VALU_DEP_1) | instskip(SKIP_2) | instid1(VALU_DEP_2)
	v_lshlrev_b64 v[23:24], 4, v[19:20]
	v_add_nc_u32_e32 v19, 3, v22
	v_add_nc_u32_e32 v22, 4, v22
	v_lshlrev_b64 v[25:26], 4, v[19:20]
	s_delay_alu instid0(VALU_DEP_4) | instskip(SKIP_1) | instid1(VALU_DEP_3)
	v_add_co_u32 v36, vcc_lo, s8, v23
	v_add_co_ci_u32_e32 v37, vcc_lo, s9, v24, vcc_lo
	v_add_co_u32 v27, vcc_lo, s10, v25
	s_delay_alu instid0(VALU_DEP_4)
	v_add_co_ci_u32_e32 v28, vcc_lo, s11, v26, vcc_lo
	global_load_b128 v[23:26], v[36:37], off
	global_load_b128 v[28:31], v[27:28], off
	global_load_b128 v[36:39], v[36:37], off offset:16
	s_waitcnt vmcnt(1)
	v_fma_f64 v[40:41], v[23:24], v[28:29], v[13:14]
	v_fma_f64 v[42:43], v[25:26], v[28:29], v[11:12]
	s_waitcnt vmcnt(0)
	v_fma_f64 v[44:45], v[36:37], v[28:29], v[15:16]
	v_fma_f64 v[46:47], v[38:39], v[28:29], v[17:18]
	s_delay_alu instid0(VALU_DEP_4) | instskip(NEXT) | instid1(VALU_DEP_4)
	v_fma_f64 v[26:27], -v[25:26], v[30:31], v[40:41]
	v_fma_f64 v[24:25], v[23:24], v[30:31], v[42:43]
	s_delay_alu instid0(VALU_DEP_4) | instskip(NEXT) | instid1(VALU_DEP_4)
	v_fma_f64 v[28:29], -v[38:39], v[30:31], v[44:45]
	v_fma_f64 v[30:31], v[36:37], v[30:31], v[46:47]
	s_cbranch_execnz .LBB276_14
	s_branch .LBB276_11
.LBB276_16:
                                        ; implicit-def: $vgpr11_vgpr12
                                        ; implicit-def: $vgpr13_vgpr14
                                        ; implicit-def: $vgpr15_vgpr16
                                        ; implicit-def: $vgpr17_vgpr18
	s_branch .LBB276_19
.LBB276_17:
	s_or_b32 exec_lo, exec_lo, s4
.LBB276_18:
	s_delay_alu instid0(SALU_CYCLE_1)
	s_or_b32 exec_lo, exec_lo, s1
	s_cbranch_execnz .LBB276_28
.LBB276_19:
	v_mov_b32_e32 v11, 0
	v_mov_b32_e32 v12, 0
	s_delay_alu instid0(VALU_DEP_1)
	v_dual_mov_b32 v14, v12 :: v_dual_mov_b32 v13, v11
	v_dual_mov_b32 v16, v12 :: v_dual_mov_b32 v15, v11
	v_dual_mov_b32 v18, v12 :: v_dual_mov_b32 v17, v11
	s_and_saveexec_b32 s1, s0
	s_cbranch_execz .LBB276_27
; %bb.20:
	v_mul_lo_u32 v10, v10, 22
	v_dual_mov_b32 v11, 0 :: v_dual_mov_b32 v20, 0
	v_mov_b32_e32 v12, 0
	v_mul_lo_u32 v29, v9, 22
	s_mul_i32 s0, s12, 22
	s_delay_alu instid0(VALU_DEP_2) | instskip(SKIP_3) | instid1(VALU_DEP_3)
	v_dual_mov_b32 v14, v12 :: v_dual_mov_b32 v13, v11
	v_mad_u32_u24 v10, v32, 22, v10
	v_dual_mov_b32 v16, v12 :: v_dual_mov_b32 v15, v11
	v_dual_mov_b32 v18, v12 :: v_dual_mov_b32 v17, v11
	v_subrev_nc_u32_e32 v30, s0, v10
	s_mov_b32 s0, 0
	s_branch .LBB276_22
.LBB276_21:                             ;   in Loop: Header=BB276_22 Depth=1
	v_add_nc_u32_e32 v9, 32, v9
	v_add_nc_u32_e32 v29, 0x2c0, v29
	;; [unrolled: 1-line block ×3, first 2 shown]
	s_delay_alu instid0(VALU_DEP_3) | instskip(SKIP_1) | instid1(SALU_CYCLE_1)
	v_cmp_ge_i32_e32 vcc_lo, v9, v33
	s_or_b32 s0, vcc_lo, s0
	s_and_not1_b32 exec_lo, exec_lo, s0
	s_cbranch_execz .LBB276_26
.LBB276_22:                             ; =>This Loop Header: Depth=1
                                        ;     Child Loop BB276_24 Depth 2
	v_ashrrev_i32_e32 v10, 31, v9
	v_dual_mov_b32 v24, v14 :: v_dual_mov_b32 v23, v13
	v_dual_mov_b32 v26, v16 :: v_dual_mov_b32 v25, v15
	s_delay_alu instid0(VALU_DEP_3) | instskip(SKIP_2) | instid1(VALU_DEP_2)
	v_lshlrev_b64 v[21:22], 2, v[9:10]
	v_dual_mov_b32 v28, v18 :: v_dual_mov_b32 v27, v17
	s_mov_b32 s4, 0
	v_add_co_u32 v21, vcc_lo, s6, v21
	s_delay_alu instid0(VALU_DEP_3) | instskip(SKIP_4) | instid1(VALU_DEP_1)
	v_add_co_ci_u32_e32 v22, vcc_lo, s7, v22, vcc_lo
	global_load_b32 v10, v[21:22], off
	v_dual_mov_b32 v22, v12 :: v_dual_mov_b32 v21, v11
	s_waitcnt vmcnt(0)
	v_subrev_nc_u32_e32 v10, s12, v10
	v_mul_lo_u32 v10, v10, 11
	s_branch .LBB276_24
.LBB276_23:                             ;   in Loop: Header=BB276_22 Depth=1
                                        ; implicit-def: $vgpr27_vgpr28
                                        ; implicit-def: $vgpr25_vgpr26
                                        ; implicit-def: $vgpr23_vgpr24
                                        ; implicit-def: $vgpr21_vgpr22
                                        ; implicit-def: $sgpr4
	s_branch .LBB276_21
.LBB276_24:                             ;   Parent Loop BB276_22 Depth=1
                                        ; =>  This Inner Loop Header: Depth=2
	v_dual_mov_b32 v12, v20 :: v_dual_add_nc_u32 v19, s4, v30
	v_add_nc_u32_e32 v31, s4, v29
	v_mov_b32_e32 v43, v20
	v_mov_b32_e32 v51, v20
	s_delay_alu instid0(VALU_DEP_4) | instskip(SKIP_4) | instid1(VALU_DEP_4)
	v_lshlrev_b64 v[13:14], 4, v[19:20]
	v_add_nc_u32_e32 v19, s4, v10
	v_add_nc_u32_e32 v50, 2, v31
	;; [unrolled: 1-line block ×3, first 2 shown]
	v_dual_mov_b32 v41, v20 :: v_dual_add_nc_u32 v42, 12, v31
	v_add_nc_u32_e32 v40, 1, v19
	v_lshlrev_b64 v[15:16], 4, v[19:20]
	s_delay_alu instid0(VALU_DEP_4) | instskip(SKIP_2) | instid1(VALU_DEP_4)
	v_lshlrev_b64 v[11:12], 4, v[11:12]
	v_add_co_u32 v38, vcc_lo, s8, v13
	v_add_co_ci_u32_e32 v39, vcc_lo, s9, v14, vcc_lo
	v_add_co_u32 v15, vcc_lo, s10, v15
	v_add_co_ci_u32_e32 v16, vcc_lo, s11, v16, vcc_lo
	;; [unrolled: 2-line block ×3, first 2 shown]
	global_load_b128 v[11:14], v[38:39], off
	global_load_b128 v[15:18], v[15:16], off
	;; [unrolled: 1-line block ×3, first 2 shown]
	v_lshlrev_b64 v[40:41], 4, v[40:41]
	v_lshlrev_b64 v[42:43], 4, v[42:43]
	v_dual_mov_b32 v53, v20 :: v_dual_add_nc_u32 v52, 2, v19
	v_lshlrev_b64 v[50:51], 4, v[50:51]
	s_cmp_eq_u32 s4, 8
	s_delay_alu instid0(VALU_DEP_4)
	v_add_co_u32 v44, vcc_lo, s10, v40
	v_add_co_ci_u32_e32 v45, vcc_lo, s11, v41, vcc_lo
	v_add_co_u32 v58, vcc_lo, s8, v42
	v_add_co_ci_u32_e32 v59, vcc_lo, s9, v43, vcc_lo
	global_load_b128 v[38:41], v[38:39], off offset:16
	global_load_b128 v[42:45], v[44:45], off
	global_load_b128 v[46:49], v[58:59], off
	v_lshlrev_b64 v[52:53], 4, v[52:53]
	v_add_co_u32 v50, vcc_lo, s8, v50
	v_add_co_ci_u32_e32 v51, vcc_lo, s9, v51, vcc_lo
	s_delay_alu instid0(VALU_DEP_3) | instskip(NEXT) | instid1(VALU_DEP_4)
	v_add_co_u32 v54, vcc_lo, s10, v52
	v_add_co_ci_u32_e32 v55, vcc_lo, s11, v53, vcc_lo
	global_load_b128 v[50:53], v[50:51], off
	global_load_b128 v[54:57], v[54:55], off
	global_load_b128 v[58:61], v[58:59], off offset:16
	s_waitcnt vmcnt(7)
	v_fma_f64 v[23:24], v[11:12], v[15:16], v[23:24]
	v_fma_f64 v[21:22], v[13:14], v[15:16], v[21:22]
	s_waitcnt vmcnt(6)
	v_fma_f64 v[25:26], v[34:35], v[15:16], v[25:26]
	v_fma_f64 v[15:16], v[36:37], v[15:16], v[27:28]
	s_delay_alu instid0(VALU_DEP_4) | instskip(NEXT) | instid1(VALU_DEP_4)
	v_fma_f64 v[13:14], -v[13:14], v[17:18], v[23:24]
	v_fma_f64 v[11:12], v[11:12], v[17:18], v[21:22]
	s_delay_alu instid0(VALU_DEP_4) | instskip(NEXT) | instid1(VALU_DEP_4)
	v_fma_f64 v[21:22], -v[36:37], v[17:18], v[25:26]
	v_fma_f64 v[15:16], v[34:35], v[17:18], v[15:16]
	s_waitcnt vmcnt(4)
	s_delay_alu instid0(VALU_DEP_4) | instskip(NEXT) | instid1(VALU_DEP_4)
	v_fma_f64 v[13:14], v[38:39], v[42:43], v[13:14]
	v_fma_f64 v[11:12], v[40:41], v[42:43], v[11:12]
	s_waitcnt vmcnt(3)
	s_delay_alu instid0(VALU_DEP_4) | instskip(NEXT) | instid1(VALU_DEP_4)
	v_fma_f64 v[17:18], v[46:47], v[42:43], v[21:22]
	v_fma_f64 v[15:16], v[48:49], v[42:43], v[15:16]
	s_delay_alu instid0(VALU_DEP_4) | instskip(NEXT) | instid1(VALU_DEP_4)
	v_fma_f64 v[13:14], -v[40:41], v[44:45], v[13:14]
	v_fma_f64 v[11:12], v[38:39], v[44:45], v[11:12]
	s_delay_alu instid0(VALU_DEP_4) | instskip(NEXT) | instid1(VALU_DEP_4)
	v_fma_f64 v[17:18], -v[48:49], v[44:45], v[17:18]
	v_fma_f64 v[15:16], v[46:47], v[44:45], v[15:16]
	s_waitcnt vmcnt(1)
	s_delay_alu instid0(VALU_DEP_4) | instskip(NEXT) | instid1(VALU_DEP_4)
	v_fma_f64 v[13:14], v[50:51], v[54:55], v[13:14]
	v_fma_f64 v[11:12], v[52:53], v[54:55], v[11:12]
	s_waitcnt vmcnt(0)
	s_delay_alu instid0(VALU_DEP_4) | instskip(NEXT) | instid1(VALU_DEP_4)
	v_fma_f64 v[17:18], v[58:59], v[54:55], v[17:18]
	v_fma_f64 v[21:22], v[60:61], v[54:55], v[15:16]
	s_delay_alu instid0(VALU_DEP_4) | instskip(NEXT) | instid1(VALU_DEP_4)
	v_fma_f64 v[13:14], -v[52:53], v[56:57], v[13:14]
	v_fma_f64 v[11:12], v[50:51], v[56:57], v[11:12]
	s_delay_alu instid0(VALU_DEP_4) | instskip(NEXT) | instid1(VALU_DEP_4)
	v_fma_f64 v[15:16], -v[60:61], v[56:57], v[17:18]
	v_fma_f64 v[17:18], v[58:59], v[56:57], v[21:22]
	s_cbranch_scc1 .LBB276_23
; %bb.25:                               ;   in Loop: Header=BB276_24 Depth=2
	v_dual_mov_b32 v22, v20 :: v_dual_add_nc_u32 v19, 3, v19
	v_add_nc_u32_e32 v21, 3, v31
	s_add_i32 s4, s4, 4
	s_delay_alu instid0(VALU_DEP_2) | instskip(SKIP_1) | instid1(VALU_DEP_3)
	v_lshlrev_b64 v[23:24], 4, v[19:20]
	v_add_nc_u32_e32 v19, 14, v31
	v_lshlrev_b64 v[21:22], 4, v[21:22]
	s_delay_alu instid0(VALU_DEP_2) | instskip(NEXT) | instid1(VALU_DEP_2)
	v_lshlrev_b64 v[25:26], 4, v[19:20]
	v_add_co_u32 v21, vcc_lo, s8, v21
	s_delay_alu instid0(VALU_DEP_3)
	v_add_co_ci_u32_e32 v22, vcc_lo, s9, v22, vcc_lo
	v_add_co_u32 v27, vcc_lo, s10, v23
	v_add_co_ci_u32_e32 v28, vcc_lo, s11, v24, vcc_lo
	v_add_co_u32 v34, vcc_lo, s8, v25
	v_add_co_ci_u32_e32 v35, vcc_lo, s9, v26, vcc_lo
	global_load_b128 v[21:24], v[21:22], off
	global_load_b128 v[25:28], v[27:28], off
	;; [unrolled: 1-line block ×3, first 2 shown]
	s_waitcnt vmcnt(1)
	v_fma_f64 v[38:39], v[21:22], v[25:26], v[13:14]
	v_fma_f64 v[40:41], v[23:24], v[25:26], v[11:12]
	s_waitcnt vmcnt(0)
	v_fma_f64 v[42:43], v[34:35], v[25:26], v[15:16]
	v_fma_f64 v[44:45], v[36:37], v[25:26], v[17:18]
	s_delay_alu instid0(VALU_DEP_4) | instskip(NEXT) | instid1(VALU_DEP_4)
	v_fma_f64 v[23:24], -v[23:24], v[27:28], v[38:39]
	v_fma_f64 v[21:22], v[21:22], v[27:28], v[40:41]
	s_delay_alu instid0(VALU_DEP_4) | instskip(NEXT) | instid1(VALU_DEP_4)
	v_fma_f64 v[25:26], -v[36:37], v[27:28], v[42:43]
	v_fma_f64 v[27:28], v[34:35], v[27:28], v[44:45]
	s_cbranch_execnz .LBB276_24
	s_branch .LBB276_21
.LBB276_26:
	s_or_b32 exec_lo, exec_lo, s0
.LBB276_27:
	s_delay_alu instid0(SALU_CYCLE_1)
	s_or_b32 exec_lo, exec_lo, s1
.LBB276_28:
	v_mbcnt_lo_u32_b32 v25, -1, 0
	s_delay_alu instid0(VALU_DEP_1) | instskip(NEXT) | instid1(VALU_DEP_1)
	v_xor_b32_e32 v9, 16, v25
	v_cmp_gt_i32_e32 vcc_lo, 32, v9
	v_cndmask_b32_e32 v9, v25, v9, vcc_lo
	s_delay_alu instid0(VALU_DEP_1)
	v_lshlrev_b32_e32 v24, 2, v9
	ds_bpermute_b32 v9, v24, v13
	ds_bpermute_b32 v10, v24, v14
	;; [unrolled: 1-line block ×8, first 2 shown]
	s_waitcnt lgkmcnt(6)
	v_add_f64 v[9:10], v[13:14], v[9:10]
	s_waitcnt lgkmcnt(4)
	v_add_f64 v[11:12], v[11:12], v[19:20]
	;; [unrolled: 2-line block ×4, first 2 shown]
	v_xor_b32_e32 v17, 8, v25
	s_delay_alu instid0(VALU_DEP_1) | instskip(SKIP_1) | instid1(VALU_DEP_1)
	v_cmp_gt_i32_e32 vcc_lo, 32, v17
	v_cndmask_b32_e32 v17, v25, v17, vcc_lo
	v_lshlrev_b32_e32 v24, 2, v17
	ds_bpermute_b32 v17, v24, v9
	ds_bpermute_b32 v18, v24, v10
	;; [unrolled: 1-line block ×8, first 2 shown]
	s_waitcnt lgkmcnt(6)
	v_add_f64 v[9:10], v[9:10], v[17:18]
	v_xor_b32_e32 v17, 4, v25
	s_waitcnt lgkmcnt(4)
	v_add_f64 v[11:12], v[11:12], v[19:20]
	s_waitcnt lgkmcnt(2)
	v_add_f64 v[13:14], v[13:14], v[21:22]
	;; [unrolled: 2-line block ×3, first 2 shown]
	v_cmp_gt_i32_e32 vcc_lo, 32, v17
	v_cndmask_b32_e32 v17, v25, v17, vcc_lo
	s_delay_alu instid0(VALU_DEP_1)
	v_lshlrev_b32_e32 v24, 2, v17
	ds_bpermute_b32 v17, v24, v9
	ds_bpermute_b32 v18, v24, v10
	ds_bpermute_b32 v19, v24, v11
	ds_bpermute_b32 v20, v24, v12
	ds_bpermute_b32 v21, v24, v13
	ds_bpermute_b32 v22, v24, v14
	ds_bpermute_b32 v23, v24, v15
	ds_bpermute_b32 v24, v24, v16
	s_waitcnt lgkmcnt(6)
	v_add_f64 v[9:10], v[9:10], v[17:18]
	s_waitcnt lgkmcnt(4)
	v_add_f64 v[11:12], v[11:12], v[19:20]
	;; [unrolled: 2-line block ×4, first 2 shown]
	v_xor_b32_e32 v15, 2, v25
	s_delay_alu instid0(VALU_DEP_1) | instskip(SKIP_1) | instid1(VALU_DEP_1)
	v_cmp_gt_i32_e32 vcc_lo, 32, v15
	v_cndmask_b32_e32 v15, v25, v15, vcc_lo
	v_lshlrev_b32_e32 v24, 2, v15
	ds_bpermute_b32 v15, v24, v9
	ds_bpermute_b32 v16, v24, v10
	;; [unrolled: 1-line block ×8, first 2 shown]
	s_waitcnt lgkmcnt(6)
	v_add_f64 v[9:10], v[9:10], v[15:16]
	s_waitcnt lgkmcnt(4)
	v_add_f64 v[15:16], v[11:12], v[19:20]
	;; [unrolled: 2-line block ×4, first 2 shown]
	v_xor_b32_e32 v17, 1, v25
	s_delay_alu instid0(VALU_DEP_1) | instskip(SKIP_2) | instid1(VALU_DEP_2)
	v_cmp_gt_i32_e32 vcc_lo, 32, v17
	v_cndmask_b32_e32 v17, v25, v17, vcc_lo
	v_cmp_eq_u32_e32 vcc_lo, 31, v32
	v_lshlrev_b32_e32 v20, 2, v17
	ds_bpermute_b32 v23, v20, v9
	ds_bpermute_b32 v24, v20, v10
	;; [unrolled: 1-line block ×8, first 2 shown]
	s_and_b32 exec_lo, exec_lo, vcc_lo
	s_cbranch_execz .LBB276_33
; %bb.29:
	v_cmp_eq_f64_e32 vcc_lo, 0, v[4:5]
	v_cmp_eq_f64_e64 s0, 0, v[6:7]
	s_waitcnt lgkmcnt(6)
	v_add_f64 v[9:10], v[9:10], v[23:24]
	s_waitcnt lgkmcnt(4)
	v_add_f64 v[15:16], v[15:16], v[21:22]
	;; [unrolled: 2-line block ×4, first 2 shown]
	s_load_b64 s[2:3], s[2:3], 0x48
	s_and_b32 s0, vcc_lo, s0
	s_delay_alu instid0(SALU_CYCLE_1) | instskip(NEXT) | instid1(SALU_CYCLE_1)
	s_and_saveexec_b32 s1, s0
	s_xor_b32 s0, exec_lo, s1
	s_cbranch_execz .LBB276_31
; %bb.30:
	s_delay_alu instid0(VALU_DEP_3) | instskip(SKIP_1) | instid1(VALU_DEP_3)
	v_mul_f64 v[4:5], v[15:16], -v[2:3]
	v_mul_f64 v[6:7], v[0:1], v[15:16]
	v_mul_f64 v[15:16], v[13:14], -v[2:3]
	v_mul_f64 v[13:14], v[0:1], v[13:14]
	v_lshlrev_b32_e32 v8, 1, v8
	v_fma_f64 v[4:5], v[0:1], v[9:10], v[4:5]
	v_fma_f64 v[6:7], v[2:3], v[9:10], v[6:7]
	;; [unrolled: 1-line block ×4, first 2 shown]
	v_ashrrev_i32_e32 v9, 31, v8
                                        ; implicit-def: $vgpr15_vgpr16
                                        ; implicit-def: $vgpr11_vgpr12
                                        ; implicit-def: $vgpr13_vgpr14
	s_delay_alu instid0(VALU_DEP_1) | instskip(SKIP_1) | instid1(VALU_DEP_1)
	v_lshlrev_b64 v[8:9], 4, v[8:9]
	s_waitcnt lgkmcnt(0)
	v_add_co_u32 v8, vcc_lo, s2, v8
	s_delay_alu instid0(VALU_DEP_2)
	v_add_co_ci_u32_e32 v9, vcc_lo, s3, v9, vcc_lo
	s_clause 0x1
	global_store_b128 v[8:9], v[4:7], off
	global_store_b128 v[8:9], v[0:3], off offset:16
                                        ; implicit-def: $vgpr0_vgpr1
                                        ; implicit-def: $vgpr2_vgpr3
                                        ; implicit-def: $vgpr4_vgpr5
                                        ; implicit-def: $vgpr6_vgpr7
                                        ; implicit-def: $vgpr8
                                        ; implicit-def: $vgpr9_vgpr10
.LBB276_31:
	s_and_not1_saveexec_b32 s0, s0
	s_cbranch_execz .LBB276_33
; %bb.32:
	v_lshlrev_b32_e32 v17, 1, v8
	s_delay_alu instid0(VALU_DEP_4) | instskip(SKIP_1) | instid1(VALU_DEP_4)
	v_mul_f64 v[27:28], v[15:16], -v[2:3]
	v_mul_f64 v[15:16], v[0:1], v[15:16]
	v_mul_f64 v[29:30], v[13:14], -v[2:3]
	v_mul_f64 v[13:14], v[0:1], v[13:14]
	v_ashrrev_i32_e32 v18, 31, v17
	s_delay_alu instid0(VALU_DEP_1) | instskip(SKIP_1) | instid1(VALU_DEP_1)
	v_lshlrev_b64 v[17:18], 4, v[17:18]
	s_waitcnt lgkmcnt(0)
	v_add_co_u32 v25, vcc_lo, s2, v17
	s_delay_alu instid0(VALU_DEP_2)
	v_add_co_ci_u32_e32 v26, vcc_lo, s3, v18, vcc_lo
	s_clause 0x1
	global_load_b128 v[17:20], v[25:26], off
	global_load_b128 v[21:24], v[25:26], off offset:16
	v_fma_f64 v[27:28], v[0:1], v[9:10], v[27:28]
	v_fma_f64 v[8:9], v[2:3], v[9:10], v[15:16]
	;; [unrolled: 1-line block ×4, first 2 shown]
	s_waitcnt vmcnt(1)
	s_delay_alu instid0(VALU_DEP_4) | instskip(NEXT) | instid1(VALU_DEP_4)
	v_fma_f64 v[10:11], v[4:5], v[17:18], v[27:28]
	v_fma_f64 v[8:9], v[6:7], v[17:18], v[8:9]
	s_waitcnt vmcnt(0)
	s_delay_alu instid0(VALU_DEP_4) | instskip(NEXT) | instid1(VALU_DEP_4)
	v_fma_f64 v[12:13], v[4:5], v[21:22], v[0:1]
	v_fma_f64 v[14:15], v[6:7], v[21:22], v[2:3]
	s_delay_alu instid0(VALU_DEP_4) | instskip(NEXT) | instid1(VALU_DEP_4)
	v_fma_f64 v[0:1], -v[6:7], v[19:20], v[10:11]
	v_fma_f64 v[2:3], v[4:5], v[19:20], v[8:9]
	s_delay_alu instid0(VALU_DEP_4) | instskip(NEXT) | instid1(VALU_DEP_4)
	v_fma_f64 v[6:7], -v[6:7], v[23:24], v[12:13]
	v_fma_f64 v[8:9], v[4:5], v[23:24], v[14:15]
	s_clause 0x1
	global_store_b128 v[25:26], v[0:3], off
	global_store_b128 v[25:26], v[6:9], off offset:16
.LBB276_33:
	s_nop 0
	s_sendmsg sendmsg(MSG_DEALLOC_VGPRS)
	s_endpgm
	.section	.rodata,"a",@progbits
	.p2align	6, 0x0
	.amdhsa_kernel _ZN9rocsparseL19gebsrmvn_2xn_kernelILj128ELj11ELj32E21rocsparse_complex_numIdEEEvi20rocsparse_direction_NS_24const_host_device_scalarIT2_EEPKiS8_PKS5_SA_S6_PS5_21rocsparse_index_base_b
		.amdhsa_group_segment_fixed_size 2048
		.amdhsa_private_segment_fixed_size 0
		.amdhsa_kernarg_size 88
		.amdhsa_user_sgpr_count 15
		.amdhsa_user_sgpr_dispatch_ptr 1
		.amdhsa_user_sgpr_queue_ptr 0
		.amdhsa_user_sgpr_kernarg_segment_ptr 1
		.amdhsa_user_sgpr_dispatch_id 0
		.amdhsa_user_sgpr_private_segment_size 0
		.amdhsa_wavefront_size32 1
		.amdhsa_uses_dynamic_stack 0
		.amdhsa_enable_private_segment 0
		.amdhsa_system_sgpr_workgroup_id_x 1
		.amdhsa_system_sgpr_workgroup_id_y 0
		.amdhsa_system_sgpr_workgroup_id_z 0
		.amdhsa_system_sgpr_workgroup_info 0
		.amdhsa_system_vgpr_workitem_id 2
		.amdhsa_next_free_vgpr 64
		.amdhsa_next_free_sgpr 18
		.amdhsa_reserve_vcc 1
		.amdhsa_float_round_mode_32 0
		.amdhsa_float_round_mode_16_64 0
		.amdhsa_float_denorm_mode_32 3
		.amdhsa_float_denorm_mode_16_64 3
		.amdhsa_dx10_clamp 1
		.amdhsa_ieee_mode 1
		.amdhsa_fp16_overflow 0
		.amdhsa_workgroup_processor_mode 1
		.amdhsa_memory_ordered 1
		.amdhsa_forward_progress 0
		.amdhsa_shared_vgpr_count 0
		.amdhsa_exception_fp_ieee_invalid_op 0
		.amdhsa_exception_fp_denorm_src 0
		.amdhsa_exception_fp_ieee_div_zero 0
		.amdhsa_exception_fp_ieee_overflow 0
		.amdhsa_exception_fp_ieee_underflow 0
		.amdhsa_exception_fp_ieee_inexact 0
		.amdhsa_exception_int_div_zero 0
	.end_amdhsa_kernel
	.section	.text._ZN9rocsparseL19gebsrmvn_2xn_kernelILj128ELj11ELj32E21rocsparse_complex_numIdEEEvi20rocsparse_direction_NS_24const_host_device_scalarIT2_EEPKiS8_PKS5_SA_S6_PS5_21rocsparse_index_base_b,"axG",@progbits,_ZN9rocsparseL19gebsrmvn_2xn_kernelILj128ELj11ELj32E21rocsparse_complex_numIdEEEvi20rocsparse_direction_NS_24const_host_device_scalarIT2_EEPKiS8_PKS5_SA_S6_PS5_21rocsparse_index_base_b,comdat
.Lfunc_end276:
	.size	_ZN9rocsparseL19gebsrmvn_2xn_kernelILj128ELj11ELj32E21rocsparse_complex_numIdEEEvi20rocsparse_direction_NS_24const_host_device_scalarIT2_EEPKiS8_PKS5_SA_S6_PS5_21rocsparse_index_base_b, .Lfunc_end276-_ZN9rocsparseL19gebsrmvn_2xn_kernelILj128ELj11ELj32E21rocsparse_complex_numIdEEEvi20rocsparse_direction_NS_24const_host_device_scalarIT2_EEPKiS8_PKS5_SA_S6_PS5_21rocsparse_index_base_b
                                        ; -- End function
	.section	.AMDGPU.csdata,"",@progbits
; Kernel info:
; codeLenInByte = 3584
; NumSgprs: 20
; NumVgprs: 64
; ScratchSize: 0
; MemoryBound: 0
; FloatMode: 240
; IeeeMode: 1
; LDSByteSize: 2048 bytes/workgroup (compile time only)
; SGPRBlocks: 2
; VGPRBlocks: 7
; NumSGPRsForWavesPerEU: 20
; NumVGPRsForWavesPerEU: 64
; Occupancy: 16
; WaveLimiterHint : 1
; COMPUTE_PGM_RSRC2:SCRATCH_EN: 0
; COMPUTE_PGM_RSRC2:USER_SGPR: 15
; COMPUTE_PGM_RSRC2:TRAP_HANDLER: 0
; COMPUTE_PGM_RSRC2:TGID_X_EN: 1
; COMPUTE_PGM_RSRC2:TGID_Y_EN: 0
; COMPUTE_PGM_RSRC2:TGID_Z_EN: 0
; COMPUTE_PGM_RSRC2:TIDIG_COMP_CNT: 2
	.section	.text._ZN9rocsparseL19gebsrmvn_2xn_kernelILj128ELj11ELj64E21rocsparse_complex_numIdEEEvi20rocsparse_direction_NS_24const_host_device_scalarIT2_EEPKiS8_PKS5_SA_S6_PS5_21rocsparse_index_base_b,"axG",@progbits,_ZN9rocsparseL19gebsrmvn_2xn_kernelILj128ELj11ELj64E21rocsparse_complex_numIdEEEvi20rocsparse_direction_NS_24const_host_device_scalarIT2_EEPKiS8_PKS5_SA_S6_PS5_21rocsparse_index_base_b,comdat
	.globl	_ZN9rocsparseL19gebsrmvn_2xn_kernelILj128ELj11ELj64E21rocsparse_complex_numIdEEEvi20rocsparse_direction_NS_24const_host_device_scalarIT2_EEPKiS8_PKS5_SA_S6_PS5_21rocsparse_index_base_b ; -- Begin function _ZN9rocsparseL19gebsrmvn_2xn_kernelILj128ELj11ELj64E21rocsparse_complex_numIdEEEvi20rocsparse_direction_NS_24const_host_device_scalarIT2_EEPKiS8_PKS5_SA_S6_PS5_21rocsparse_index_base_b
	.p2align	8
	.type	_ZN9rocsparseL19gebsrmvn_2xn_kernelILj128ELj11ELj64E21rocsparse_complex_numIdEEEvi20rocsparse_direction_NS_24const_host_device_scalarIT2_EEPKiS8_PKS5_SA_S6_PS5_21rocsparse_index_base_b,@function
_ZN9rocsparseL19gebsrmvn_2xn_kernelILj128ELj11ELj64E21rocsparse_complex_numIdEEEvi20rocsparse_direction_NS_24const_host_device_scalarIT2_EEPKiS8_PKS5_SA_S6_PS5_21rocsparse_index_base_b: ; @_ZN9rocsparseL19gebsrmvn_2xn_kernelILj128ELj11ELj64E21rocsparse_complex_numIdEEEvi20rocsparse_direction_NS_24const_host_device_scalarIT2_EEPKiS8_PKS5_SA_S6_PS5_21rocsparse_index_base_b
; %bb.0:
	s_load_b64 s[12:13], s[2:3], 0x50
	s_load_b64 s[16:17], s[0:1], 0x4
	s_load_b128 s[8:11], s[2:3], 0x8
	v_bfe_u32 v1, v0, 10, 10
	s_mov_b64 s[0:1], src_shared_base
	s_load_b128 s[4:7], s[2:3], 0x38
	v_and_b32_e32 v12, 0x3ff, v0
	v_bfe_u32 v0, v0, 20, 10
	s_waitcnt lgkmcnt(0)
	s_bitcmp1_b32 s13, 0
	v_mul_u32_u24_e32 v1, s17, v1
	s_cselect_b32 s0, -1, 0
	s_delay_alu instid0(SALU_CYCLE_1)
	s_and_b32 vcc_lo, s0, exec_lo
	s_cselect_b32 s13, s1, s9
	s_lshr_b32 s14, s16, 16
	v_dual_mov_b32 v2, s4 :: v_dual_mov_b32 v3, s5
	s_mul_i32 s14, s14, s17
	v_mov_b32_e32 v6, s13
	v_mad_u32_u24 v1, s14, v12, v1
	s_delay_alu instid0(VALU_DEP_1) | instskip(SKIP_1) | instid1(VALU_DEP_2)
	v_add_lshl_u32 v4, v1, v0, 3
	v_dual_mov_b32 v0, s8 :: v_dual_mov_b32 v1, s9
	v_add_nc_u32_e32 v5, 0x400, v4
	ds_store_2addr_stride64_b64 v4, v[2:3], v[0:1] offset1:2
	v_dual_mov_b32 v2, s10 :: v_dual_mov_b32 v3, s11
	v_cndmask_b32_e64 v5, s8, v5, s0
	s_xor_b32 s10, s0, -1
	flat_load_b64 v[0:1], v[5:6]
	s_cbranch_vccnz .LBB277_2
; %bb.1:
	v_dual_mov_b32 v2, s8 :: v_dual_mov_b32 v3, s9
	flat_load_b64 v[2:3], v[2:3] offset:8
.LBB277_2:
	s_and_b32 s8, s0, exec_lo
	s_cselect_b32 s1, s1, s5
	v_cndmask_b32_e64 v4, s4, v4, s0
	v_dual_mov_b32 v5, s1 :: v_dual_mov_b32 v6, s6
	v_mov_b32_e32 v7, s7
	s_and_not1_b32 vcc_lo, exec_lo, s10
	flat_load_b64 v[4:5], v[4:5]
	s_cbranch_vccnz .LBB277_4
; %bb.3:
	v_dual_mov_b32 v7, s5 :: v_dual_mov_b32 v6, s4
	flat_load_b64 v[6:7], v[6:7] offset:8
.LBB277_4:
	s_waitcnt vmcnt(1) lgkmcnt(1)
	v_cmp_eq_f64_e32 vcc_lo, 0, v[0:1]
	v_cmp_eq_f64_e64 s0, 0, v[2:3]
	s_delay_alu instid0(VALU_DEP_1)
	s_and_b32 s4, vcc_lo, s0
	s_mov_b32 s0, -1
	s_and_saveexec_b32 s1, s4
	s_cbranch_execz .LBB277_6
; %bb.5:
	s_waitcnt vmcnt(0) lgkmcnt(0)
	v_cmp_neq_f64_e32 vcc_lo, 1.0, v[4:5]
	v_cmp_neq_f64_e64 s0, 0, v[6:7]
	s_delay_alu instid0(VALU_DEP_1) | instskip(NEXT) | instid1(SALU_CYCLE_1)
	s_or_b32 s0, vcc_lo, s0
	s_or_not1_b32 s0, s0, exec_lo
.LBB277_6:
	s_or_b32 exec_lo, exec_lo, s1
	s_and_saveexec_b32 s1, s0
	s_cbranch_execz .LBB277_33
; %bb.7:
	s_load_b64 s[0:1], s[2:3], 0x0
	v_lshrrev_b32_e32 v8, 6, v12
	s_delay_alu instid0(VALU_DEP_1) | instskip(SKIP_1) | instid1(VALU_DEP_1)
	v_lshl_or_b32 v8, s15, 1, v8
	s_waitcnt lgkmcnt(0)
	v_cmp_gt_i32_e32 vcc_lo, s0, v8
	s_and_b32 exec_lo, exec_lo, vcc_lo
	s_cbranch_execz .LBB277_33
; %bb.8:
	s_load_b256 s[4:11], s[2:3], 0x18
	v_ashrrev_i32_e32 v9, 31, v8
	v_and_b32_e32 v32, 63, v12
	s_cmp_lg_u32 s1, 0
	s_delay_alu instid0(VALU_DEP_2) | instskip(SKIP_1) | instid1(VALU_DEP_1)
	v_lshlrev_b64 v[9:10], 2, v[8:9]
	s_waitcnt lgkmcnt(0)
	v_add_co_u32 v9, vcc_lo, s4, v9
	s_delay_alu instid0(VALU_DEP_2) | instskip(SKIP_4) | instid1(VALU_DEP_2)
	v_add_co_ci_u32_e32 v10, vcc_lo, s5, v10, vcc_lo
	global_load_b64 v[10:11], v[9:10], off
	s_waitcnt vmcnt(0)
	v_subrev_nc_u32_e32 v9, s12, v10
	v_subrev_nc_u32_e32 v33, s12, v11
	v_add_nc_u32_e32 v9, v9, v32
	s_delay_alu instid0(VALU_DEP_1)
	v_cmp_lt_i32_e64 s0, v9, v33
	s_cbranch_scc0 .LBB277_16
; %bb.9:
	v_mov_b32_e32 v11, 0
	v_mov_b32_e32 v12, 0
	s_delay_alu instid0(VALU_DEP_1)
	v_dual_mov_b32 v14, v12 :: v_dual_mov_b32 v13, v11
	v_dual_mov_b32 v16, v12 :: v_dual_mov_b32 v15, v11
	;; [unrolled: 1-line block ×3, first 2 shown]
	s_and_saveexec_b32 s1, s0
	s_cbranch_execz .LBB277_18
; %bb.10:
	v_mul_lo_u32 v13, v10, 22
	v_dual_mov_b32 v11, 0 :: v_dual_mov_b32 v20, 0
	v_dual_mov_b32 v12, 0 :: v_dual_mov_b32 v21, v9
	v_mul_lo_u32 v34, v9, 22
	s_mul_i32 s4, s12, 22
	s_delay_alu instid0(VALU_DEP_2) | instskip(SKIP_2) | instid1(VALU_DEP_2)
	v_dual_mov_b32 v16, v12 :: v_dual_mov_b32 v15, v11
	v_mad_u32_u24 v17, v32, 22, v13
	v_dual_mov_b32 v14, v12 :: v_dual_mov_b32 v13, v11
	v_subrev_nc_u32_e32 v35, s4, v17
	v_dual_mov_b32 v18, v12 :: v_dual_mov_b32 v17, v11
	s_mov_b32 s4, 0
	s_branch .LBB277_12
.LBB277_11:                             ;   in Loop: Header=BB277_12 Depth=1
	v_add_nc_u32_e32 v21, 64, v21
	v_add_nc_u32_e32 v34, 0x580, v34
	;; [unrolled: 1-line block ×3, first 2 shown]
	s_delay_alu instid0(VALU_DEP_3) | instskip(SKIP_1) | instid1(SALU_CYCLE_1)
	v_cmp_ge_i32_e32 vcc_lo, v21, v33
	s_or_b32 s4, vcc_lo, s4
	s_and_not1_b32 exec_lo, exec_lo, s4
	s_cbranch_execz .LBB277_17
.LBB277_12:                             ; =>This Loop Header: Depth=1
                                        ;     Child Loop BB277_14 Depth 2
	v_ashrrev_i32_e32 v22, 31, v21
	v_dual_mov_b32 v25, v12 :: v_dual_mov_b32 v24, v11
	v_dual_mov_b32 v27, v14 :: v_dual_mov_b32 v26, v13
	s_delay_alu instid0(VALU_DEP_3) | instskip(SKIP_3) | instid1(VALU_DEP_3)
	v_lshlrev_b64 v[22:23], 2, v[21:22]
	v_dual_mov_b32 v29, v16 :: v_dual_mov_b32 v28, v15
	v_dual_mov_b32 v31, v18 :: v_dual_mov_b32 v30, v17
	s_mov_b32 s5, 0
	v_add_co_u32 v22, vcc_lo, s6, v22
	s_delay_alu instid0(VALU_DEP_4) | instskip(SKIP_3) | instid1(VALU_DEP_1)
	v_add_co_ci_u32_e32 v23, vcc_lo, s7, v23, vcc_lo
	global_load_b32 v19, v[22:23], off
	s_waitcnt vmcnt(0)
	v_subrev_nc_u32_e32 v19, s12, v19
	v_mul_lo_u32 v22, v19, 11
	s_branch .LBB277_14
.LBB277_13:                             ;   in Loop: Header=BB277_12 Depth=1
                                        ; implicit-def: $vgpr30_vgpr31
                                        ; implicit-def: $vgpr28_vgpr29
                                        ; implicit-def: $vgpr26_vgpr27
                                        ; implicit-def: $vgpr24_vgpr25
                                        ; implicit-def: $sgpr5
                                        ; implicit-def: $vgpr22
	s_branch .LBB277_11
.LBB277_14:                             ;   Parent Loop BB277_12 Depth=1
                                        ; =>  This Inner Loop Header: Depth=2
	v_add_nc_u32_e32 v19, s5, v35
	v_mov_b32_e32 v23, v20
	s_cmp_eq_u32 s5, 16
	s_delay_alu instid0(VALU_DEP_2) | instskip(NEXT) | instid1(VALU_DEP_2)
	v_lshlrev_b64 v[11:12], 4, v[19:20]
	v_lshlrev_b64 v[13:14], 4, v[22:23]
	v_add_nc_u32_e32 v23, s5, v34
	s_delay_alu instid0(VALU_DEP_3) | instskip(NEXT) | instid1(VALU_DEP_4)
	v_add_co_u32 v36, vcc_lo, s8, v11
	v_add_co_ci_u32_e32 v37, vcc_lo, s9, v12, vcc_lo
	s_delay_alu instid0(VALU_DEP_4)
	v_add_co_u32 v15, vcc_lo, s10, v13
	v_add_co_ci_u32_e32 v16, vcc_lo, s11, v14, vcc_lo
	v_add_nc_u32_e32 v19, 2, v23
	global_load_b128 v[11:14], v[36:37], off
	global_load_b128 v[15:18], v[15:16], off
	global_load_b128 v[36:39], v[36:37], off offset:16
	v_lshlrev_b64 v[40:41], 4, v[19:20]
	v_add_nc_u32_e32 v19, 1, v22
	s_delay_alu instid0(VALU_DEP_1) | instskip(NEXT) | instid1(VALU_DEP_3)
	v_lshlrev_b64 v[42:43], 4, v[19:20]
	v_add_co_u32 v48, vcc_lo, s8, v40
	s_delay_alu instid0(VALU_DEP_4) | instskip(SKIP_1) | instid1(VALU_DEP_4)
	v_add_co_ci_u32_e32 v49, vcc_lo, s9, v41, vcc_lo
	v_add_nc_u32_e32 v19, 4, v23
	v_add_co_u32 v44, vcc_lo, s10, v42
	v_add_co_ci_u32_e32 v45, vcc_lo, s11, v43, vcc_lo
	global_load_b128 v[40:43], v[48:49], off
	global_load_b128 v[44:47], v[44:45], off
	global_load_b128 v[48:51], v[48:49], off offset:16
	v_lshlrev_b64 v[52:53], 4, v[19:20]
	v_add_nc_u32_e32 v19, 2, v22
	s_delay_alu instid0(VALU_DEP_1) | instskip(NEXT) | instid1(VALU_DEP_3)
	v_lshlrev_b64 v[54:55], 4, v[19:20]
	v_add_co_u32 v60, vcc_lo, s8, v52
	s_delay_alu instid0(VALU_DEP_4) | instskip(NEXT) | instid1(VALU_DEP_3)
	v_add_co_ci_u32_e32 v61, vcc_lo, s9, v53, vcc_lo
	v_add_co_u32 v56, vcc_lo, s10, v54
	s_delay_alu instid0(VALU_DEP_4)
	v_add_co_ci_u32_e32 v57, vcc_lo, s11, v55, vcc_lo
	global_load_b128 v[52:55], v[60:61], off
	global_load_b128 v[56:59], v[56:57], off
	global_load_b128 v[60:63], v[60:61], off offset:16
	s_waitcnt vmcnt(7)
	v_fma_f64 v[26:27], v[11:12], v[15:16], v[26:27]
	v_fma_f64 v[24:25], v[13:14], v[15:16], v[24:25]
	s_waitcnt vmcnt(6)
	v_fma_f64 v[28:29], v[36:37], v[15:16], v[28:29]
	v_fma_f64 v[15:16], v[38:39], v[15:16], v[30:31]
	s_delay_alu instid0(VALU_DEP_4) | instskip(NEXT) | instid1(VALU_DEP_4)
	v_fma_f64 v[13:14], -v[13:14], v[17:18], v[26:27]
	v_fma_f64 v[11:12], v[11:12], v[17:18], v[24:25]
	s_delay_alu instid0(VALU_DEP_4) | instskip(NEXT) | instid1(VALU_DEP_4)
	v_fma_f64 v[24:25], -v[38:39], v[17:18], v[28:29]
	v_fma_f64 v[15:16], v[36:37], v[17:18], v[15:16]
	s_waitcnt vmcnt(4)
	s_delay_alu instid0(VALU_DEP_4) | instskip(NEXT) | instid1(VALU_DEP_4)
	v_fma_f64 v[13:14], v[40:41], v[44:45], v[13:14]
	v_fma_f64 v[11:12], v[42:43], v[44:45], v[11:12]
	s_waitcnt vmcnt(3)
	s_delay_alu instid0(VALU_DEP_4) | instskip(NEXT) | instid1(VALU_DEP_4)
	v_fma_f64 v[17:18], v[48:49], v[44:45], v[24:25]
	v_fma_f64 v[15:16], v[50:51], v[44:45], v[15:16]
	s_delay_alu instid0(VALU_DEP_4) | instskip(NEXT) | instid1(VALU_DEP_4)
	v_fma_f64 v[13:14], -v[42:43], v[46:47], v[13:14]
	v_fma_f64 v[11:12], v[40:41], v[46:47], v[11:12]
	s_delay_alu instid0(VALU_DEP_4) | instskip(NEXT) | instid1(VALU_DEP_4)
	v_fma_f64 v[17:18], -v[50:51], v[46:47], v[17:18]
	v_fma_f64 v[15:16], v[48:49], v[46:47], v[15:16]
	s_waitcnt vmcnt(1)
	s_delay_alu instid0(VALU_DEP_4) | instskip(NEXT) | instid1(VALU_DEP_4)
	v_fma_f64 v[13:14], v[52:53], v[56:57], v[13:14]
	v_fma_f64 v[11:12], v[54:55], v[56:57], v[11:12]
	s_waitcnt vmcnt(0)
	s_delay_alu instid0(VALU_DEP_4) | instskip(NEXT) | instid1(VALU_DEP_4)
	v_fma_f64 v[17:18], v[60:61], v[56:57], v[17:18]
	v_fma_f64 v[24:25], v[62:63], v[56:57], v[15:16]
	s_delay_alu instid0(VALU_DEP_4) | instskip(NEXT) | instid1(VALU_DEP_4)
	v_fma_f64 v[13:14], -v[54:55], v[58:59], v[13:14]
	v_fma_f64 v[11:12], v[52:53], v[58:59], v[11:12]
	s_delay_alu instid0(VALU_DEP_4) | instskip(NEXT) | instid1(VALU_DEP_4)
	v_fma_f64 v[15:16], -v[62:63], v[58:59], v[17:18]
	v_fma_f64 v[17:18], v[60:61], v[58:59], v[24:25]
	s_cbranch_scc1 .LBB277_13
; %bb.15:                               ;   in Loop: Header=BB277_14 Depth=2
	v_add_nc_u32_e32 v19, 6, v23
	s_add_i32 s5, s5, 8
	s_delay_alu instid0(VALU_DEP_1) | instskip(SKIP_2) | instid1(VALU_DEP_2)
	v_lshlrev_b64 v[23:24], 4, v[19:20]
	v_add_nc_u32_e32 v19, 3, v22
	v_add_nc_u32_e32 v22, 4, v22
	v_lshlrev_b64 v[25:26], 4, v[19:20]
	s_delay_alu instid0(VALU_DEP_4) | instskip(SKIP_1) | instid1(VALU_DEP_3)
	v_add_co_u32 v36, vcc_lo, s8, v23
	v_add_co_ci_u32_e32 v37, vcc_lo, s9, v24, vcc_lo
	v_add_co_u32 v27, vcc_lo, s10, v25
	s_delay_alu instid0(VALU_DEP_4)
	v_add_co_ci_u32_e32 v28, vcc_lo, s11, v26, vcc_lo
	global_load_b128 v[23:26], v[36:37], off
	global_load_b128 v[28:31], v[27:28], off
	global_load_b128 v[36:39], v[36:37], off offset:16
	s_waitcnt vmcnt(1)
	v_fma_f64 v[40:41], v[23:24], v[28:29], v[13:14]
	v_fma_f64 v[42:43], v[25:26], v[28:29], v[11:12]
	s_waitcnt vmcnt(0)
	v_fma_f64 v[44:45], v[36:37], v[28:29], v[15:16]
	v_fma_f64 v[46:47], v[38:39], v[28:29], v[17:18]
	s_delay_alu instid0(VALU_DEP_4) | instskip(NEXT) | instid1(VALU_DEP_4)
	v_fma_f64 v[26:27], -v[25:26], v[30:31], v[40:41]
	v_fma_f64 v[24:25], v[23:24], v[30:31], v[42:43]
	s_delay_alu instid0(VALU_DEP_4) | instskip(NEXT) | instid1(VALU_DEP_4)
	v_fma_f64 v[28:29], -v[38:39], v[30:31], v[44:45]
	v_fma_f64 v[30:31], v[36:37], v[30:31], v[46:47]
	s_cbranch_execnz .LBB277_14
	s_branch .LBB277_11
.LBB277_16:
                                        ; implicit-def: $vgpr11_vgpr12
                                        ; implicit-def: $vgpr13_vgpr14
                                        ; implicit-def: $vgpr15_vgpr16
                                        ; implicit-def: $vgpr17_vgpr18
	s_branch .LBB277_19
.LBB277_17:
	s_or_b32 exec_lo, exec_lo, s4
.LBB277_18:
	s_delay_alu instid0(SALU_CYCLE_1)
	s_or_b32 exec_lo, exec_lo, s1
	s_cbranch_execnz .LBB277_28
.LBB277_19:
	v_mov_b32_e32 v11, 0
	v_mov_b32_e32 v12, 0
	s_delay_alu instid0(VALU_DEP_1)
	v_dual_mov_b32 v14, v12 :: v_dual_mov_b32 v13, v11
	v_dual_mov_b32 v16, v12 :: v_dual_mov_b32 v15, v11
	;; [unrolled: 1-line block ×3, first 2 shown]
	s_and_saveexec_b32 s1, s0
	s_cbranch_execz .LBB277_27
; %bb.20:
	v_mul_lo_u32 v10, v10, 22
	v_dual_mov_b32 v11, 0 :: v_dual_mov_b32 v20, 0
	v_mov_b32_e32 v12, 0
	v_mul_lo_u32 v29, v9, 22
	s_mul_i32 s0, s12, 22
	s_delay_alu instid0(VALU_DEP_2) | instskip(SKIP_3) | instid1(VALU_DEP_3)
	v_dual_mov_b32 v14, v12 :: v_dual_mov_b32 v13, v11
	v_mad_u32_u24 v10, v32, 22, v10
	v_dual_mov_b32 v16, v12 :: v_dual_mov_b32 v15, v11
	v_dual_mov_b32 v18, v12 :: v_dual_mov_b32 v17, v11
	v_subrev_nc_u32_e32 v30, s0, v10
	s_mov_b32 s0, 0
	s_branch .LBB277_22
.LBB277_21:                             ;   in Loop: Header=BB277_22 Depth=1
	v_add_nc_u32_e32 v9, 64, v9
	v_add_nc_u32_e32 v29, 0x580, v29
	;; [unrolled: 1-line block ×3, first 2 shown]
	s_delay_alu instid0(VALU_DEP_3) | instskip(SKIP_1) | instid1(SALU_CYCLE_1)
	v_cmp_ge_i32_e32 vcc_lo, v9, v33
	s_or_b32 s0, vcc_lo, s0
	s_and_not1_b32 exec_lo, exec_lo, s0
	s_cbranch_execz .LBB277_26
.LBB277_22:                             ; =>This Loop Header: Depth=1
                                        ;     Child Loop BB277_24 Depth 2
	v_ashrrev_i32_e32 v10, 31, v9
	v_dual_mov_b32 v24, v14 :: v_dual_mov_b32 v23, v13
	v_dual_mov_b32 v26, v16 :: v_dual_mov_b32 v25, v15
	s_delay_alu instid0(VALU_DEP_3) | instskip(SKIP_2) | instid1(VALU_DEP_2)
	v_lshlrev_b64 v[21:22], 2, v[9:10]
	v_dual_mov_b32 v28, v18 :: v_dual_mov_b32 v27, v17
	s_mov_b32 s4, 0
	v_add_co_u32 v21, vcc_lo, s6, v21
	s_delay_alu instid0(VALU_DEP_3) | instskip(SKIP_4) | instid1(VALU_DEP_1)
	v_add_co_ci_u32_e32 v22, vcc_lo, s7, v22, vcc_lo
	global_load_b32 v10, v[21:22], off
	v_dual_mov_b32 v22, v12 :: v_dual_mov_b32 v21, v11
	s_waitcnt vmcnt(0)
	v_subrev_nc_u32_e32 v10, s12, v10
	v_mul_lo_u32 v10, v10, 11
	s_branch .LBB277_24
.LBB277_23:                             ;   in Loop: Header=BB277_22 Depth=1
                                        ; implicit-def: $vgpr27_vgpr28
                                        ; implicit-def: $vgpr25_vgpr26
                                        ; implicit-def: $vgpr23_vgpr24
                                        ; implicit-def: $vgpr21_vgpr22
                                        ; implicit-def: $sgpr4
	s_branch .LBB277_21
.LBB277_24:                             ;   Parent Loop BB277_22 Depth=1
                                        ; =>  This Inner Loop Header: Depth=2
	v_dual_mov_b32 v12, v20 :: v_dual_add_nc_u32 v19, s4, v30
	v_add_nc_u32_e32 v31, s4, v29
	v_mov_b32_e32 v43, v20
	v_mov_b32_e32 v51, v20
	s_delay_alu instid0(VALU_DEP_4) | instskip(SKIP_4) | instid1(VALU_DEP_4)
	v_lshlrev_b64 v[13:14], 4, v[19:20]
	v_add_nc_u32_e32 v19, s4, v10
	v_add_nc_u32_e32 v50, 2, v31
	;; [unrolled: 1-line block ×3, first 2 shown]
	v_dual_mov_b32 v41, v20 :: v_dual_add_nc_u32 v42, 12, v31
	v_add_nc_u32_e32 v40, 1, v19
	v_lshlrev_b64 v[15:16], 4, v[19:20]
	s_delay_alu instid0(VALU_DEP_4) | instskip(SKIP_2) | instid1(VALU_DEP_4)
	v_lshlrev_b64 v[11:12], 4, v[11:12]
	v_add_co_u32 v38, vcc_lo, s8, v13
	v_add_co_ci_u32_e32 v39, vcc_lo, s9, v14, vcc_lo
	v_add_co_u32 v15, vcc_lo, s10, v15
	v_add_co_ci_u32_e32 v16, vcc_lo, s11, v16, vcc_lo
	;; [unrolled: 2-line block ×3, first 2 shown]
	global_load_b128 v[11:14], v[38:39], off
	global_load_b128 v[15:18], v[15:16], off
	;; [unrolled: 1-line block ×3, first 2 shown]
	v_lshlrev_b64 v[40:41], 4, v[40:41]
	v_lshlrev_b64 v[42:43], 4, v[42:43]
	v_dual_mov_b32 v53, v20 :: v_dual_add_nc_u32 v52, 2, v19
	v_lshlrev_b64 v[50:51], 4, v[50:51]
	s_cmp_eq_u32 s4, 8
	s_delay_alu instid0(VALU_DEP_4)
	v_add_co_u32 v44, vcc_lo, s10, v40
	v_add_co_ci_u32_e32 v45, vcc_lo, s11, v41, vcc_lo
	v_add_co_u32 v58, vcc_lo, s8, v42
	v_add_co_ci_u32_e32 v59, vcc_lo, s9, v43, vcc_lo
	global_load_b128 v[38:41], v[38:39], off offset:16
	global_load_b128 v[42:45], v[44:45], off
	global_load_b128 v[46:49], v[58:59], off
	v_lshlrev_b64 v[52:53], 4, v[52:53]
	v_add_co_u32 v50, vcc_lo, s8, v50
	v_add_co_ci_u32_e32 v51, vcc_lo, s9, v51, vcc_lo
	s_delay_alu instid0(VALU_DEP_3) | instskip(NEXT) | instid1(VALU_DEP_4)
	v_add_co_u32 v54, vcc_lo, s10, v52
	v_add_co_ci_u32_e32 v55, vcc_lo, s11, v53, vcc_lo
	global_load_b128 v[50:53], v[50:51], off
	global_load_b128 v[54:57], v[54:55], off
	global_load_b128 v[58:61], v[58:59], off offset:16
	s_waitcnt vmcnt(7)
	v_fma_f64 v[23:24], v[11:12], v[15:16], v[23:24]
	v_fma_f64 v[21:22], v[13:14], v[15:16], v[21:22]
	s_waitcnt vmcnt(6)
	v_fma_f64 v[25:26], v[34:35], v[15:16], v[25:26]
	v_fma_f64 v[15:16], v[36:37], v[15:16], v[27:28]
	s_delay_alu instid0(VALU_DEP_4) | instskip(NEXT) | instid1(VALU_DEP_4)
	v_fma_f64 v[13:14], -v[13:14], v[17:18], v[23:24]
	v_fma_f64 v[11:12], v[11:12], v[17:18], v[21:22]
	s_delay_alu instid0(VALU_DEP_4) | instskip(NEXT) | instid1(VALU_DEP_4)
	v_fma_f64 v[21:22], -v[36:37], v[17:18], v[25:26]
	v_fma_f64 v[15:16], v[34:35], v[17:18], v[15:16]
	s_waitcnt vmcnt(4)
	s_delay_alu instid0(VALU_DEP_4) | instskip(NEXT) | instid1(VALU_DEP_4)
	v_fma_f64 v[13:14], v[38:39], v[42:43], v[13:14]
	v_fma_f64 v[11:12], v[40:41], v[42:43], v[11:12]
	s_waitcnt vmcnt(3)
	s_delay_alu instid0(VALU_DEP_4) | instskip(NEXT) | instid1(VALU_DEP_4)
	v_fma_f64 v[17:18], v[46:47], v[42:43], v[21:22]
	v_fma_f64 v[15:16], v[48:49], v[42:43], v[15:16]
	s_delay_alu instid0(VALU_DEP_4) | instskip(NEXT) | instid1(VALU_DEP_4)
	v_fma_f64 v[13:14], -v[40:41], v[44:45], v[13:14]
	v_fma_f64 v[11:12], v[38:39], v[44:45], v[11:12]
	s_delay_alu instid0(VALU_DEP_4) | instskip(NEXT) | instid1(VALU_DEP_4)
	v_fma_f64 v[17:18], -v[48:49], v[44:45], v[17:18]
	v_fma_f64 v[15:16], v[46:47], v[44:45], v[15:16]
	s_waitcnt vmcnt(1)
	s_delay_alu instid0(VALU_DEP_4) | instskip(NEXT) | instid1(VALU_DEP_4)
	v_fma_f64 v[13:14], v[50:51], v[54:55], v[13:14]
	v_fma_f64 v[11:12], v[52:53], v[54:55], v[11:12]
	s_waitcnt vmcnt(0)
	s_delay_alu instid0(VALU_DEP_4) | instskip(NEXT) | instid1(VALU_DEP_4)
	v_fma_f64 v[17:18], v[58:59], v[54:55], v[17:18]
	v_fma_f64 v[21:22], v[60:61], v[54:55], v[15:16]
	s_delay_alu instid0(VALU_DEP_4) | instskip(NEXT) | instid1(VALU_DEP_4)
	v_fma_f64 v[13:14], -v[52:53], v[56:57], v[13:14]
	v_fma_f64 v[11:12], v[50:51], v[56:57], v[11:12]
	s_delay_alu instid0(VALU_DEP_4) | instskip(NEXT) | instid1(VALU_DEP_4)
	v_fma_f64 v[15:16], -v[60:61], v[56:57], v[17:18]
	v_fma_f64 v[17:18], v[58:59], v[56:57], v[21:22]
	s_cbranch_scc1 .LBB277_23
; %bb.25:                               ;   in Loop: Header=BB277_24 Depth=2
	v_dual_mov_b32 v22, v20 :: v_dual_add_nc_u32 v19, 3, v19
	v_add_nc_u32_e32 v21, 3, v31
	s_add_i32 s4, s4, 4
	s_delay_alu instid0(VALU_DEP_2) | instskip(SKIP_1) | instid1(VALU_DEP_3)
	v_lshlrev_b64 v[23:24], 4, v[19:20]
	v_add_nc_u32_e32 v19, 14, v31
	v_lshlrev_b64 v[21:22], 4, v[21:22]
	s_delay_alu instid0(VALU_DEP_2) | instskip(NEXT) | instid1(VALU_DEP_2)
	v_lshlrev_b64 v[25:26], 4, v[19:20]
	v_add_co_u32 v21, vcc_lo, s8, v21
	s_delay_alu instid0(VALU_DEP_3)
	v_add_co_ci_u32_e32 v22, vcc_lo, s9, v22, vcc_lo
	v_add_co_u32 v27, vcc_lo, s10, v23
	v_add_co_ci_u32_e32 v28, vcc_lo, s11, v24, vcc_lo
	v_add_co_u32 v34, vcc_lo, s8, v25
	v_add_co_ci_u32_e32 v35, vcc_lo, s9, v26, vcc_lo
	global_load_b128 v[21:24], v[21:22], off
	global_load_b128 v[25:28], v[27:28], off
	;; [unrolled: 1-line block ×3, first 2 shown]
	s_waitcnt vmcnt(1)
	v_fma_f64 v[38:39], v[21:22], v[25:26], v[13:14]
	v_fma_f64 v[40:41], v[23:24], v[25:26], v[11:12]
	s_waitcnt vmcnt(0)
	v_fma_f64 v[42:43], v[34:35], v[25:26], v[15:16]
	v_fma_f64 v[44:45], v[36:37], v[25:26], v[17:18]
	s_delay_alu instid0(VALU_DEP_4) | instskip(NEXT) | instid1(VALU_DEP_4)
	v_fma_f64 v[23:24], -v[23:24], v[27:28], v[38:39]
	v_fma_f64 v[21:22], v[21:22], v[27:28], v[40:41]
	s_delay_alu instid0(VALU_DEP_4) | instskip(NEXT) | instid1(VALU_DEP_4)
	v_fma_f64 v[25:26], -v[36:37], v[27:28], v[42:43]
	v_fma_f64 v[27:28], v[34:35], v[27:28], v[44:45]
	s_cbranch_execnz .LBB277_24
	s_branch .LBB277_21
.LBB277_26:
	s_or_b32 exec_lo, exec_lo, s0
.LBB277_27:
	s_delay_alu instid0(SALU_CYCLE_1)
	s_or_b32 exec_lo, exec_lo, s1
.LBB277_28:
	v_mbcnt_lo_u32_b32 v25, -1, 0
	s_delay_alu instid0(VALU_DEP_1) | instskip(NEXT) | instid1(VALU_DEP_1)
	v_or_b32_e32 v9, 32, v25
	v_cmp_gt_i32_e32 vcc_lo, 32, v9
	v_cndmask_b32_e32 v9, v25, v9, vcc_lo
	s_delay_alu instid0(VALU_DEP_1)
	v_lshlrev_b32_e32 v24, 2, v9
	ds_bpermute_b32 v9, v24, v13
	ds_bpermute_b32 v10, v24, v14
	;; [unrolled: 1-line block ×8, first 2 shown]
	s_waitcnt lgkmcnt(6)
	v_add_f64 v[9:10], v[13:14], v[9:10]
	s_waitcnt lgkmcnt(4)
	v_add_f64 v[11:12], v[11:12], v[19:20]
	;; [unrolled: 2-line block ×4, first 2 shown]
	v_xor_b32_e32 v17, 16, v25
	s_delay_alu instid0(VALU_DEP_1) | instskip(SKIP_1) | instid1(VALU_DEP_1)
	v_cmp_gt_i32_e32 vcc_lo, 32, v17
	v_cndmask_b32_e32 v17, v25, v17, vcc_lo
	v_lshlrev_b32_e32 v24, 2, v17
	ds_bpermute_b32 v17, v24, v9
	ds_bpermute_b32 v18, v24, v10
	ds_bpermute_b32 v19, v24, v11
	ds_bpermute_b32 v20, v24, v12
	ds_bpermute_b32 v21, v24, v13
	ds_bpermute_b32 v22, v24, v14
	ds_bpermute_b32 v23, v24, v15
	ds_bpermute_b32 v24, v24, v16
	s_waitcnt lgkmcnt(6)
	v_add_f64 v[9:10], v[9:10], v[17:18]
	v_xor_b32_e32 v17, 8, v25
	s_waitcnt lgkmcnt(4)
	v_add_f64 v[11:12], v[11:12], v[19:20]
	s_waitcnt lgkmcnt(2)
	v_add_f64 v[13:14], v[13:14], v[21:22]
	;; [unrolled: 2-line block ×3, first 2 shown]
	v_cmp_gt_i32_e32 vcc_lo, 32, v17
	v_cndmask_b32_e32 v17, v25, v17, vcc_lo
	s_delay_alu instid0(VALU_DEP_1)
	v_lshlrev_b32_e32 v24, 2, v17
	ds_bpermute_b32 v17, v24, v9
	ds_bpermute_b32 v18, v24, v10
	;; [unrolled: 1-line block ×8, first 2 shown]
	s_waitcnt lgkmcnt(6)
	v_add_f64 v[9:10], v[9:10], v[17:18]
	v_xor_b32_e32 v17, 4, v25
	s_waitcnt lgkmcnt(4)
	v_add_f64 v[11:12], v[11:12], v[19:20]
	s_waitcnt lgkmcnt(2)
	v_add_f64 v[13:14], v[13:14], v[21:22]
	;; [unrolled: 2-line block ×3, first 2 shown]
	v_cmp_gt_i32_e32 vcc_lo, 32, v17
	v_cndmask_b32_e32 v17, v25, v17, vcc_lo
	s_delay_alu instid0(VALU_DEP_1)
	v_lshlrev_b32_e32 v24, 2, v17
	ds_bpermute_b32 v17, v24, v9
	ds_bpermute_b32 v18, v24, v10
	;; [unrolled: 1-line block ×8, first 2 shown]
	s_waitcnt lgkmcnt(6)
	v_add_f64 v[9:10], v[9:10], v[17:18]
	s_waitcnt lgkmcnt(4)
	v_add_f64 v[11:12], v[11:12], v[19:20]
	;; [unrolled: 2-line block ×4, first 2 shown]
	v_xor_b32_e32 v15, 2, v25
	s_delay_alu instid0(VALU_DEP_1) | instskip(SKIP_1) | instid1(VALU_DEP_1)
	v_cmp_gt_i32_e32 vcc_lo, 32, v15
	v_cndmask_b32_e32 v15, v25, v15, vcc_lo
	v_lshlrev_b32_e32 v24, 2, v15
	ds_bpermute_b32 v15, v24, v9
	ds_bpermute_b32 v16, v24, v10
	;; [unrolled: 1-line block ×8, first 2 shown]
	s_waitcnt lgkmcnt(6)
	v_add_f64 v[9:10], v[9:10], v[15:16]
	s_waitcnt lgkmcnt(4)
	v_add_f64 v[15:16], v[11:12], v[19:20]
	;; [unrolled: 2-line block ×4, first 2 shown]
	v_xor_b32_e32 v17, 1, v25
	s_delay_alu instid0(VALU_DEP_1) | instskip(SKIP_2) | instid1(VALU_DEP_2)
	v_cmp_gt_i32_e32 vcc_lo, 32, v17
	v_cndmask_b32_e32 v17, v25, v17, vcc_lo
	v_cmp_eq_u32_e32 vcc_lo, 63, v32
	v_lshlrev_b32_e32 v20, 2, v17
	ds_bpermute_b32 v23, v20, v9
	ds_bpermute_b32 v24, v20, v10
	;; [unrolled: 1-line block ×8, first 2 shown]
	s_and_b32 exec_lo, exec_lo, vcc_lo
	s_cbranch_execz .LBB277_33
; %bb.29:
	v_cmp_eq_f64_e32 vcc_lo, 0, v[4:5]
	v_cmp_eq_f64_e64 s0, 0, v[6:7]
	s_waitcnt lgkmcnt(6)
	v_add_f64 v[9:10], v[9:10], v[23:24]
	s_waitcnt lgkmcnt(4)
	v_add_f64 v[15:16], v[15:16], v[21:22]
	;; [unrolled: 2-line block ×4, first 2 shown]
	s_load_b64 s[2:3], s[2:3], 0x48
	s_and_b32 s0, vcc_lo, s0
	s_delay_alu instid0(SALU_CYCLE_1) | instskip(NEXT) | instid1(SALU_CYCLE_1)
	s_and_saveexec_b32 s1, s0
	s_xor_b32 s0, exec_lo, s1
	s_cbranch_execz .LBB277_31
; %bb.30:
	s_delay_alu instid0(VALU_DEP_3) | instskip(SKIP_1) | instid1(VALU_DEP_3)
	v_mul_f64 v[4:5], v[15:16], -v[2:3]
	v_mul_f64 v[6:7], v[0:1], v[15:16]
	v_mul_f64 v[15:16], v[13:14], -v[2:3]
	v_mul_f64 v[13:14], v[0:1], v[13:14]
	v_lshlrev_b32_e32 v8, 1, v8
	v_fma_f64 v[4:5], v[0:1], v[9:10], v[4:5]
	v_fma_f64 v[6:7], v[2:3], v[9:10], v[6:7]
	;; [unrolled: 1-line block ×4, first 2 shown]
	v_ashrrev_i32_e32 v9, 31, v8
                                        ; implicit-def: $vgpr15_vgpr16
                                        ; implicit-def: $vgpr11_vgpr12
                                        ; implicit-def: $vgpr13_vgpr14
	s_delay_alu instid0(VALU_DEP_1) | instskip(SKIP_1) | instid1(VALU_DEP_1)
	v_lshlrev_b64 v[8:9], 4, v[8:9]
	s_waitcnt lgkmcnt(0)
	v_add_co_u32 v8, vcc_lo, s2, v8
	s_delay_alu instid0(VALU_DEP_2)
	v_add_co_ci_u32_e32 v9, vcc_lo, s3, v9, vcc_lo
	s_clause 0x1
	global_store_b128 v[8:9], v[4:7], off
	global_store_b128 v[8:9], v[0:3], off offset:16
                                        ; implicit-def: $vgpr0_vgpr1
                                        ; implicit-def: $vgpr2_vgpr3
                                        ; implicit-def: $vgpr4_vgpr5
                                        ; implicit-def: $vgpr6_vgpr7
                                        ; implicit-def: $vgpr8
                                        ; implicit-def: $vgpr9_vgpr10
.LBB277_31:
	s_and_not1_saveexec_b32 s0, s0
	s_cbranch_execz .LBB277_33
; %bb.32:
	v_lshlrev_b32_e32 v17, 1, v8
	s_delay_alu instid0(VALU_DEP_4) | instskip(SKIP_1) | instid1(VALU_DEP_4)
	v_mul_f64 v[27:28], v[15:16], -v[2:3]
	v_mul_f64 v[15:16], v[0:1], v[15:16]
	v_mul_f64 v[29:30], v[13:14], -v[2:3]
	v_mul_f64 v[13:14], v[0:1], v[13:14]
	v_ashrrev_i32_e32 v18, 31, v17
	s_delay_alu instid0(VALU_DEP_1) | instskip(SKIP_1) | instid1(VALU_DEP_1)
	v_lshlrev_b64 v[17:18], 4, v[17:18]
	s_waitcnt lgkmcnt(0)
	v_add_co_u32 v25, vcc_lo, s2, v17
	s_delay_alu instid0(VALU_DEP_2)
	v_add_co_ci_u32_e32 v26, vcc_lo, s3, v18, vcc_lo
	s_clause 0x1
	global_load_b128 v[17:20], v[25:26], off
	global_load_b128 v[21:24], v[25:26], off offset:16
	v_fma_f64 v[27:28], v[0:1], v[9:10], v[27:28]
	v_fma_f64 v[8:9], v[2:3], v[9:10], v[15:16]
	;; [unrolled: 1-line block ×4, first 2 shown]
	s_waitcnt vmcnt(1)
	s_delay_alu instid0(VALU_DEP_4) | instskip(NEXT) | instid1(VALU_DEP_4)
	v_fma_f64 v[10:11], v[4:5], v[17:18], v[27:28]
	v_fma_f64 v[8:9], v[6:7], v[17:18], v[8:9]
	s_waitcnt vmcnt(0)
	s_delay_alu instid0(VALU_DEP_4) | instskip(NEXT) | instid1(VALU_DEP_4)
	v_fma_f64 v[12:13], v[4:5], v[21:22], v[0:1]
	v_fma_f64 v[14:15], v[6:7], v[21:22], v[2:3]
	s_delay_alu instid0(VALU_DEP_4) | instskip(NEXT) | instid1(VALU_DEP_4)
	v_fma_f64 v[0:1], -v[6:7], v[19:20], v[10:11]
	v_fma_f64 v[2:3], v[4:5], v[19:20], v[8:9]
	s_delay_alu instid0(VALU_DEP_4) | instskip(NEXT) | instid1(VALU_DEP_4)
	v_fma_f64 v[6:7], -v[6:7], v[23:24], v[12:13]
	v_fma_f64 v[8:9], v[4:5], v[23:24], v[14:15]
	s_clause 0x1
	global_store_b128 v[25:26], v[0:3], off
	global_store_b128 v[25:26], v[6:9], off offset:16
.LBB277_33:
	s_nop 0
	s_sendmsg sendmsg(MSG_DEALLOC_VGPRS)
	s_endpgm
	.section	.rodata,"a",@progbits
	.p2align	6, 0x0
	.amdhsa_kernel _ZN9rocsparseL19gebsrmvn_2xn_kernelILj128ELj11ELj64E21rocsparse_complex_numIdEEEvi20rocsparse_direction_NS_24const_host_device_scalarIT2_EEPKiS8_PKS5_SA_S6_PS5_21rocsparse_index_base_b
		.amdhsa_group_segment_fixed_size 2048
		.amdhsa_private_segment_fixed_size 0
		.amdhsa_kernarg_size 88
		.amdhsa_user_sgpr_count 15
		.amdhsa_user_sgpr_dispatch_ptr 1
		.amdhsa_user_sgpr_queue_ptr 0
		.amdhsa_user_sgpr_kernarg_segment_ptr 1
		.amdhsa_user_sgpr_dispatch_id 0
		.amdhsa_user_sgpr_private_segment_size 0
		.amdhsa_wavefront_size32 1
		.amdhsa_uses_dynamic_stack 0
		.amdhsa_enable_private_segment 0
		.amdhsa_system_sgpr_workgroup_id_x 1
		.amdhsa_system_sgpr_workgroup_id_y 0
		.amdhsa_system_sgpr_workgroup_id_z 0
		.amdhsa_system_sgpr_workgroup_info 0
		.amdhsa_system_vgpr_workitem_id 2
		.amdhsa_next_free_vgpr 64
		.amdhsa_next_free_sgpr 18
		.amdhsa_reserve_vcc 1
		.amdhsa_float_round_mode_32 0
		.amdhsa_float_round_mode_16_64 0
		.amdhsa_float_denorm_mode_32 3
		.amdhsa_float_denorm_mode_16_64 3
		.amdhsa_dx10_clamp 1
		.amdhsa_ieee_mode 1
		.amdhsa_fp16_overflow 0
		.amdhsa_workgroup_processor_mode 1
		.amdhsa_memory_ordered 1
		.amdhsa_forward_progress 0
		.amdhsa_shared_vgpr_count 0
		.amdhsa_exception_fp_ieee_invalid_op 0
		.amdhsa_exception_fp_denorm_src 0
		.amdhsa_exception_fp_ieee_div_zero 0
		.amdhsa_exception_fp_ieee_overflow 0
		.amdhsa_exception_fp_ieee_underflow 0
		.amdhsa_exception_fp_ieee_inexact 0
		.amdhsa_exception_int_div_zero 0
	.end_amdhsa_kernel
	.section	.text._ZN9rocsparseL19gebsrmvn_2xn_kernelILj128ELj11ELj64E21rocsparse_complex_numIdEEEvi20rocsparse_direction_NS_24const_host_device_scalarIT2_EEPKiS8_PKS5_SA_S6_PS5_21rocsparse_index_base_b,"axG",@progbits,_ZN9rocsparseL19gebsrmvn_2xn_kernelILj128ELj11ELj64E21rocsparse_complex_numIdEEEvi20rocsparse_direction_NS_24const_host_device_scalarIT2_EEPKiS8_PKS5_SA_S6_PS5_21rocsparse_index_base_b,comdat
.Lfunc_end277:
	.size	_ZN9rocsparseL19gebsrmvn_2xn_kernelILj128ELj11ELj64E21rocsparse_complex_numIdEEEvi20rocsparse_direction_NS_24const_host_device_scalarIT2_EEPKiS8_PKS5_SA_S6_PS5_21rocsparse_index_base_b, .Lfunc_end277-_ZN9rocsparseL19gebsrmvn_2xn_kernelILj128ELj11ELj64E21rocsparse_complex_numIdEEEvi20rocsparse_direction_NS_24const_host_device_scalarIT2_EEPKiS8_PKS5_SA_S6_PS5_21rocsparse_index_base_b
                                        ; -- End function
	.section	.AMDGPU.csdata,"",@progbits
; Kernel info:
; codeLenInByte = 3716
; NumSgprs: 20
; NumVgprs: 64
; ScratchSize: 0
; MemoryBound: 0
; FloatMode: 240
; IeeeMode: 1
; LDSByteSize: 2048 bytes/workgroup (compile time only)
; SGPRBlocks: 2
; VGPRBlocks: 7
; NumSGPRsForWavesPerEU: 20
; NumVGPRsForWavesPerEU: 64
; Occupancy: 16
; WaveLimiterHint : 1
; COMPUTE_PGM_RSRC2:SCRATCH_EN: 0
; COMPUTE_PGM_RSRC2:USER_SGPR: 15
; COMPUTE_PGM_RSRC2:TRAP_HANDLER: 0
; COMPUTE_PGM_RSRC2:TGID_X_EN: 1
; COMPUTE_PGM_RSRC2:TGID_Y_EN: 0
; COMPUTE_PGM_RSRC2:TGID_Z_EN: 0
; COMPUTE_PGM_RSRC2:TIDIG_COMP_CNT: 2
	.section	.text._ZN9rocsparseL19gebsrmvn_2xn_kernelILj128ELj12ELj4E21rocsparse_complex_numIdEEEvi20rocsparse_direction_NS_24const_host_device_scalarIT2_EEPKiS8_PKS5_SA_S6_PS5_21rocsparse_index_base_b,"axG",@progbits,_ZN9rocsparseL19gebsrmvn_2xn_kernelILj128ELj12ELj4E21rocsparse_complex_numIdEEEvi20rocsparse_direction_NS_24const_host_device_scalarIT2_EEPKiS8_PKS5_SA_S6_PS5_21rocsparse_index_base_b,comdat
	.globl	_ZN9rocsparseL19gebsrmvn_2xn_kernelILj128ELj12ELj4E21rocsparse_complex_numIdEEEvi20rocsparse_direction_NS_24const_host_device_scalarIT2_EEPKiS8_PKS5_SA_S6_PS5_21rocsparse_index_base_b ; -- Begin function _ZN9rocsparseL19gebsrmvn_2xn_kernelILj128ELj12ELj4E21rocsparse_complex_numIdEEEvi20rocsparse_direction_NS_24const_host_device_scalarIT2_EEPKiS8_PKS5_SA_S6_PS5_21rocsparse_index_base_b
	.p2align	8
	.type	_ZN9rocsparseL19gebsrmvn_2xn_kernelILj128ELj12ELj4E21rocsparse_complex_numIdEEEvi20rocsparse_direction_NS_24const_host_device_scalarIT2_EEPKiS8_PKS5_SA_S6_PS5_21rocsparse_index_base_b,@function
_ZN9rocsparseL19gebsrmvn_2xn_kernelILj128ELj12ELj4E21rocsparse_complex_numIdEEEvi20rocsparse_direction_NS_24const_host_device_scalarIT2_EEPKiS8_PKS5_SA_S6_PS5_21rocsparse_index_base_b: ; @_ZN9rocsparseL19gebsrmvn_2xn_kernelILj128ELj12ELj4E21rocsparse_complex_numIdEEEvi20rocsparse_direction_NS_24const_host_device_scalarIT2_EEPKiS8_PKS5_SA_S6_PS5_21rocsparse_index_base_b
; %bb.0:
	s_load_b64 s[12:13], s[2:3], 0x50
	s_load_b64 s[16:17], s[0:1], 0x4
	s_load_b128 s[8:11], s[2:3], 0x8
	v_bfe_u32 v1, v0, 10, 10
	s_mov_b64 s[0:1], src_shared_base
	s_load_b128 s[4:7], s[2:3], 0x38
	v_and_b32_e32 v12, 0x3ff, v0
	v_bfe_u32 v0, v0, 20, 10
	s_waitcnt lgkmcnt(0)
	s_bitcmp1_b32 s13, 0
	v_mul_u32_u24_e32 v1, s17, v1
	s_cselect_b32 s0, -1, 0
	s_delay_alu instid0(SALU_CYCLE_1)
	s_and_b32 vcc_lo, s0, exec_lo
	s_cselect_b32 s13, s1, s9
	s_lshr_b32 s14, s16, 16
	v_dual_mov_b32 v2, s4 :: v_dual_mov_b32 v3, s5
	s_mul_i32 s14, s14, s17
	v_mov_b32_e32 v6, s13
	v_mad_u32_u24 v1, s14, v12, v1
	s_delay_alu instid0(VALU_DEP_1) | instskip(SKIP_1) | instid1(VALU_DEP_2)
	v_add_lshl_u32 v4, v1, v0, 3
	v_dual_mov_b32 v0, s8 :: v_dual_mov_b32 v1, s9
	v_add_nc_u32_e32 v5, 0x400, v4
	ds_store_2addr_stride64_b64 v4, v[2:3], v[0:1] offset1:2
	v_dual_mov_b32 v2, s10 :: v_dual_mov_b32 v3, s11
	v_cndmask_b32_e64 v5, s8, v5, s0
	s_xor_b32 s10, s0, -1
	flat_load_b64 v[0:1], v[5:6]
	s_cbranch_vccnz .LBB278_2
; %bb.1:
	v_dual_mov_b32 v2, s8 :: v_dual_mov_b32 v3, s9
	flat_load_b64 v[2:3], v[2:3] offset:8
.LBB278_2:
	s_and_b32 s8, s0, exec_lo
	s_cselect_b32 s1, s1, s5
	v_cndmask_b32_e64 v4, s4, v4, s0
	v_dual_mov_b32 v5, s1 :: v_dual_mov_b32 v6, s6
	v_mov_b32_e32 v7, s7
	s_and_not1_b32 vcc_lo, exec_lo, s10
	flat_load_b64 v[4:5], v[4:5]
	s_cbranch_vccnz .LBB278_4
; %bb.3:
	v_dual_mov_b32 v7, s5 :: v_dual_mov_b32 v6, s4
	flat_load_b64 v[6:7], v[6:7] offset:8
.LBB278_4:
	s_waitcnt vmcnt(1) lgkmcnt(1)
	v_cmp_eq_f64_e32 vcc_lo, 0, v[0:1]
	v_cmp_eq_f64_e64 s0, 0, v[2:3]
	s_delay_alu instid0(VALU_DEP_1)
	s_and_b32 s4, vcc_lo, s0
	s_mov_b32 s0, -1
	s_and_saveexec_b32 s1, s4
	s_cbranch_execz .LBB278_6
; %bb.5:
	s_waitcnt vmcnt(0) lgkmcnt(0)
	v_cmp_neq_f64_e32 vcc_lo, 1.0, v[4:5]
	v_cmp_neq_f64_e64 s0, 0, v[6:7]
	s_delay_alu instid0(VALU_DEP_1) | instskip(NEXT) | instid1(SALU_CYCLE_1)
	s_or_b32 s0, vcc_lo, s0
	s_or_not1_b32 s0, s0, exec_lo
.LBB278_6:
	s_or_b32 exec_lo, exec_lo, s1
	s_and_saveexec_b32 s1, s0
	s_cbranch_execz .LBB278_29
; %bb.7:
	s_load_b64 s[0:1], s[2:3], 0x0
	v_lshrrev_b32_e32 v8, 2, v12
	s_delay_alu instid0(VALU_DEP_1) | instskip(SKIP_1) | instid1(VALU_DEP_1)
	v_lshl_or_b32 v8, s15, 5, v8
	s_waitcnt lgkmcnt(0)
	v_cmp_gt_i32_e32 vcc_lo, s0, v8
	s_and_b32 exec_lo, exec_lo, vcc_lo
	s_cbranch_execz .LBB278_29
; %bb.8:
	s_load_b256 s[4:11], s[2:3], 0x18
	v_ashrrev_i32_e32 v9, 31, v8
	v_and_b32_e32 v25, 3, v12
	s_cmp_lg_u32 s1, 0
	s_delay_alu instid0(VALU_DEP_2) | instskip(SKIP_1) | instid1(VALU_DEP_1)
	v_lshlrev_b64 v[9:10], 2, v[8:9]
	s_waitcnt lgkmcnt(0)
	v_add_co_u32 v9, vcc_lo, s4, v9
	s_delay_alu instid0(VALU_DEP_2) | instskip(SKIP_4) | instid1(VALU_DEP_2)
	v_add_co_ci_u32_e32 v10, vcc_lo, s5, v10, vcc_lo
	global_load_b64 v[10:11], v[9:10], off
	s_waitcnt vmcnt(0)
	v_subrev_nc_u32_e32 v9, s12, v10
	v_subrev_nc_u32_e32 v24, s12, v11
	v_add_nc_u32_e32 v9, v9, v25
	s_delay_alu instid0(VALU_DEP_1)
	v_cmp_lt_i32_e64 s0, v9, v24
	s_cbranch_scc0 .LBB278_16
; %bb.9:
	v_mov_b32_e32 v11, 0
	v_mov_b32_e32 v12, 0
	s_delay_alu instid0(VALU_DEP_1)
	v_dual_mov_b32 v18, v12 :: v_dual_mov_b32 v17, v11
	v_dual_mov_b32 v14, v12 :: v_dual_mov_b32 v13, v11
	;; [unrolled: 1-line block ×3, first 2 shown]
	s_and_saveexec_b32 s1, s0
	s_cbranch_execz .LBB278_15
; %bb.10:
	v_mul_lo_u32 v13, v10, 24
	v_dual_mov_b32 v11, 0 :: v_dual_mov_b32 v20, 0
	v_dual_mov_b32 v12, 0 :: v_dual_mov_b32 v21, v9
	v_mul_lo_u32 v26, v9, 24
	s_mul_i32 s4, s12, 24
	s_delay_alu instid0(VALU_DEP_2) | instskip(SKIP_2) | instid1(VALU_DEP_2)
	v_dual_mov_b32 v18, v12 :: v_dual_mov_b32 v17, v11
	v_mad_u32_u24 v15, v25, 24, v13
	v_dual_mov_b32 v14, v12 :: v_dual_mov_b32 v13, v11
	v_subrev_nc_u32_e32 v27, s4, v15
	v_dual_mov_b32 v16, v12 :: v_dual_mov_b32 v15, v11
	s_mov_b32 s4, 0
.LBB278_11:                             ; =>This Loop Header: Depth=1
                                        ;     Child Loop BB278_12 Depth 2
	v_ashrrev_i32_e32 v22, 31, v21
	s_mov_b32 s5, 0
	s_delay_alu instid0(VALU_DEP_1) | instskip(NEXT) | instid1(VALU_DEP_1)
	v_lshlrev_b64 v[22:23], 2, v[21:22]
	v_add_co_u32 v22, vcc_lo, s6, v22
	s_delay_alu instid0(VALU_DEP_2) | instskip(SKIP_3) | instid1(VALU_DEP_1)
	v_add_co_ci_u32_e32 v23, vcc_lo, s7, v23, vcc_lo
	global_load_b32 v19, v[22:23], off
	s_waitcnt vmcnt(0)
	v_subrev_nc_u32_e32 v19, s12, v19
	v_mul_lo_u32 v22, v19, 12
.LBB278_12:                             ;   Parent Loop BB278_11 Depth=1
                                        ; =>  This Inner Loop Header: Depth=2
	v_add_nc_u32_e32 v19, s5, v27
	v_mov_b32_e32 v23, v20
	s_delay_alu instid0(VALU_DEP_2) | instskip(NEXT) | instid1(VALU_DEP_2)
	v_lshlrev_b64 v[28:29], 4, v[19:20]
	v_lshlrev_b64 v[30:31], 4, v[22:23]
	v_add_nc_u32_e32 v22, 4, v22
	v_add3_u32 v19, v26, s5, 4
	s_add_i32 s5, s5, 8
	s_delay_alu instid0(SALU_CYCLE_1)
	s_cmp_eq_u32 s5, 24
	v_add_co_u32 v48, vcc_lo, s8, v28
	v_add_co_ci_u32_e32 v49, vcc_lo, s9, v29, vcc_lo
	v_add_co_u32 v56, vcc_lo, s10, v30
	v_add_co_ci_u32_e32 v57, vcc_lo, s11, v31, vcc_lo
	global_load_b128 v[28:31], v[48:49], off
	global_load_b128 v[32:35], v[56:57], off
	global_load_b128 v[36:39], v[48:49], off offset:16
	global_load_b128 v[40:43], v[56:57], off offset:16
	s_clause 0x1
	global_load_b128 v[44:47], v[48:49], off offset:32
	global_load_b128 v[48:51], v[48:49], off offset:48
	v_lshlrev_b64 v[52:53], 4, v[19:20]
	s_delay_alu instid0(VALU_DEP_1) | instskip(NEXT) | instid1(VALU_DEP_2)
	v_add_co_u32 v72, vcc_lo, s8, v52
	v_add_co_ci_u32_e32 v73, vcc_lo, s9, v53, vcc_lo
	s_clause 0x1
	global_load_b128 v[52:55], v[56:57], off offset:48
	global_load_b128 v[56:59], v[56:57], off offset:32
	s_clause 0x3
	global_load_b128 v[60:63], v[72:73], off
	global_load_b128 v[64:67], v[72:73], off offset:16
	global_load_b128 v[68:71], v[72:73], off offset:32
	;; [unrolled: 1-line block ×3, first 2 shown]
	s_waitcnt vmcnt(10)
	v_fma_f64 v[17:18], v[28:29], v[32:33], v[17:18]
	v_fma_f64 v[11:12], v[30:31], v[32:33], v[11:12]
	s_waitcnt vmcnt(9)
	v_fma_f64 v[13:14], v[36:37], v[32:33], v[13:14]
	v_fma_f64 v[15:16], v[38:39], v[32:33], v[15:16]
	s_delay_alu instid0(VALU_DEP_4) | instskip(NEXT) | instid1(VALU_DEP_4)
	v_fma_f64 v[17:18], -v[30:31], v[34:35], v[17:18]
	v_fma_f64 v[11:12], v[28:29], v[34:35], v[11:12]
	s_delay_alu instid0(VALU_DEP_4) | instskip(NEXT) | instid1(VALU_DEP_4)
	v_fma_f64 v[13:14], -v[38:39], v[34:35], v[13:14]
	v_fma_f64 v[15:16], v[36:37], v[34:35], v[15:16]
	s_waitcnt vmcnt(7)
	s_delay_alu instid0(VALU_DEP_4) | instskip(NEXT) | instid1(VALU_DEP_4)
	v_fma_f64 v[17:18], v[44:45], v[40:41], v[17:18]
	v_fma_f64 v[11:12], v[46:47], v[40:41], v[11:12]
	s_waitcnt vmcnt(6)
	s_delay_alu instid0(VALU_DEP_4) | instskip(NEXT) | instid1(VALU_DEP_4)
	v_fma_f64 v[13:14], v[48:49], v[40:41], v[13:14]
	v_fma_f64 v[15:16], v[50:51], v[40:41], v[15:16]
	s_delay_alu instid0(VALU_DEP_4) | instskip(NEXT) | instid1(VALU_DEP_4)
	v_fma_f64 v[17:18], -v[46:47], v[42:43], v[17:18]
	v_fma_f64 v[11:12], v[44:45], v[42:43], v[11:12]
	s_delay_alu instid0(VALU_DEP_4) | instskip(NEXT) | instid1(VALU_DEP_4)
	v_fma_f64 v[13:14], -v[50:51], v[42:43], v[13:14]
	v_fma_f64 v[15:16], v[48:49], v[42:43], v[15:16]
	s_waitcnt vmcnt(3)
	s_delay_alu instid0(VALU_DEP_4) | instskip(NEXT) | instid1(VALU_DEP_4)
	v_fma_f64 v[17:18], v[60:61], v[56:57], v[17:18]
	v_fma_f64 v[11:12], v[62:63], v[56:57], v[11:12]
	s_waitcnt vmcnt(2)
	s_delay_alu instid0(VALU_DEP_4) | instskip(NEXT) | instid1(VALU_DEP_4)
	;; [unrolled: 14-line block ×3, first 2 shown]
	v_fma_f64 v[13:14], v[72:73], v[52:53], v[13:14]
	v_fma_f64 v[15:16], v[74:75], v[52:53], v[15:16]
	s_delay_alu instid0(VALU_DEP_4) | instskip(NEXT) | instid1(VALU_DEP_4)
	v_fma_f64 v[17:18], -v[70:71], v[54:55], v[17:18]
	v_fma_f64 v[11:12], v[68:69], v[54:55], v[11:12]
	s_delay_alu instid0(VALU_DEP_4) | instskip(NEXT) | instid1(VALU_DEP_4)
	v_fma_f64 v[13:14], -v[74:75], v[54:55], v[13:14]
	v_fma_f64 v[15:16], v[72:73], v[54:55], v[15:16]
	s_cbranch_scc0 .LBB278_12
; %bb.13:                               ;   in Loop: Header=BB278_11 Depth=1
	v_add_nc_u32_e32 v21, 4, v21
	v_add_nc_u32_e32 v26, 0x60, v26
	;; [unrolled: 1-line block ×3, first 2 shown]
	s_delay_alu instid0(VALU_DEP_3) | instskip(SKIP_1) | instid1(SALU_CYCLE_1)
	v_cmp_ge_i32_e32 vcc_lo, v21, v24
	s_or_b32 s4, vcc_lo, s4
	s_and_not1_b32 exec_lo, exec_lo, s4
	s_cbranch_execnz .LBB278_11
; %bb.14:
	s_or_b32 exec_lo, exec_lo, s4
.LBB278_15:
	s_delay_alu instid0(SALU_CYCLE_1)
	s_or_b32 exec_lo, exec_lo, s1
	s_cbranch_execz .LBB278_17
	s_branch .LBB278_24
.LBB278_16:
                                        ; implicit-def: $vgpr11_vgpr12
                                        ; implicit-def: $vgpr17_vgpr18
                                        ; implicit-def: $vgpr13_vgpr14
                                        ; implicit-def: $vgpr15_vgpr16
.LBB278_17:
	v_mov_b32_e32 v11, 0
	v_mov_b32_e32 v12, 0
	s_delay_alu instid0(VALU_DEP_1)
	v_dual_mov_b32 v18, v12 :: v_dual_mov_b32 v17, v11
	v_dual_mov_b32 v14, v12 :: v_dual_mov_b32 v13, v11
	;; [unrolled: 1-line block ×3, first 2 shown]
	s_and_saveexec_b32 s1, s0
	s_cbranch_execz .LBB278_23
; %bb.18:
	v_mul_lo_u32 v10, v10, 24
	v_dual_mov_b32 v11, 0 :: v_dual_mov_b32 v20, 0
	v_mov_b32_e32 v12, 0
	v_mul_lo_u32 v21, v9, 24
	s_mul_i32 s0, s12, 24
	s_delay_alu instid0(VALU_DEP_2) | instskip(SKIP_3) | instid1(VALU_DEP_3)
	v_dual_mov_b32 v18, v12 :: v_dual_mov_b32 v17, v11
	v_mad_u32_u24 v10, v25, 24, v10
	v_dual_mov_b32 v14, v12 :: v_dual_mov_b32 v13, v11
	v_dual_mov_b32 v16, v12 :: v_dual_mov_b32 v15, v11
	v_subrev_nc_u32_e32 v22, s0, v10
	s_mov_b32 s0, 0
.LBB278_19:                             ; =>This Loop Header: Depth=1
                                        ;     Child Loop BB278_20 Depth 2
	v_ashrrev_i32_e32 v10, 31, v9
	s_mov_b32 s4, 0
	s_delay_alu instid0(VALU_DEP_1) | instskip(NEXT) | instid1(VALU_DEP_1)
	v_lshlrev_b64 v[26:27], 2, v[9:10]
	v_add_co_u32 v26, vcc_lo, s6, v26
	s_delay_alu instid0(VALU_DEP_2) | instskip(SKIP_3) | instid1(VALU_DEP_1)
	v_add_co_ci_u32_e32 v27, vcc_lo, s7, v27, vcc_lo
	global_load_b32 v10, v[26:27], off
	s_waitcnt vmcnt(0)
	v_subrev_nc_u32_e32 v10, s12, v10
	v_mul_lo_u32 v10, v10, 12
.LBB278_20:                             ;   Parent Loop BB278_19 Depth=1
                                        ; =>  This Inner Loop Header: Depth=2
	v_add_nc_u32_e32 v19, s4, v22
	s_delay_alu instid0(VALU_DEP_1) | instskip(NEXT) | instid1(VALU_DEP_3)
	v_lshlrev_b64 v[26:27], 4, v[19:20]
	v_add_nc_u32_e32 v19, s4, v10
	s_delay_alu instid0(VALU_DEP_1) | instskip(SKIP_1) | instid1(VALU_DEP_4)
	v_lshlrev_b64 v[30:31], 4, v[19:20]
	v_add3_u32 v19, v21, s4, 12
	v_add_co_u32 v54, vcc_lo, s8, v26
	v_add_co_ci_u32_e32 v55, vcc_lo, s9, v27, vcc_lo
	s_delay_alu instid0(VALU_DEP_3)
	v_lshlrev_b64 v[32:33], 4, v[19:20]
	v_add_co_u32 v62, vcc_lo, s10, v30
	v_add_co_ci_u32_e32 v63, vcc_lo, s11, v31, vcc_lo
	global_load_b128 v[26:29], v[54:55], off offset:16
	v_add_co_u32 v70, vcc_lo, s8, v32
	v_add_co_ci_u32_e32 v71, vcc_lo, s9, v33, vcc_lo
	global_load_b128 v[30:33], v[54:55], off
	s_clause 0x1
	global_load_b128 v[34:37], v[62:63], off
	global_load_b128 v[38:41], v[62:63], off offset:16
	s_clause 0x3
	global_load_b128 v[42:45], v[70:71], off
	global_load_b128 v[46:49], v[70:71], off offset:16
	global_load_b128 v[50:53], v[54:55], off offset:48
	;; [unrolled: 1-line block ×3, first 2 shown]
	s_clause 0x1
	global_load_b128 v[58:61], v[62:63], off offset:32
	global_load_b128 v[62:65], v[62:63], off offset:48
	s_clause 0x1
	global_load_b128 v[66:69], v[70:71], off offset:32
	global_load_b128 v[70:73], v[70:71], off offset:48
	s_add_i32 s4, s4, 4
	s_delay_alu instid0(SALU_CYCLE_1)
	s_cmp_eq_u32 s4, 12
	s_waitcnt vmcnt(9)
	v_fma_f64 v[17:18], v[30:31], v[34:35], v[17:18]
	v_fma_f64 v[11:12], v[32:33], v[34:35], v[11:12]
	s_waitcnt vmcnt(7)
	v_fma_f64 v[13:14], v[42:43], v[34:35], v[13:14]
	v_fma_f64 v[15:16], v[44:45], v[34:35], v[15:16]
	s_delay_alu instid0(VALU_DEP_4) | instskip(NEXT) | instid1(VALU_DEP_4)
	v_fma_f64 v[17:18], -v[32:33], v[36:37], v[17:18]
	v_fma_f64 v[11:12], v[30:31], v[36:37], v[11:12]
	s_delay_alu instid0(VALU_DEP_4) | instskip(NEXT) | instid1(VALU_DEP_4)
	v_fma_f64 v[13:14], -v[44:45], v[36:37], v[13:14]
	v_fma_f64 v[15:16], v[42:43], v[36:37], v[15:16]
	s_delay_alu instid0(VALU_DEP_4) | instskip(NEXT) | instid1(VALU_DEP_4)
	v_fma_f64 v[17:18], v[26:27], v[38:39], v[17:18]
	v_fma_f64 v[11:12], v[28:29], v[38:39], v[11:12]
	s_waitcnt vmcnt(6)
	s_delay_alu instid0(VALU_DEP_4) | instskip(NEXT) | instid1(VALU_DEP_4)
	v_fma_f64 v[13:14], v[46:47], v[38:39], v[13:14]
	v_fma_f64 v[15:16], v[48:49], v[38:39], v[15:16]
	s_delay_alu instid0(VALU_DEP_4) | instskip(NEXT) | instid1(VALU_DEP_4)
	v_fma_f64 v[17:18], -v[28:29], v[40:41], v[17:18]
	v_fma_f64 v[11:12], v[26:27], v[40:41], v[11:12]
	s_delay_alu instid0(VALU_DEP_4) | instskip(NEXT) | instid1(VALU_DEP_4)
	v_fma_f64 v[13:14], -v[48:49], v[40:41], v[13:14]
	v_fma_f64 v[15:16], v[46:47], v[40:41], v[15:16]
	s_waitcnt vmcnt(3)
	s_delay_alu instid0(VALU_DEP_4) | instskip(NEXT) | instid1(VALU_DEP_4)
	v_fma_f64 v[17:18], v[54:55], v[58:59], v[17:18]
	v_fma_f64 v[11:12], v[56:57], v[58:59], v[11:12]
	s_waitcnt vmcnt(1)
	s_delay_alu instid0(VALU_DEP_4) | instskip(NEXT) | instid1(VALU_DEP_4)
	v_fma_f64 v[13:14], v[66:67], v[58:59], v[13:14]
	v_fma_f64 v[15:16], v[68:69], v[58:59], v[15:16]
	s_delay_alu instid0(VALU_DEP_4) | instskip(NEXT) | instid1(VALU_DEP_4)
	v_fma_f64 v[17:18], -v[56:57], v[60:61], v[17:18]
	v_fma_f64 v[11:12], v[54:55], v[60:61], v[11:12]
	s_delay_alu instid0(VALU_DEP_4) | instskip(NEXT) | instid1(VALU_DEP_4)
	v_fma_f64 v[13:14], -v[68:69], v[60:61], v[13:14]
	v_fma_f64 v[15:16], v[66:67], v[60:61], v[15:16]
	s_delay_alu instid0(VALU_DEP_4) | instskip(NEXT) | instid1(VALU_DEP_4)
	v_fma_f64 v[17:18], v[50:51], v[62:63], v[17:18]
	v_fma_f64 v[11:12], v[52:53], v[62:63], v[11:12]
	s_waitcnt vmcnt(0)
	s_delay_alu instid0(VALU_DEP_4) | instskip(NEXT) | instid1(VALU_DEP_4)
	v_fma_f64 v[13:14], v[70:71], v[62:63], v[13:14]
	v_fma_f64 v[15:16], v[72:73], v[62:63], v[15:16]
	s_delay_alu instid0(VALU_DEP_4) | instskip(NEXT) | instid1(VALU_DEP_4)
	v_fma_f64 v[17:18], -v[52:53], v[64:65], v[17:18]
	v_fma_f64 v[11:12], v[50:51], v[64:65], v[11:12]
	s_delay_alu instid0(VALU_DEP_4) | instskip(NEXT) | instid1(VALU_DEP_4)
	v_fma_f64 v[13:14], -v[72:73], v[64:65], v[13:14]
	v_fma_f64 v[15:16], v[70:71], v[64:65], v[15:16]
	s_cbranch_scc0 .LBB278_20
; %bb.21:                               ;   in Loop: Header=BB278_19 Depth=1
	v_add_nc_u32_e32 v9, 4, v9
	v_add_nc_u32_e32 v21, 0x60, v21
	;; [unrolled: 1-line block ×3, first 2 shown]
	s_delay_alu instid0(VALU_DEP_3) | instskip(SKIP_1) | instid1(SALU_CYCLE_1)
	v_cmp_ge_i32_e32 vcc_lo, v9, v24
	s_or_b32 s0, vcc_lo, s0
	s_and_not1_b32 exec_lo, exec_lo, s0
	s_cbranch_execnz .LBB278_19
; %bb.22:
	s_or_b32 exec_lo, exec_lo, s0
.LBB278_23:
	s_delay_alu instid0(SALU_CYCLE_1)
	s_or_b32 exec_lo, exec_lo, s1
.LBB278_24:
	v_mbcnt_lo_u32_b32 v26, -1, 0
	s_delay_alu instid0(VALU_DEP_1) | instskip(NEXT) | instid1(VALU_DEP_1)
	v_xor_b32_e32 v9, 2, v26
	v_cmp_gt_i32_e32 vcc_lo, 32, v9
	v_cndmask_b32_e32 v9, v26, v9, vcc_lo
	s_delay_alu instid0(VALU_DEP_1)
	v_lshlrev_b32_e32 v24, 2, v9
	ds_bpermute_b32 v9, v24, v17
	ds_bpermute_b32 v10, v24, v18
	;; [unrolled: 1-line block ×8, first 2 shown]
	s_waitcnt lgkmcnt(6)
	v_add_f64 v[9:10], v[17:18], v[9:10]
	s_waitcnt lgkmcnt(4)
	v_add_f64 v[17:18], v[11:12], v[19:20]
	;; [unrolled: 2-line block ×4, first 2 shown]
	v_xor_b32_e32 v15, 1, v26
	s_delay_alu instid0(VALU_DEP_1) | instskip(SKIP_2) | instid1(VALU_DEP_2)
	v_cmp_gt_i32_e32 vcc_lo, 32, v15
	v_cndmask_b32_e32 v15, v26, v15, vcc_lo
	v_cmp_eq_u32_e32 vcc_lo, 3, v25
	v_lshlrev_b32_e32 v22, 2, v15
	ds_bpermute_b32 v23, v22, v9
	ds_bpermute_b32 v24, v22, v10
	;; [unrolled: 1-line block ×8, first 2 shown]
	s_and_b32 exec_lo, exec_lo, vcc_lo
	s_cbranch_execz .LBB278_29
; %bb.25:
	v_cmp_eq_f64_e32 vcc_lo, 0, v[4:5]
	v_cmp_eq_f64_e64 s0, 0, v[6:7]
	s_waitcnt lgkmcnt(6)
	v_add_f64 v[9:10], v[9:10], v[23:24]
	s_waitcnt lgkmcnt(4)
	v_add_f64 v[15:16], v[17:18], v[15:16]
	;; [unrolled: 2-line block ×4, first 2 shown]
	s_load_b64 s[2:3], s[2:3], 0x48
	s_and_b32 s0, vcc_lo, s0
	s_delay_alu instid0(SALU_CYCLE_1) | instskip(NEXT) | instid1(SALU_CYCLE_1)
	s_and_saveexec_b32 s1, s0
	s_xor_b32 s0, exec_lo, s1
	s_cbranch_execz .LBB278_27
; %bb.26:
	s_delay_alu instid0(VALU_DEP_3) | instskip(SKIP_1) | instid1(VALU_DEP_3)
	v_mul_f64 v[4:5], v[15:16], -v[2:3]
	v_mul_f64 v[6:7], v[0:1], v[15:16]
	v_mul_f64 v[15:16], v[13:14], -v[2:3]
	v_mul_f64 v[13:14], v[0:1], v[13:14]
	v_lshlrev_b32_e32 v8, 1, v8
	v_fma_f64 v[4:5], v[0:1], v[9:10], v[4:5]
	v_fma_f64 v[6:7], v[2:3], v[9:10], v[6:7]
	;; [unrolled: 1-line block ×4, first 2 shown]
	v_ashrrev_i32_e32 v9, 31, v8
                                        ; implicit-def: $vgpr15_vgpr16
                                        ; implicit-def: $vgpr11_vgpr12
                                        ; implicit-def: $vgpr13_vgpr14
	s_delay_alu instid0(VALU_DEP_1) | instskip(SKIP_1) | instid1(VALU_DEP_1)
	v_lshlrev_b64 v[8:9], 4, v[8:9]
	s_waitcnt lgkmcnt(0)
	v_add_co_u32 v8, vcc_lo, s2, v8
	s_delay_alu instid0(VALU_DEP_2)
	v_add_co_ci_u32_e32 v9, vcc_lo, s3, v9, vcc_lo
	s_clause 0x1
	global_store_b128 v[8:9], v[4:7], off
	global_store_b128 v[8:9], v[0:3], off offset:16
                                        ; implicit-def: $vgpr0_vgpr1
                                        ; implicit-def: $vgpr2_vgpr3
                                        ; implicit-def: $vgpr4_vgpr5
                                        ; implicit-def: $vgpr6_vgpr7
                                        ; implicit-def: $vgpr8
                                        ; implicit-def: $vgpr9_vgpr10
.LBB278_27:
	s_and_not1_saveexec_b32 s0, s0
	s_cbranch_execz .LBB278_29
; %bb.28:
	v_lshlrev_b32_e32 v17, 1, v8
	s_delay_alu instid0(VALU_DEP_4) | instskip(SKIP_1) | instid1(VALU_DEP_4)
	v_mul_f64 v[27:28], v[15:16], -v[2:3]
	v_mul_f64 v[15:16], v[0:1], v[15:16]
	v_mul_f64 v[29:30], v[13:14], -v[2:3]
	v_mul_f64 v[13:14], v[0:1], v[13:14]
	v_ashrrev_i32_e32 v18, 31, v17
	s_delay_alu instid0(VALU_DEP_1) | instskip(SKIP_1) | instid1(VALU_DEP_1)
	v_lshlrev_b64 v[17:18], 4, v[17:18]
	s_waitcnt lgkmcnt(0)
	v_add_co_u32 v25, vcc_lo, s2, v17
	s_delay_alu instid0(VALU_DEP_2)
	v_add_co_ci_u32_e32 v26, vcc_lo, s3, v18, vcc_lo
	s_clause 0x1
	global_load_b128 v[17:20], v[25:26], off
	global_load_b128 v[21:24], v[25:26], off offset:16
	v_fma_f64 v[27:28], v[0:1], v[9:10], v[27:28]
	v_fma_f64 v[8:9], v[2:3], v[9:10], v[15:16]
	;; [unrolled: 1-line block ×4, first 2 shown]
	s_waitcnt vmcnt(1)
	s_delay_alu instid0(VALU_DEP_4) | instskip(NEXT) | instid1(VALU_DEP_4)
	v_fma_f64 v[10:11], v[4:5], v[17:18], v[27:28]
	v_fma_f64 v[8:9], v[6:7], v[17:18], v[8:9]
	s_waitcnt vmcnt(0)
	s_delay_alu instid0(VALU_DEP_4) | instskip(NEXT) | instid1(VALU_DEP_4)
	v_fma_f64 v[12:13], v[4:5], v[21:22], v[0:1]
	v_fma_f64 v[14:15], v[6:7], v[21:22], v[2:3]
	s_delay_alu instid0(VALU_DEP_4) | instskip(NEXT) | instid1(VALU_DEP_4)
	v_fma_f64 v[0:1], -v[6:7], v[19:20], v[10:11]
	v_fma_f64 v[2:3], v[4:5], v[19:20], v[8:9]
	s_delay_alu instid0(VALU_DEP_4) | instskip(NEXT) | instid1(VALU_DEP_4)
	v_fma_f64 v[6:7], -v[6:7], v[23:24], v[12:13]
	v_fma_f64 v[8:9], v[4:5], v[23:24], v[14:15]
	s_clause 0x1
	global_store_b128 v[25:26], v[0:3], off
	global_store_b128 v[25:26], v[6:9], off offset:16
.LBB278_29:
	s_nop 0
	s_sendmsg sendmsg(MSG_DEALLOC_VGPRS)
	s_endpgm
	.section	.rodata,"a",@progbits
	.p2align	6, 0x0
	.amdhsa_kernel _ZN9rocsparseL19gebsrmvn_2xn_kernelILj128ELj12ELj4E21rocsparse_complex_numIdEEEvi20rocsparse_direction_NS_24const_host_device_scalarIT2_EEPKiS8_PKS5_SA_S6_PS5_21rocsparse_index_base_b
		.amdhsa_group_segment_fixed_size 2048
		.amdhsa_private_segment_fixed_size 0
		.amdhsa_kernarg_size 88
		.amdhsa_user_sgpr_count 15
		.amdhsa_user_sgpr_dispatch_ptr 1
		.amdhsa_user_sgpr_queue_ptr 0
		.amdhsa_user_sgpr_kernarg_segment_ptr 1
		.amdhsa_user_sgpr_dispatch_id 0
		.amdhsa_user_sgpr_private_segment_size 0
		.amdhsa_wavefront_size32 1
		.amdhsa_uses_dynamic_stack 0
		.amdhsa_enable_private_segment 0
		.amdhsa_system_sgpr_workgroup_id_x 1
		.amdhsa_system_sgpr_workgroup_id_y 0
		.amdhsa_system_sgpr_workgroup_id_z 0
		.amdhsa_system_sgpr_workgroup_info 0
		.amdhsa_system_vgpr_workitem_id 2
		.amdhsa_next_free_vgpr 76
		.amdhsa_next_free_sgpr 18
		.amdhsa_reserve_vcc 1
		.amdhsa_float_round_mode_32 0
		.amdhsa_float_round_mode_16_64 0
		.amdhsa_float_denorm_mode_32 3
		.amdhsa_float_denorm_mode_16_64 3
		.amdhsa_dx10_clamp 1
		.amdhsa_ieee_mode 1
		.amdhsa_fp16_overflow 0
		.amdhsa_workgroup_processor_mode 1
		.amdhsa_memory_ordered 1
		.amdhsa_forward_progress 0
		.amdhsa_shared_vgpr_count 0
		.amdhsa_exception_fp_ieee_invalid_op 0
		.amdhsa_exception_fp_denorm_src 0
		.amdhsa_exception_fp_ieee_div_zero 0
		.amdhsa_exception_fp_ieee_overflow 0
		.amdhsa_exception_fp_ieee_underflow 0
		.amdhsa_exception_fp_ieee_inexact 0
		.amdhsa_exception_int_div_zero 0
	.end_amdhsa_kernel
	.section	.text._ZN9rocsparseL19gebsrmvn_2xn_kernelILj128ELj12ELj4E21rocsparse_complex_numIdEEEvi20rocsparse_direction_NS_24const_host_device_scalarIT2_EEPKiS8_PKS5_SA_S6_PS5_21rocsparse_index_base_b,"axG",@progbits,_ZN9rocsparseL19gebsrmvn_2xn_kernelILj128ELj12ELj4E21rocsparse_complex_numIdEEEvi20rocsparse_direction_NS_24const_host_device_scalarIT2_EEPKiS8_PKS5_SA_S6_PS5_21rocsparse_index_base_b,comdat
.Lfunc_end278:
	.size	_ZN9rocsparseL19gebsrmvn_2xn_kernelILj128ELj12ELj4E21rocsparse_complex_numIdEEEvi20rocsparse_direction_NS_24const_host_device_scalarIT2_EEPKiS8_PKS5_SA_S6_PS5_21rocsparse_index_base_b, .Lfunc_end278-_ZN9rocsparseL19gebsrmvn_2xn_kernelILj128ELj12ELj4E21rocsparse_complex_numIdEEEvi20rocsparse_direction_NS_24const_host_device_scalarIT2_EEPKiS8_PKS5_SA_S6_PS5_21rocsparse_index_base_b
                                        ; -- End function
	.section	.AMDGPU.csdata,"",@progbits
; Kernel info:
; codeLenInByte = 2764
; NumSgprs: 20
; NumVgprs: 76
; ScratchSize: 0
; MemoryBound: 1
; FloatMode: 240
; IeeeMode: 1
; LDSByteSize: 2048 bytes/workgroup (compile time only)
; SGPRBlocks: 2
; VGPRBlocks: 9
; NumSGPRsForWavesPerEU: 20
; NumVGPRsForWavesPerEU: 76
; Occupancy: 16
; WaveLimiterHint : 1
; COMPUTE_PGM_RSRC2:SCRATCH_EN: 0
; COMPUTE_PGM_RSRC2:USER_SGPR: 15
; COMPUTE_PGM_RSRC2:TRAP_HANDLER: 0
; COMPUTE_PGM_RSRC2:TGID_X_EN: 1
; COMPUTE_PGM_RSRC2:TGID_Y_EN: 0
; COMPUTE_PGM_RSRC2:TGID_Z_EN: 0
; COMPUTE_PGM_RSRC2:TIDIG_COMP_CNT: 2
	.section	.text._ZN9rocsparseL19gebsrmvn_2xn_kernelILj128ELj12ELj8E21rocsparse_complex_numIdEEEvi20rocsparse_direction_NS_24const_host_device_scalarIT2_EEPKiS8_PKS5_SA_S6_PS5_21rocsparse_index_base_b,"axG",@progbits,_ZN9rocsparseL19gebsrmvn_2xn_kernelILj128ELj12ELj8E21rocsparse_complex_numIdEEEvi20rocsparse_direction_NS_24const_host_device_scalarIT2_EEPKiS8_PKS5_SA_S6_PS5_21rocsparse_index_base_b,comdat
	.globl	_ZN9rocsparseL19gebsrmvn_2xn_kernelILj128ELj12ELj8E21rocsparse_complex_numIdEEEvi20rocsparse_direction_NS_24const_host_device_scalarIT2_EEPKiS8_PKS5_SA_S6_PS5_21rocsparse_index_base_b ; -- Begin function _ZN9rocsparseL19gebsrmvn_2xn_kernelILj128ELj12ELj8E21rocsparse_complex_numIdEEEvi20rocsparse_direction_NS_24const_host_device_scalarIT2_EEPKiS8_PKS5_SA_S6_PS5_21rocsparse_index_base_b
	.p2align	8
	.type	_ZN9rocsparseL19gebsrmvn_2xn_kernelILj128ELj12ELj8E21rocsparse_complex_numIdEEEvi20rocsparse_direction_NS_24const_host_device_scalarIT2_EEPKiS8_PKS5_SA_S6_PS5_21rocsparse_index_base_b,@function
_ZN9rocsparseL19gebsrmvn_2xn_kernelILj128ELj12ELj8E21rocsparse_complex_numIdEEEvi20rocsparse_direction_NS_24const_host_device_scalarIT2_EEPKiS8_PKS5_SA_S6_PS5_21rocsparse_index_base_b: ; @_ZN9rocsparseL19gebsrmvn_2xn_kernelILj128ELj12ELj8E21rocsparse_complex_numIdEEEvi20rocsparse_direction_NS_24const_host_device_scalarIT2_EEPKiS8_PKS5_SA_S6_PS5_21rocsparse_index_base_b
; %bb.0:
	s_load_b64 s[12:13], s[2:3], 0x50
	s_load_b64 s[16:17], s[0:1], 0x4
	s_load_b128 s[8:11], s[2:3], 0x8
	v_bfe_u32 v1, v0, 10, 10
	s_mov_b64 s[0:1], src_shared_base
	s_load_b128 s[4:7], s[2:3], 0x38
	v_and_b32_e32 v12, 0x3ff, v0
	v_bfe_u32 v0, v0, 20, 10
	s_waitcnt lgkmcnt(0)
	s_bitcmp1_b32 s13, 0
	v_mul_u32_u24_e32 v1, s17, v1
	s_cselect_b32 s0, -1, 0
	s_delay_alu instid0(SALU_CYCLE_1)
	s_and_b32 vcc_lo, s0, exec_lo
	s_cselect_b32 s13, s1, s9
	s_lshr_b32 s14, s16, 16
	v_dual_mov_b32 v2, s4 :: v_dual_mov_b32 v3, s5
	s_mul_i32 s14, s14, s17
	v_mov_b32_e32 v6, s13
	v_mad_u32_u24 v1, s14, v12, v1
	s_delay_alu instid0(VALU_DEP_1) | instskip(SKIP_1) | instid1(VALU_DEP_2)
	v_add_lshl_u32 v4, v1, v0, 3
	v_dual_mov_b32 v0, s8 :: v_dual_mov_b32 v1, s9
	v_add_nc_u32_e32 v5, 0x400, v4
	ds_store_2addr_stride64_b64 v4, v[2:3], v[0:1] offset1:2
	v_dual_mov_b32 v2, s10 :: v_dual_mov_b32 v3, s11
	v_cndmask_b32_e64 v5, s8, v5, s0
	s_xor_b32 s10, s0, -1
	flat_load_b64 v[0:1], v[5:6]
	s_cbranch_vccnz .LBB279_2
; %bb.1:
	v_dual_mov_b32 v2, s8 :: v_dual_mov_b32 v3, s9
	flat_load_b64 v[2:3], v[2:3] offset:8
.LBB279_2:
	s_and_b32 s8, s0, exec_lo
	s_cselect_b32 s1, s1, s5
	v_cndmask_b32_e64 v4, s4, v4, s0
	v_dual_mov_b32 v5, s1 :: v_dual_mov_b32 v6, s6
	v_mov_b32_e32 v7, s7
	s_and_not1_b32 vcc_lo, exec_lo, s10
	flat_load_b64 v[4:5], v[4:5]
	s_cbranch_vccnz .LBB279_4
; %bb.3:
	v_dual_mov_b32 v7, s5 :: v_dual_mov_b32 v6, s4
	flat_load_b64 v[6:7], v[6:7] offset:8
.LBB279_4:
	s_waitcnt vmcnt(1) lgkmcnt(1)
	v_cmp_eq_f64_e32 vcc_lo, 0, v[0:1]
	v_cmp_eq_f64_e64 s0, 0, v[2:3]
	s_delay_alu instid0(VALU_DEP_1)
	s_and_b32 s4, vcc_lo, s0
	s_mov_b32 s0, -1
	s_and_saveexec_b32 s1, s4
	s_cbranch_execz .LBB279_6
; %bb.5:
	s_waitcnt vmcnt(0) lgkmcnt(0)
	v_cmp_neq_f64_e32 vcc_lo, 1.0, v[4:5]
	v_cmp_neq_f64_e64 s0, 0, v[6:7]
	s_delay_alu instid0(VALU_DEP_1) | instskip(NEXT) | instid1(SALU_CYCLE_1)
	s_or_b32 s0, vcc_lo, s0
	s_or_not1_b32 s0, s0, exec_lo
.LBB279_6:
	s_or_b32 exec_lo, exec_lo, s1
	s_and_saveexec_b32 s1, s0
	s_cbranch_execz .LBB279_29
; %bb.7:
	s_load_b64 s[0:1], s[2:3], 0x0
	v_lshrrev_b32_e32 v8, 3, v12
	s_delay_alu instid0(VALU_DEP_1) | instskip(SKIP_1) | instid1(VALU_DEP_1)
	v_lshl_or_b32 v8, s15, 4, v8
	s_waitcnt lgkmcnt(0)
	v_cmp_gt_i32_e32 vcc_lo, s0, v8
	s_and_b32 exec_lo, exec_lo, vcc_lo
	s_cbranch_execz .LBB279_29
; %bb.8:
	s_load_b256 s[4:11], s[2:3], 0x18
	v_ashrrev_i32_e32 v9, 31, v8
	v_and_b32_e32 v25, 7, v12
	s_cmp_lg_u32 s1, 0
	s_delay_alu instid0(VALU_DEP_2) | instskip(SKIP_1) | instid1(VALU_DEP_1)
	v_lshlrev_b64 v[9:10], 2, v[8:9]
	s_waitcnt lgkmcnt(0)
	v_add_co_u32 v9, vcc_lo, s4, v9
	s_delay_alu instid0(VALU_DEP_2) | instskip(SKIP_4) | instid1(VALU_DEP_2)
	v_add_co_ci_u32_e32 v10, vcc_lo, s5, v10, vcc_lo
	global_load_b64 v[10:11], v[9:10], off
	s_waitcnt vmcnt(0)
	v_subrev_nc_u32_e32 v9, s12, v10
	v_subrev_nc_u32_e32 v24, s12, v11
	v_add_nc_u32_e32 v9, v9, v25
	s_delay_alu instid0(VALU_DEP_1)
	v_cmp_lt_i32_e64 s0, v9, v24
	s_cbranch_scc0 .LBB279_16
; %bb.9:
	v_mov_b32_e32 v11, 0
	v_mov_b32_e32 v12, 0
	s_delay_alu instid0(VALU_DEP_1)
	v_dual_mov_b32 v18, v12 :: v_dual_mov_b32 v17, v11
	v_dual_mov_b32 v14, v12 :: v_dual_mov_b32 v13, v11
	;; [unrolled: 1-line block ×3, first 2 shown]
	s_and_saveexec_b32 s1, s0
	s_cbranch_execz .LBB279_15
; %bb.10:
	v_mul_lo_u32 v13, v10, 24
	v_dual_mov_b32 v11, 0 :: v_dual_mov_b32 v20, 0
	v_dual_mov_b32 v12, 0 :: v_dual_mov_b32 v21, v9
	v_mul_lo_u32 v26, v9, 24
	s_mul_i32 s4, s12, 24
	s_delay_alu instid0(VALU_DEP_2) | instskip(SKIP_2) | instid1(VALU_DEP_2)
	v_dual_mov_b32 v18, v12 :: v_dual_mov_b32 v17, v11
	v_mad_u32_u24 v15, v25, 24, v13
	v_dual_mov_b32 v14, v12 :: v_dual_mov_b32 v13, v11
	v_subrev_nc_u32_e32 v27, s4, v15
	v_dual_mov_b32 v16, v12 :: v_dual_mov_b32 v15, v11
	s_mov_b32 s4, 0
.LBB279_11:                             ; =>This Loop Header: Depth=1
                                        ;     Child Loop BB279_12 Depth 2
	v_ashrrev_i32_e32 v22, 31, v21
	s_mov_b32 s5, 0
	s_delay_alu instid0(VALU_DEP_1) | instskip(NEXT) | instid1(VALU_DEP_1)
	v_lshlrev_b64 v[22:23], 2, v[21:22]
	v_add_co_u32 v22, vcc_lo, s6, v22
	s_delay_alu instid0(VALU_DEP_2) | instskip(SKIP_3) | instid1(VALU_DEP_1)
	v_add_co_ci_u32_e32 v23, vcc_lo, s7, v23, vcc_lo
	global_load_b32 v19, v[22:23], off
	s_waitcnt vmcnt(0)
	v_subrev_nc_u32_e32 v19, s12, v19
	v_mul_lo_u32 v22, v19, 12
.LBB279_12:                             ;   Parent Loop BB279_11 Depth=1
                                        ; =>  This Inner Loop Header: Depth=2
	v_add_nc_u32_e32 v19, s5, v27
	v_mov_b32_e32 v23, v20
	s_delay_alu instid0(VALU_DEP_2) | instskip(NEXT) | instid1(VALU_DEP_2)
	v_lshlrev_b64 v[28:29], 4, v[19:20]
	v_lshlrev_b64 v[30:31], 4, v[22:23]
	v_add_nc_u32_e32 v22, 4, v22
	v_add3_u32 v19, v26, s5, 4
	s_add_i32 s5, s5, 8
	s_delay_alu instid0(SALU_CYCLE_1)
	s_cmp_eq_u32 s5, 24
	v_add_co_u32 v48, vcc_lo, s8, v28
	v_add_co_ci_u32_e32 v49, vcc_lo, s9, v29, vcc_lo
	v_add_co_u32 v56, vcc_lo, s10, v30
	v_add_co_ci_u32_e32 v57, vcc_lo, s11, v31, vcc_lo
	global_load_b128 v[28:31], v[48:49], off
	global_load_b128 v[32:35], v[56:57], off
	global_load_b128 v[36:39], v[48:49], off offset:16
	global_load_b128 v[40:43], v[56:57], off offset:16
	s_clause 0x1
	global_load_b128 v[44:47], v[48:49], off offset:32
	global_load_b128 v[48:51], v[48:49], off offset:48
	v_lshlrev_b64 v[52:53], 4, v[19:20]
	s_delay_alu instid0(VALU_DEP_1) | instskip(NEXT) | instid1(VALU_DEP_2)
	v_add_co_u32 v72, vcc_lo, s8, v52
	v_add_co_ci_u32_e32 v73, vcc_lo, s9, v53, vcc_lo
	s_clause 0x1
	global_load_b128 v[52:55], v[56:57], off offset:48
	global_load_b128 v[56:59], v[56:57], off offset:32
	s_clause 0x3
	global_load_b128 v[60:63], v[72:73], off
	global_load_b128 v[64:67], v[72:73], off offset:16
	global_load_b128 v[68:71], v[72:73], off offset:32
	;; [unrolled: 1-line block ×3, first 2 shown]
	s_waitcnt vmcnt(10)
	v_fma_f64 v[17:18], v[28:29], v[32:33], v[17:18]
	v_fma_f64 v[11:12], v[30:31], v[32:33], v[11:12]
	s_waitcnt vmcnt(9)
	v_fma_f64 v[13:14], v[36:37], v[32:33], v[13:14]
	v_fma_f64 v[15:16], v[38:39], v[32:33], v[15:16]
	s_delay_alu instid0(VALU_DEP_4) | instskip(NEXT) | instid1(VALU_DEP_4)
	v_fma_f64 v[17:18], -v[30:31], v[34:35], v[17:18]
	v_fma_f64 v[11:12], v[28:29], v[34:35], v[11:12]
	s_delay_alu instid0(VALU_DEP_4) | instskip(NEXT) | instid1(VALU_DEP_4)
	v_fma_f64 v[13:14], -v[38:39], v[34:35], v[13:14]
	v_fma_f64 v[15:16], v[36:37], v[34:35], v[15:16]
	s_waitcnt vmcnt(7)
	s_delay_alu instid0(VALU_DEP_4) | instskip(NEXT) | instid1(VALU_DEP_4)
	v_fma_f64 v[17:18], v[44:45], v[40:41], v[17:18]
	v_fma_f64 v[11:12], v[46:47], v[40:41], v[11:12]
	s_waitcnt vmcnt(6)
	s_delay_alu instid0(VALU_DEP_4) | instskip(NEXT) | instid1(VALU_DEP_4)
	v_fma_f64 v[13:14], v[48:49], v[40:41], v[13:14]
	v_fma_f64 v[15:16], v[50:51], v[40:41], v[15:16]
	s_delay_alu instid0(VALU_DEP_4) | instskip(NEXT) | instid1(VALU_DEP_4)
	v_fma_f64 v[17:18], -v[46:47], v[42:43], v[17:18]
	v_fma_f64 v[11:12], v[44:45], v[42:43], v[11:12]
	s_delay_alu instid0(VALU_DEP_4) | instskip(NEXT) | instid1(VALU_DEP_4)
	v_fma_f64 v[13:14], -v[50:51], v[42:43], v[13:14]
	v_fma_f64 v[15:16], v[48:49], v[42:43], v[15:16]
	s_waitcnt vmcnt(3)
	s_delay_alu instid0(VALU_DEP_4) | instskip(NEXT) | instid1(VALU_DEP_4)
	v_fma_f64 v[17:18], v[60:61], v[56:57], v[17:18]
	v_fma_f64 v[11:12], v[62:63], v[56:57], v[11:12]
	s_waitcnt vmcnt(2)
	s_delay_alu instid0(VALU_DEP_4) | instskip(NEXT) | instid1(VALU_DEP_4)
	;; [unrolled: 14-line block ×3, first 2 shown]
	v_fma_f64 v[13:14], v[72:73], v[52:53], v[13:14]
	v_fma_f64 v[15:16], v[74:75], v[52:53], v[15:16]
	s_delay_alu instid0(VALU_DEP_4) | instskip(NEXT) | instid1(VALU_DEP_4)
	v_fma_f64 v[17:18], -v[70:71], v[54:55], v[17:18]
	v_fma_f64 v[11:12], v[68:69], v[54:55], v[11:12]
	s_delay_alu instid0(VALU_DEP_4) | instskip(NEXT) | instid1(VALU_DEP_4)
	v_fma_f64 v[13:14], -v[74:75], v[54:55], v[13:14]
	v_fma_f64 v[15:16], v[72:73], v[54:55], v[15:16]
	s_cbranch_scc0 .LBB279_12
; %bb.13:                               ;   in Loop: Header=BB279_11 Depth=1
	v_add_nc_u32_e32 v21, 8, v21
	v_add_nc_u32_e32 v26, 0xc0, v26
	;; [unrolled: 1-line block ×3, first 2 shown]
	s_delay_alu instid0(VALU_DEP_3) | instskip(SKIP_1) | instid1(SALU_CYCLE_1)
	v_cmp_ge_i32_e32 vcc_lo, v21, v24
	s_or_b32 s4, vcc_lo, s4
	s_and_not1_b32 exec_lo, exec_lo, s4
	s_cbranch_execnz .LBB279_11
; %bb.14:
	s_or_b32 exec_lo, exec_lo, s4
.LBB279_15:
	s_delay_alu instid0(SALU_CYCLE_1)
	s_or_b32 exec_lo, exec_lo, s1
	s_cbranch_execz .LBB279_17
	s_branch .LBB279_24
.LBB279_16:
                                        ; implicit-def: $vgpr11_vgpr12
                                        ; implicit-def: $vgpr17_vgpr18
                                        ; implicit-def: $vgpr13_vgpr14
                                        ; implicit-def: $vgpr15_vgpr16
.LBB279_17:
	v_mov_b32_e32 v11, 0
	v_mov_b32_e32 v12, 0
	s_delay_alu instid0(VALU_DEP_1)
	v_dual_mov_b32 v18, v12 :: v_dual_mov_b32 v17, v11
	v_dual_mov_b32 v14, v12 :: v_dual_mov_b32 v13, v11
	;; [unrolled: 1-line block ×3, first 2 shown]
	s_and_saveexec_b32 s1, s0
	s_cbranch_execz .LBB279_23
; %bb.18:
	v_mul_lo_u32 v10, v10, 24
	v_dual_mov_b32 v11, 0 :: v_dual_mov_b32 v20, 0
	v_mov_b32_e32 v12, 0
	v_mul_lo_u32 v21, v9, 24
	s_mul_i32 s0, s12, 24
	s_delay_alu instid0(VALU_DEP_2) | instskip(SKIP_3) | instid1(VALU_DEP_3)
	v_dual_mov_b32 v18, v12 :: v_dual_mov_b32 v17, v11
	v_mad_u32_u24 v10, v25, 24, v10
	v_dual_mov_b32 v14, v12 :: v_dual_mov_b32 v13, v11
	v_dual_mov_b32 v16, v12 :: v_dual_mov_b32 v15, v11
	v_subrev_nc_u32_e32 v22, s0, v10
	s_mov_b32 s0, 0
.LBB279_19:                             ; =>This Loop Header: Depth=1
                                        ;     Child Loop BB279_20 Depth 2
	v_ashrrev_i32_e32 v10, 31, v9
	s_mov_b32 s4, 0
	s_delay_alu instid0(VALU_DEP_1) | instskip(NEXT) | instid1(VALU_DEP_1)
	v_lshlrev_b64 v[26:27], 2, v[9:10]
	v_add_co_u32 v26, vcc_lo, s6, v26
	s_delay_alu instid0(VALU_DEP_2) | instskip(SKIP_3) | instid1(VALU_DEP_1)
	v_add_co_ci_u32_e32 v27, vcc_lo, s7, v27, vcc_lo
	global_load_b32 v10, v[26:27], off
	s_waitcnt vmcnt(0)
	v_subrev_nc_u32_e32 v10, s12, v10
	v_mul_lo_u32 v10, v10, 12
.LBB279_20:                             ;   Parent Loop BB279_19 Depth=1
                                        ; =>  This Inner Loop Header: Depth=2
	v_add_nc_u32_e32 v19, s4, v22
	s_delay_alu instid0(VALU_DEP_1) | instskip(NEXT) | instid1(VALU_DEP_3)
	v_lshlrev_b64 v[26:27], 4, v[19:20]
	v_add_nc_u32_e32 v19, s4, v10
	s_delay_alu instid0(VALU_DEP_1) | instskip(SKIP_1) | instid1(VALU_DEP_4)
	v_lshlrev_b64 v[30:31], 4, v[19:20]
	v_add3_u32 v19, v21, s4, 12
	v_add_co_u32 v54, vcc_lo, s8, v26
	v_add_co_ci_u32_e32 v55, vcc_lo, s9, v27, vcc_lo
	s_delay_alu instid0(VALU_DEP_3)
	v_lshlrev_b64 v[32:33], 4, v[19:20]
	v_add_co_u32 v62, vcc_lo, s10, v30
	v_add_co_ci_u32_e32 v63, vcc_lo, s11, v31, vcc_lo
	global_load_b128 v[26:29], v[54:55], off offset:16
	v_add_co_u32 v70, vcc_lo, s8, v32
	v_add_co_ci_u32_e32 v71, vcc_lo, s9, v33, vcc_lo
	global_load_b128 v[30:33], v[54:55], off
	s_clause 0x1
	global_load_b128 v[34:37], v[62:63], off
	global_load_b128 v[38:41], v[62:63], off offset:16
	s_clause 0x3
	global_load_b128 v[42:45], v[70:71], off
	global_load_b128 v[46:49], v[70:71], off offset:16
	global_load_b128 v[50:53], v[54:55], off offset:48
	;; [unrolled: 1-line block ×3, first 2 shown]
	s_clause 0x1
	global_load_b128 v[58:61], v[62:63], off offset:32
	global_load_b128 v[62:65], v[62:63], off offset:48
	s_clause 0x1
	global_load_b128 v[66:69], v[70:71], off offset:32
	global_load_b128 v[70:73], v[70:71], off offset:48
	s_add_i32 s4, s4, 4
	s_delay_alu instid0(SALU_CYCLE_1)
	s_cmp_eq_u32 s4, 12
	s_waitcnt vmcnt(9)
	v_fma_f64 v[17:18], v[30:31], v[34:35], v[17:18]
	v_fma_f64 v[11:12], v[32:33], v[34:35], v[11:12]
	s_waitcnt vmcnt(7)
	v_fma_f64 v[13:14], v[42:43], v[34:35], v[13:14]
	v_fma_f64 v[15:16], v[44:45], v[34:35], v[15:16]
	s_delay_alu instid0(VALU_DEP_4) | instskip(NEXT) | instid1(VALU_DEP_4)
	v_fma_f64 v[17:18], -v[32:33], v[36:37], v[17:18]
	v_fma_f64 v[11:12], v[30:31], v[36:37], v[11:12]
	s_delay_alu instid0(VALU_DEP_4) | instskip(NEXT) | instid1(VALU_DEP_4)
	v_fma_f64 v[13:14], -v[44:45], v[36:37], v[13:14]
	v_fma_f64 v[15:16], v[42:43], v[36:37], v[15:16]
	s_delay_alu instid0(VALU_DEP_4) | instskip(NEXT) | instid1(VALU_DEP_4)
	v_fma_f64 v[17:18], v[26:27], v[38:39], v[17:18]
	v_fma_f64 v[11:12], v[28:29], v[38:39], v[11:12]
	s_waitcnt vmcnt(6)
	s_delay_alu instid0(VALU_DEP_4) | instskip(NEXT) | instid1(VALU_DEP_4)
	v_fma_f64 v[13:14], v[46:47], v[38:39], v[13:14]
	v_fma_f64 v[15:16], v[48:49], v[38:39], v[15:16]
	s_delay_alu instid0(VALU_DEP_4) | instskip(NEXT) | instid1(VALU_DEP_4)
	v_fma_f64 v[17:18], -v[28:29], v[40:41], v[17:18]
	v_fma_f64 v[11:12], v[26:27], v[40:41], v[11:12]
	s_delay_alu instid0(VALU_DEP_4) | instskip(NEXT) | instid1(VALU_DEP_4)
	v_fma_f64 v[13:14], -v[48:49], v[40:41], v[13:14]
	v_fma_f64 v[15:16], v[46:47], v[40:41], v[15:16]
	s_waitcnt vmcnt(3)
	s_delay_alu instid0(VALU_DEP_4) | instskip(NEXT) | instid1(VALU_DEP_4)
	v_fma_f64 v[17:18], v[54:55], v[58:59], v[17:18]
	v_fma_f64 v[11:12], v[56:57], v[58:59], v[11:12]
	s_waitcnt vmcnt(1)
	s_delay_alu instid0(VALU_DEP_4) | instskip(NEXT) | instid1(VALU_DEP_4)
	v_fma_f64 v[13:14], v[66:67], v[58:59], v[13:14]
	v_fma_f64 v[15:16], v[68:69], v[58:59], v[15:16]
	s_delay_alu instid0(VALU_DEP_4) | instskip(NEXT) | instid1(VALU_DEP_4)
	v_fma_f64 v[17:18], -v[56:57], v[60:61], v[17:18]
	v_fma_f64 v[11:12], v[54:55], v[60:61], v[11:12]
	s_delay_alu instid0(VALU_DEP_4) | instskip(NEXT) | instid1(VALU_DEP_4)
	v_fma_f64 v[13:14], -v[68:69], v[60:61], v[13:14]
	v_fma_f64 v[15:16], v[66:67], v[60:61], v[15:16]
	s_delay_alu instid0(VALU_DEP_4) | instskip(NEXT) | instid1(VALU_DEP_4)
	v_fma_f64 v[17:18], v[50:51], v[62:63], v[17:18]
	v_fma_f64 v[11:12], v[52:53], v[62:63], v[11:12]
	s_waitcnt vmcnt(0)
	s_delay_alu instid0(VALU_DEP_4) | instskip(NEXT) | instid1(VALU_DEP_4)
	v_fma_f64 v[13:14], v[70:71], v[62:63], v[13:14]
	v_fma_f64 v[15:16], v[72:73], v[62:63], v[15:16]
	s_delay_alu instid0(VALU_DEP_4) | instskip(NEXT) | instid1(VALU_DEP_4)
	v_fma_f64 v[17:18], -v[52:53], v[64:65], v[17:18]
	v_fma_f64 v[11:12], v[50:51], v[64:65], v[11:12]
	s_delay_alu instid0(VALU_DEP_4) | instskip(NEXT) | instid1(VALU_DEP_4)
	v_fma_f64 v[13:14], -v[72:73], v[64:65], v[13:14]
	v_fma_f64 v[15:16], v[70:71], v[64:65], v[15:16]
	s_cbranch_scc0 .LBB279_20
; %bb.21:                               ;   in Loop: Header=BB279_19 Depth=1
	v_add_nc_u32_e32 v9, 8, v9
	v_add_nc_u32_e32 v21, 0xc0, v21
	;; [unrolled: 1-line block ×3, first 2 shown]
	s_delay_alu instid0(VALU_DEP_3) | instskip(SKIP_1) | instid1(SALU_CYCLE_1)
	v_cmp_ge_i32_e32 vcc_lo, v9, v24
	s_or_b32 s0, vcc_lo, s0
	s_and_not1_b32 exec_lo, exec_lo, s0
	s_cbranch_execnz .LBB279_19
; %bb.22:
	s_or_b32 exec_lo, exec_lo, s0
.LBB279_23:
	s_delay_alu instid0(SALU_CYCLE_1)
	s_or_b32 exec_lo, exec_lo, s1
.LBB279_24:
	v_mbcnt_lo_u32_b32 v26, -1, 0
	s_delay_alu instid0(VALU_DEP_1) | instskip(NEXT) | instid1(VALU_DEP_1)
	v_xor_b32_e32 v9, 4, v26
	v_cmp_gt_i32_e32 vcc_lo, 32, v9
	v_cndmask_b32_e32 v9, v26, v9, vcc_lo
	s_delay_alu instid0(VALU_DEP_1)
	v_lshlrev_b32_e32 v24, 2, v9
	ds_bpermute_b32 v9, v24, v17
	ds_bpermute_b32 v10, v24, v18
	ds_bpermute_b32 v19, v24, v11
	ds_bpermute_b32 v20, v24, v12
	ds_bpermute_b32 v21, v24, v13
	ds_bpermute_b32 v22, v24, v14
	ds_bpermute_b32 v23, v24, v15
	ds_bpermute_b32 v24, v24, v16
	s_waitcnt lgkmcnt(6)
	v_add_f64 v[9:10], v[17:18], v[9:10]
	s_waitcnt lgkmcnt(4)
	v_add_f64 v[11:12], v[11:12], v[19:20]
	;; [unrolled: 2-line block ×4, first 2 shown]
	v_xor_b32_e32 v15, 2, v26
	s_delay_alu instid0(VALU_DEP_1) | instskip(SKIP_1) | instid1(VALU_DEP_1)
	v_cmp_gt_i32_e32 vcc_lo, 32, v15
	v_cndmask_b32_e32 v15, v26, v15, vcc_lo
	v_lshlrev_b32_e32 v24, 2, v15
	ds_bpermute_b32 v15, v24, v9
	ds_bpermute_b32 v16, v24, v10
	;; [unrolled: 1-line block ×8, first 2 shown]
	s_waitcnt lgkmcnt(6)
	v_add_f64 v[9:10], v[9:10], v[15:16]
	s_waitcnt lgkmcnt(4)
	v_add_f64 v[15:16], v[11:12], v[19:20]
	;; [unrolled: 2-line block ×4, first 2 shown]
	v_xor_b32_e32 v17, 1, v26
	s_delay_alu instid0(VALU_DEP_1) | instskip(SKIP_2) | instid1(VALU_DEP_2)
	v_cmp_gt_i32_e32 vcc_lo, 32, v17
	v_cndmask_b32_e32 v17, v26, v17, vcc_lo
	v_cmp_eq_u32_e32 vcc_lo, 7, v25
	v_lshlrev_b32_e32 v20, 2, v17
	ds_bpermute_b32 v23, v20, v9
	ds_bpermute_b32 v24, v20, v10
	;; [unrolled: 1-line block ×8, first 2 shown]
	s_and_b32 exec_lo, exec_lo, vcc_lo
	s_cbranch_execz .LBB279_29
; %bb.25:
	v_cmp_eq_f64_e32 vcc_lo, 0, v[4:5]
	v_cmp_eq_f64_e64 s0, 0, v[6:7]
	s_waitcnt lgkmcnt(6)
	v_add_f64 v[9:10], v[9:10], v[23:24]
	s_waitcnt lgkmcnt(4)
	v_add_f64 v[15:16], v[15:16], v[21:22]
	;; [unrolled: 2-line block ×4, first 2 shown]
	s_load_b64 s[2:3], s[2:3], 0x48
	s_and_b32 s0, vcc_lo, s0
	s_delay_alu instid0(SALU_CYCLE_1) | instskip(NEXT) | instid1(SALU_CYCLE_1)
	s_and_saveexec_b32 s1, s0
	s_xor_b32 s0, exec_lo, s1
	s_cbranch_execz .LBB279_27
; %bb.26:
	s_delay_alu instid0(VALU_DEP_3) | instskip(SKIP_1) | instid1(VALU_DEP_3)
	v_mul_f64 v[4:5], v[15:16], -v[2:3]
	v_mul_f64 v[6:7], v[0:1], v[15:16]
	v_mul_f64 v[15:16], v[13:14], -v[2:3]
	v_mul_f64 v[13:14], v[0:1], v[13:14]
	v_lshlrev_b32_e32 v8, 1, v8
	v_fma_f64 v[4:5], v[0:1], v[9:10], v[4:5]
	v_fma_f64 v[6:7], v[2:3], v[9:10], v[6:7]
	;; [unrolled: 1-line block ×4, first 2 shown]
	v_ashrrev_i32_e32 v9, 31, v8
                                        ; implicit-def: $vgpr15_vgpr16
                                        ; implicit-def: $vgpr11_vgpr12
                                        ; implicit-def: $vgpr13_vgpr14
	s_delay_alu instid0(VALU_DEP_1) | instskip(SKIP_1) | instid1(VALU_DEP_1)
	v_lshlrev_b64 v[8:9], 4, v[8:9]
	s_waitcnt lgkmcnt(0)
	v_add_co_u32 v8, vcc_lo, s2, v8
	s_delay_alu instid0(VALU_DEP_2)
	v_add_co_ci_u32_e32 v9, vcc_lo, s3, v9, vcc_lo
	s_clause 0x1
	global_store_b128 v[8:9], v[4:7], off
	global_store_b128 v[8:9], v[0:3], off offset:16
                                        ; implicit-def: $vgpr0_vgpr1
                                        ; implicit-def: $vgpr2_vgpr3
                                        ; implicit-def: $vgpr4_vgpr5
                                        ; implicit-def: $vgpr6_vgpr7
                                        ; implicit-def: $vgpr8
                                        ; implicit-def: $vgpr9_vgpr10
.LBB279_27:
	s_and_not1_saveexec_b32 s0, s0
	s_cbranch_execz .LBB279_29
; %bb.28:
	v_lshlrev_b32_e32 v17, 1, v8
	s_delay_alu instid0(VALU_DEP_4) | instskip(SKIP_1) | instid1(VALU_DEP_4)
	v_mul_f64 v[27:28], v[15:16], -v[2:3]
	v_mul_f64 v[15:16], v[0:1], v[15:16]
	v_mul_f64 v[29:30], v[13:14], -v[2:3]
	v_mul_f64 v[13:14], v[0:1], v[13:14]
	v_ashrrev_i32_e32 v18, 31, v17
	s_delay_alu instid0(VALU_DEP_1) | instskip(SKIP_1) | instid1(VALU_DEP_1)
	v_lshlrev_b64 v[17:18], 4, v[17:18]
	s_waitcnt lgkmcnt(0)
	v_add_co_u32 v25, vcc_lo, s2, v17
	s_delay_alu instid0(VALU_DEP_2)
	v_add_co_ci_u32_e32 v26, vcc_lo, s3, v18, vcc_lo
	s_clause 0x1
	global_load_b128 v[17:20], v[25:26], off
	global_load_b128 v[21:24], v[25:26], off offset:16
	v_fma_f64 v[27:28], v[0:1], v[9:10], v[27:28]
	v_fma_f64 v[8:9], v[2:3], v[9:10], v[15:16]
	;; [unrolled: 1-line block ×4, first 2 shown]
	s_waitcnt vmcnt(1)
	s_delay_alu instid0(VALU_DEP_4) | instskip(NEXT) | instid1(VALU_DEP_4)
	v_fma_f64 v[10:11], v[4:5], v[17:18], v[27:28]
	v_fma_f64 v[8:9], v[6:7], v[17:18], v[8:9]
	s_waitcnt vmcnt(0)
	s_delay_alu instid0(VALU_DEP_4) | instskip(NEXT) | instid1(VALU_DEP_4)
	v_fma_f64 v[12:13], v[4:5], v[21:22], v[0:1]
	v_fma_f64 v[14:15], v[6:7], v[21:22], v[2:3]
	s_delay_alu instid0(VALU_DEP_4) | instskip(NEXT) | instid1(VALU_DEP_4)
	v_fma_f64 v[0:1], -v[6:7], v[19:20], v[10:11]
	v_fma_f64 v[2:3], v[4:5], v[19:20], v[8:9]
	s_delay_alu instid0(VALU_DEP_4) | instskip(NEXT) | instid1(VALU_DEP_4)
	v_fma_f64 v[6:7], -v[6:7], v[23:24], v[12:13]
	v_fma_f64 v[8:9], v[4:5], v[23:24], v[14:15]
	s_clause 0x1
	global_store_b128 v[25:26], v[0:3], off
	global_store_b128 v[25:26], v[6:9], off offset:16
.LBB279_29:
	s_nop 0
	s_sendmsg sendmsg(MSG_DEALLOC_VGPRS)
	s_endpgm
	.section	.rodata,"a",@progbits
	.p2align	6, 0x0
	.amdhsa_kernel _ZN9rocsparseL19gebsrmvn_2xn_kernelILj128ELj12ELj8E21rocsparse_complex_numIdEEEvi20rocsparse_direction_NS_24const_host_device_scalarIT2_EEPKiS8_PKS5_SA_S6_PS5_21rocsparse_index_base_b
		.amdhsa_group_segment_fixed_size 2048
		.amdhsa_private_segment_fixed_size 0
		.amdhsa_kernarg_size 88
		.amdhsa_user_sgpr_count 15
		.amdhsa_user_sgpr_dispatch_ptr 1
		.amdhsa_user_sgpr_queue_ptr 0
		.amdhsa_user_sgpr_kernarg_segment_ptr 1
		.amdhsa_user_sgpr_dispatch_id 0
		.amdhsa_user_sgpr_private_segment_size 0
		.amdhsa_wavefront_size32 1
		.amdhsa_uses_dynamic_stack 0
		.amdhsa_enable_private_segment 0
		.amdhsa_system_sgpr_workgroup_id_x 1
		.amdhsa_system_sgpr_workgroup_id_y 0
		.amdhsa_system_sgpr_workgroup_id_z 0
		.amdhsa_system_sgpr_workgroup_info 0
		.amdhsa_system_vgpr_workitem_id 2
		.amdhsa_next_free_vgpr 76
		.amdhsa_next_free_sgpr 18
		.amdhsa_reserve_vcc 1
		.amdhsa_float_round_mode_32 0
		.amdhsa_float_round_mode_16_64 0
		.amdhsa_float_denorm_mode_32 3
		.amdhsa_float_denorm_mode_16_64 3
		.amdhsa_dx10_clamp 1
		.amdhsa_ieee_mode 1
		.amdhsa_fp16_overflow 0
		.amdhsa_workgroup_processor_mode 1
		.amdhsa_memory_ordered 1
		.amdhsa_forward_progress 0
		.amdhsa_shared_vgpr_count 0
		.amdhsa_exception_fp_ieee_invalid_op 0
		.amdhsa_exception_fp_denorm_src 0
		.amdhsa_exception_fp_ieee_div_zero 0
		.amdhsa_exception_fp_ieee_overflow 0
		.amdhsa_exception_fp_ieee_underflow 0
		.amdhsa_exception_fp_ieee_inexact 0
		.amdhsa_exception_int_div_zero 0
	.end_amdhsa_kernel
	.section	.text._ZN9rocsparseL19gebsrmvn_2xn_kernelILj128ELj12ELj8E21rocsparse_complex_numIdEEEvi20rocsparse_direction_NS_24const_host_device_scalarIT2_EEPKiS8_PKS5_SA_S6_PS5_21rocsparse_index_base_b,"axG",@progbits,_ZN9rocsparseL19gebsrmvn_2xn_kernelILj128ELj12ELj8E21rocsparse_complex_numIdEEEvi20rocsparse_direction_NS_24const_host_device_scalarIT2_EEPKiS8_PKS5_SA_S6_PS5_21rocsparse_index_base_b,comdat
.Lfunc_end279:
	.size	_ZN9rocsparseL19gebsrmvn_2xn_kernelILj128ELj12ELj8E21rocsparse_complex_numIdEEEvi20rocsparse_direction_NS_24const_host_device_scalarIT2_EEPKiS8_PKS5_SA_S6_PS5_21rocsparse_index_base_b, .Lfunc_end279-_ZN9rocsparseL19gebsrmvn_2xn_kernelILj128ELj12ELj8E21rocsparse_complex_numIdEEEvi20rocsparse_direction_NS_24const_host_device_scalarIT2_EEPKiS8_PKS5_SA_S6_PS5_21rocsparse_index_base_b
                                        ; -- End function
	.section	.AMDGPU.csdata,"",@progbits
; Kernel info:
; codeLenInByte = 2896
; NumSgprs: 20
; NumVgprs: 76
; ScratchSize: 0
; MemoryBound: 1
; FloatMode: 240
; IeeeMode: 1
; LDSByteSize: 2048 bytes/workgroup (compile time only)
; SGPRBlocks: 2
; VGPRBlocks: 9
; NumSGPRsForWavesPerEU: 20
; NumVGPRsForWavesPerEU: 76
; Occupancy: 16
; WaveLimiterHint : 1
; COMPUTE_PGM_RSRC2:SCRATCH_EN: 0
; COMPUTE_PGM_RSRC2:USER_SGPR: 15
; COMPUTE_PGM_RSRC2:TRAP_HANDLER: 0
; COMPUTE_PGM_RSRC2:TGID_X_EN: 1
; COMPUTE_PGM_RSRC2:TGID_Y_EN: 0
; COMPUTE_PGM_RSRC2:TGID_Z_EN: 0
; COMPUTE_PGM_RSRC2:TIDIG_COMP_CNT: 2
	.section	.text._ZN9rocsparseL19gebsrmvn_2xn_kernelILj128ELj12ELj16E21rocsparse_complex_numIdEEEvi20rocsparse_direction_NS_24const_host_device_scalarIT2_EEPKiS8_PKS5_SA_S6_PS5_21rocsparse_index_base_b,"axG",@progbits,_ZN9rocsparseL19gebsrmvn_2xn_kernelILj128ELj12ELj16E21rocsparse_complex_numIdEEEvi20rocsparse_direction_NS_24const_host_device_scalarIT2_EEPKiS8_PKS5_SA_S6_PS5_21rocsparse_index_base_b,comdat
	.globl	_ZN9rocsparseL19gebsrmvn_2xn_kernelILj128ELj12ELj16E21rocsparse_complex_numIdEEEvi20rocsparse_direction_NS_24const_host_device_scalarIT2_EEPKiS8_PKS5_SA_S6_PS5_21rocsparse_index_base_b ; -- Begin function _ZN9rocsparseL19gebsrmvn_2xn_kernelILj128ELj12ELj16E21rocsparse_complex_numIdEEEvi20rocsparse_direction_NS_24const_host_device_scalarIT2_EEPKiS8_PKS5_SA_S6_PS5_21rocsparse_index_base_b
	.p2align	8
	.type	_ZN9rocsparseL19gebsrmvn_2xn_kernelILj128ELj12ELj16E21rocsparse_complex_numIdEEEvi20rocsparse_direction_NS_24const_host_device_scalarIT2_EEPKiS8_PKS5_SA_S6_PS5_21rocsparse_index_base_b,@function
_ZN9rocsparseL19gebsrmvn_2xn_kernelILj128ELj12ELj16E21rocsparse_complex_numIdEEEvi20rocsparse_direction_NS_24const_host_device_scalarIT2_EEPKiS8_PKS5_SA_S6_PS5_21rocsparse_index_base_b: ; @_ZN9rocsparseL19gebsrmvn_2xn_kernelILj128ELj12ELj16E21rocsparse_complex_numIdEEEvi20rocsparse_direction_NS_24const_host_device_scalarIT2_EEPKiS8_PKS5_SA_S6_PS5_21rocsparse_index_base_b
; %bb.0:
	s_load_b64 s[12:13], s[2:3], 0x50
	s_load_b64 s[16:17], s[0:1], 0x4
	s_load_b128 s[8:11], s[2:3], 0x8
	v_bfe_u32 v1, v0, 10, 10
	s_mov_b64 s[0:1], src_shared_base
	s_load_b128 s[4:7], s[2:3], 0x38
	v_and_b32_e32 v12, 0x3ff, v0
	v_bfe_u32 v0, v0, 20, 10
	s_waitcnt lgkmcnt(0)
	s_bitcmp1_b32 s13, 0
	v_mul_u32_u24_e32 v1, s17, v1
	s_cselect_b32 s0, -1, 0
	s_delay_alu instid0(SALU_CYCLE_1)
	s_and_b32 vcc_lo, s0, exec_lo
	s_cselect_b32 s13, s1, s9
	s_lshr_b32 s14, s16, 16
	v_dual_mov_b32 v2, s4 :: v_dual_mov_b32 v3, s5
	s_mul_i32 s14, s14, s17
	v_mov_b32_e32 v6, s13
	v_mad_u32_u24 v1, s14, v12, v1
	s_delay_alu instid0(VALU_DEP_1) | instskip(SKIP_1) | instid1(VALU_DEP_2)
	v_add_lshl_u32 v4, v1, v0, 3
	v_dual_mov_b32 v0, s8 :: v_dual_mov_b32 v1, s9
	v_add_nc_u32_e32 v5, 0x400, v4
	ds_store_2addr_stride64_b64 v4, v[2:3], v[0:1] offset1:2
	v_dual_mov_b32 v2, s10 :: v_dual_mov_b32 v3, s11
	v_cndmask_b32_e64 v5, s8, v5, s0
	s_xor_b32 s10, s0, -1
	flat_load_b64 v[0:1], v[5:6]
	s_cbranch_vccnz .LBB280_2
; %bb.1:
	v_dual_mov_b32 v2, s8 :: v_dual_mov_b32 v3, s9
	flat_load_b64 v[2:3], v[2:3] offset:8
.LBB280_2:
	s_and_b32 s8, s0, exec_lo
	s_cselect_b32 s1, s1, s5
	v_cndmask_b32_e64 v4, s4, v4, s0
	v_dual_mov_b32 v5, s1 :: v_dual_mov_b32 v6, s6
	v_mov_b32_e32 v7, s7
	s_and_not1_b32 vcc_lo, exec_lo, s10
	flat_load_b64 v[4:5], v[4:5]
	s_cbranch_vccnz .LBB280_4
; %bb.3:
	v_dual_mov_b32 v7, s5 :: v_dual_mov_b32 v6, s4
	flat_load_b64 v[6:7], v[6:7] offset:8
.LBB280_4:
	s_waitcnt vmcnt(1) lgkmcnt(1)
	v_cmp_eq_f64_e32 vcc_lo, 0, v[0:1]
	v_cmp_eq_f64_e64 s0, 0, v[2:3]
	s_delay_alu instid0(VALU_DEP_1)
	s_and_b32 s4, vcc_lo, s0
	s_mov_b32 s0, -1
	s_and_saveexec_b32 s1, s4
	s_cbranch_execz .LBB280_6
; %bb.5:
	s_waitcnt vmcnt(0) lgkmcnt(0)
	v_cmp_neq_f64_e32 vcc_lo, 1.0, v[4:5]
	v_cmp_neq_f64_e64 s0, 0, v[6:7]
	s_delay_alu instid0(VALU_DEP_1) | instskip(NEXT) | instid1(SALU_CYCLE_1)
	s_or_b32 s0, vcc_lo, s0
	s_or_not1_b32 s0, s0, exec_lo
.LBB280_6:
	s_or_b32 exec_lo, exec_lo, s1
	s_and_saveexec_b32 s1, s0
	s_cbranch_execz .LBB280_29
; %bb.7:
	s_load_b64 s[0:1], s[2:3], 0x0
	v_lshrrev_b32_e32 v8, 4, v12
	s_delay_alu instid0(VALU_DEP_1) | instskip(SKIP_1) | instid1(VALU_DEP_1)
	v_lshl_or_b32 v8, s15, 3, v8
	s_waitcnt lgkmcnt(0)
	v_cmp_gt_i32_e32 vcc_lo, s0, v8
	s_and_b32 exec_lo, exec_lo, vcc_lo
	s_cbranch_execz .LBB280_29
; %bb.8:
	s_load_b256 s[4:11], s[2:3], 0x18
	v_ashrrev_i32_e32 v9, 31, v8
	v_and_b32_e32 v25, 15, v12
	s_cmp_lg_u32 s1, 0
	s_delay_alu instid0(VALU_DEP_2) | instskip(SKIP_1) | instid1(VALU_DEP_1)
	v_lshlrev_b64 v[9:10], 2, v[8:9]
	s_waitcnt lgkmcnt(0)
	v_add_co_u32 v9, vcc_lo, s4, v9
	s_delay_alu instid0(VALU_DEP_2) | instskip(SKIP_4) | instid1(VALU_DEP_2)
	v_add_co_ci_u32_e32 v10, vcc_lo, s5, v10, vcc_lo
	global_load_b64 v[10:11], v[9:10], off
	s_waitcnt vmcnt(0)
	v_subrev_nc_u32_e32 v9, s12, v10
	v_subrev_nc_u32_e32 v24, s12, v11
	v_add_nc_u32_e32 v9, v9, v25
	s_delay_alu instid0(VALU_DEP_1)
	v_cmp_lt_i32_e64 s0, v9, v24
	s_cbranch_scc0 .LBB280_16
; %bb.9:
	v_mov_b32_e32 v11, 0
	v_mov_b32_e32 v12, 0
	s_delay_alu instid0(VALU_DEP_1)
	v_dual_mov_b32 v18, v12 :: v_dual_mov_b32 v17, v11
	v_dual_mov_b32 v14, v12 :: v_dual_mov_b32 v13, v11
	;; [unrolled: 1-line block ×3, first 2 shown]
	s_and_saveexec_b32 s1, s0
	s_cbranch_execz .LBB280_15
; %bb.10:
	v_mul_lo_u32 v13, v10, 24
	v_dual_mov_b32 v11, 0 :: v_dual_mov_b32 v20, 0
	v_dual_mov_b32 v12, 0 :: v_dual_mov_b32 v21, v9
	v_mul_lo_u32 v26, v9, 24
	s_mul_i32 s4, s12, 24
	s_delay_alu instid0(VALU_DEP_2) | instskip(SKIP_2) | instid1(VALU_DEP_2)
	v_dual_mov_b32 v18, v12 :: v_dual_mov_b32 v17, v11
	v_mad_u32_u24 v15, v25, 24, v13
	v_dual_mov_b32 v14, v12 :: v_dual_mov_b32 v13, v11
	v_subrev_nc_u32_e32 v27, s4, v15
	v_dual_mov_b32 v16, v12 :: v_dual_mov_b32 v15, v11
	s_mov_b32 s4, 0
.LBB280_11:                             ; =>This Loop Header: Depth=1
                                        ;     Child Loop BB280_12 Depth 2
	v_ashrrev_i32_e32 v22, 31, v21
	s_mov_b32 s5, 0
	s_delay_alu instid0(VALU_DEP_1) | instskip(NEXT) | instid1(VALU_DEP_1)
	v_lshlrev_b64 v[22:23], 2, v[21:22]
	v_add_co_u32 v22, vcc_lo, s6, v22
	s_delay_alu instid0(VALU_DEP_2) | instskip(SKIP_3) | instid1(VALU_DEP_1)
	v_add_co_ci_u32_e32 v23, vcc_lo, s7, v23, vcc_lo
	global_load_b32 v19, v[22:23], off
	s_waitcnt vmcnt(0)
	v_subrev_nc_u32_e32 v19, s12, v19
	v_mul_lo_u32 v22, v19, 12
.LBB280_12:                             ;   Parent Loop BB280_11 Depth=1
                                        ; =>  This Inner Loop Header: Depth=2
	v_add_nc_u32_e32 v19, s5, v27
	v_mov_b32_e32 v23, v20
	s_delay_alu instid0(VALU_DEP_2) | instskip(NEXT) | instid1(VALU_DEP_2)
	v_lshlrev_b64 v[28:29], 4, v[19:20]
	v_lshlrev_b64 v[30:31], 4, v[22:23]
	v_add_nc_u32_e32 v22, 4, v22
	v_add3_u32 v19, v26, s5, 4
	s_add_i32 s5, s5, 8
	s_delay_alu instid0(SALU_CYCLE_1)
	s_cmp_eq_u32 s5, 24
	v_add_co_u32 v48, vcc_lo, s8, v28
	v_add_co_ci_u32_e32 v49, vcc_lo, s9, v29, vcc_lo
	v_add_co_u32 v56, vcc_lo, s10, v30
	v_add_co_ci_u32_e32 v57, vcc_lo, s11, v31, vcc_lo
	global_load_b128 v[28:31], v[48:49], off
	global_load_b128 v[32:35], v[56:57], off
	global_load_b128 v[36:39], v[48:49], off offset:16
	global_load_b128 v[40:43], v[56:57], off offset:16
	s_clause 0x1
	global_load_b128 v[44:47], v[48:49], off offset:32
	global_load_b128 v[48:51], v[48:49], off offset:48
	v_lshlrev_b64 v[52:53], 4, v[19:20]
	s_delay_alu instid0(VALU_DEP_1) | instskip(NEXT) | instid1(VALU_DEP_2)
	v_add_co_u32 v72, vcc_lo, s8, v52
	v_add_co_ci_u32_e32 v73, vcc_lo, s9, v53, vcc_lo
	s_clause 0x1
	global_load_b128 v[52:55], v[56:57], off offset:48
	global_load_b128 v[56:59], v[56:57], off offset:32
	s_clause 0x3
	global_load_b128 v[60:63], v[72:73], off
	global_load_b128 v[64:67], v[72:73], off offset:16
	global_load_b128 v[68:71], v[72:73], off offset:32
	;; [unrolled: 1-line block ×3, first 2 shown]
	s_waitcnt vmcnt(10)
	v_fma_f64 v[17:18], v[28:29], v[32:33], v[17:18]
	v_fma_f64 v[11:12], v[30:31], v[32:33], v[11:12]
	s_waitcnt vmcnt(9)
	v_fma_f64 v[13:14], v[36:37], v[32:33], v[13:14]
	v_fma_f64 v[15:16], v[38:39], v[32:33], v[15:16]
	s_delay_alu instid0(VALU_DEP_4) | instskip(NEXT) | instid1(VALU_DEP_4)
	v_fma_f64 v[17:18], -v[30:31], v[34:35], v[17:18]
	v_fma_f64 v[11:12], v[28:29], v[34:35], v[11:12]
	s_delay_alu instid0(VALU_DEP_4) | instskip(NEXT) | instid1(VALU_DEP_4)
	v_fma_f64 v[13:14], -v[38:39], v[34:35], v[13:14]
	v_fma_f64 v[15:16], v[36:37], v[34:35], v[15:16]
	s_waitcnt vmcnt(7)
	s_delay_alu instid0(VALU_DEP_4) | instskip(NEXT) | instid1(VALU_DEP_4)
	v_fma_f64 v[17:18], v[44:45], v[40:41], v[17:18]
	v_fma_f64 v[11:12], v[46:47], v[40:41], v[11:12]
	s_waitcnt vmcnt(6)
	s_delay_alu instid0(VALU_DEP_4) | instskip(NEXT) | instid1(VALU_DEP_4)
	v_fma_f64 v[13:14], v[48:49], v[40:41], v[13:14]
	v_fma_f64 v[15:16], v[50:51], v[40:41], v[15:16]
	s_delay_alu instid0(VALU_DEP_4) | instskip(NEXT) | instid1(VALU_DEP_4)
	v_fma_f64 v[17:18], -v[46:47], v[42:43], v[17:18]
	v_fma_f64 v[11:12], v[44:45], v[42:43], v[11:12]
	s_delay_alu instid0(VALU_DEP_4) | instskip(NEXT) | instid1(VALU_DEP_4)
	v_fma_f64 v[13:14], -v[50:51], v[42:43], v[13:14]
	v_fma_f64 v[15:16], v[48:49], v[42:43], v[15:16]
	s_waitcnt vmcnt(3)
	s_delay_alu instid0(VALU_DEP_4) | instskip(NEXT) | instid1(VALU_DEP_4)
	v_fma_f64 v[17:18], v[60:61], v[56:57], v[17:18]
	v_fma_f64 v[11:12], v[62:63], v[56:57], v[11:12]
	s_waitcnt vmcnt(2)
	s_delay_alu instid0(VALU_DEP_4) | instskip(NEXT) | instid1(VALU_DEP_4)
	;; [unrolled: 14-line block ×3, first 2 shown]
	v_fma_f64 v[13:14], v[72:73], v[52:53], v[13:14]
	v_fma_f64 v[15:16], v[74:75], v[52:53], v[15:16]
	s_delay_alu instid0(VALU_DEP_4) | instskip(NEXT) | instid1(VALU_DEP_4)
	v_fma_f64 v[17:18], -v[70:71], v[54:55], v[17:18]
	v_fma_f64 v[11:12], v[68:69], v[54:55], v[11:12]
	s_delay_alu instid0(VALU_DEP_4) | instskip(NEXT) | instid1(VALU_DEP_4)
	v_fma_f64 v[13:14], -v[74:75], v[54:55], v[13:14]
	v_fma_f64 v[15:16], v[72:73], v[54:55], v[15:16]
	s_cbranch_scc0 .LBB280_12
; %bb.13:                               ;   in Loop: Header=BB280_11 Depth=1
	v_add_nc_u32_e32 v21, 16, v21
	v_add_nc_u32_e32 v26, 0x180, v26
	v_add_nc_u32_e32 v27, 0x180, v27
	s_delay_alu instid0(VALU_DEP_3) | instskip(SKIP_1) | instid1(SALU_CYCLE_1)
	v_cmp_ge_i32_e32 vcc_lo, v21, v24
	s_or_b32 s4, vcc_lo, s4
	s_and_not1_b32 exec_lo, exec_lo, s4
	s_cbranch_execnz .LBB280_11
; %bb.14:
	s_or_b32 exec_lo, exec_lo, s4
.LBB280_15:
	s_delay_alu instid0(SALU_CYCLE_1)
	s_or_b32 exec_lo, exec_lo, s1
	s_cbranch_execz .LBB280_17
	s_branch .LBB280_24
.LBB280_16:
                                        ; implicit-def: $vgpr11_vgpr12
                                        ; implicit-def: $vgpr17_vgpr18
                                        ; implicit-def: $vgpr13_vgpr14
                                        ; implicit-def: $vgpr15_vgpr16
.LBB280_17:
	v_mov_b32_e32 v11, 0
	v_mov_b32_e32 v12, 0
	s_delay_alu instid0(VALU_DEP_1)
	v_dual_mov_b32 v18, v12 :: v_dual_mov_b32 v17, v11
	v_dual_mov_b32 v14, v12 :: v_dual_mov_b32 v13, v11
	;; [unrolled: 1-line block ×3, first 2 shown]
	s_and_saveexec_b32 s1, s0
	s_cbranch_execz .LBB280_23
; %bb.18:
	v_mul_lo_u32 v10, v10, 24
	v_dual_mov_b32 v11, 0 :: v_dual_mov_b32 v20, 0
	v_mov_b32_e32 v12, 0
	v_mul_lo_u32 v21, v9, 24
	s_mul_i32 s0, s12, 24
	s_delay_alu instid0(VALU_DEP_2) | instskip(SKIP_3) | instid1(VALU_DEP_3)
	v_dual_mov_b32 v18, v12 :: v_dual_mov_b32 v17, v11
	v_mad_u32_u24 v10, v25, 24, v10
	v_dual_mov_b32 v14, v12 :: v_dual_mov_b32 v13, v11
	v_dual_mov_b32 v16, v12 :: v_dual_mov_b32 v15, v11
	v_subrev_nc_u32_e32 v22, s0, v10
	s_mov_b32 s0, 0
.LBB280_19:                             ; =>This Loop Header: Depth=1
                                        ;     Child Loop BB280_20 Depth 2
	v_ashrrev_i32_e32 v10, 31, v9
	s_mov_b32 s4, 0
	s_delay_alu instid0(VALU_DEP_1) | instskip(NEXT) | instid1(VALU_DEP_1)
	v_lshlrev_b64 v[26:27], 2, v[9:10]
	v_add_co_u32 v26, vcc_lo, s6, v26
	s_delay_alu instid0(VALU_DEP_2) | instskip(SKIP_3) | instid1(VALU_DEP_1)
	v_add_co_ci_u32_e32 v27, vcc_lo, s7, v27, vcc_lo
	global_load_b32 v10, v[26:27], off
	s_waitcnt vmcnt(0)
	v_subrev_nc_u32_e32 v10, s12, v10
	v_mul_lo_u32 v10, v10, 12
.LBB280_20:                             ;   Parent Loop BB280_19 Depth=1
                                        ; =>  This Inner Loop Header: Depth=2
	v_add_nc_u32_e32 v19, s4, v22
	s_delay_alu instid0(VALU_DEP_1) | instskip(NEXT) | instid1(VALU_DEP_3)
	v_lshlrev_b64 v[26:27], 4, v[19:20]
	v_add_nc_u32_e32 v19, s4, v10
	s_delay_alu instid0(VALU_DEP_1) | instskip(SKIP_1) | instid1(VALU_DEP_4)
	v_lshlrev_b64 v[30:31], 4, v[19:20]
	v_add3_u32 v19, v21, s4, 12
	v_add_co_u32 v54, vcc_lo, s8, v26
	v_add_co_ci_u32_e32 v55, vcc_lo, s9, v27, vcc_lo
	s_delay_alu instid0(VALU_DEP_3)
	v_lshlrev_b64 v[32:33], 4, v[19:20]
	v_add_co_u32 v62, vcc_lo, s10, v30
	v_add_co_ci_u32_e32 v63, vcc_lo, s11, v31, vcc_lo
	global_load_b128 v[26:29], v[54:55], off offset:16
	v_add_co_u32 v70, vcc_lo, s8, v32
	v_add_co_ci_u32_e32 v71, vcc_lo, s9, v33, vcc_lo
	global_load_b128 v[30:33], v[54:55], off
	s_clause 0x1
	global_load_b128 v[34:37], v[62:63], off
	global_load_b128 v[38:41], v[62:63], off offset:16
	s_clause 0x3
	global_load_b128 v[42:45], v[70:71], off
	global_load_b128 v[46:49], v[70:71], off offset:16
	global_load_b128 v[50:53], v[54:55], off offset:48
	;; [unrolled: 1-line block ×3, first 2 shown]
	s_clause 0x1
	global_load_b128 v[58:61], v[62:63], off offset:32
	global_load_b128 v[62:65], v[62:63], off offset:48
	s_clause 0x1
	global_load_b128 v[66:69], v[70:71], off offset:32
	global_load_b128 v[70:73], v[70:71], off offset:48
	s_add_i32 s4, s4, 4
	s_delay_alu instid0(SALU_CYCLE_1)
	s_cmp_eq_u32 s4, 12
	s_waitcnt vmcnt(9)
	v_fma_f64 v[17:18], v[30:31], v[34:35], v[17:18]
	v_fma_f64 v[11:12], v[32:33], v[34:35], v[11:12]
	s_waitcnt vmcnt(7)
	v_fma_f64 v[13:14], v[42:43], v[34:35], v[13:14]
	v_fma_f64 v[15:16], v[44:45], v[34:35], v[15:16]
	s_delay_alu instid0(VALU_DEP_4) | instskip(NEXT) | instid1(VALU_DEP_4)
	v_fma_f64 v[17:18], -v[32:33], v[36:37], v[17:18]
	v_fma_f64 v[11:12], v[30:31], v[36:37], v[11:12]
	s_delay_alu instid0(VALU_DEP_4) | instskip(NEXT) | instid1(VALU_DEP_4)
	v_fma_f64 v[13:14], -v[44:45], v[36:37], v[13:14]
	v_fma_f64 v[15:16], v[42:43], v[36:37], v[15:16]
	s_delay_alu instid0(VALU_DEP_4) | instskip(NEXT) | instid1(VALU_DEP_4)
	v_fma_f64 v[17:18], v[26:27], v[38:39], v[17:18]
	v_fma_f64 v[11:12], v[28:29], v[38:39], v[11:12]
	s_waitcnt vmcnt(6)
	s_delay_alu instid0(VALU_DEP_4) | instskip(NEXT) | instid1(VALU_DEP_4)
	v_fma_f64 v[13:14], v[46:47], v[38:39], v[13:14]
	v_fma_f64 v[15:16], v[48:49], v[38:39], v[15:16]
	s_delay_alu instid0(VALU_DEP_4) | instskip(NEXT) | instid1(VALU_DEP_4)
	v_fma_f64 v[17:18], -v[28:29], v[40:41], v[17:18]
	v_fma_f64 v[11:12], v[26:27], v[40:41], v[11:12]
	s_delay_alu instid0(VALU_DEP_4) | instskip(NEXT) | instid1(VALU_DEP_4)
	v_fma_f64 v[13:14], -v[48:49], v[40:41], v[13:14]
	v_fma_f64 v[15:16], v[46:47], v[40:41], v[15:16]
	s_waitcnt vmcnt(3)
	s_delay_alu instid0(VALU_DEP_4) | instskip(NEXT) | instid1(VALU_DEP_4)
	v_fma_f64 v[17:18], v[54:55], v[58:59], v[17:18]
	v_fma_f64 v[11:12], v[56:57], v[58:59], v[11:12]
	s_waitcnt vmcnt(1)
	s_delay_alu instid0(VALU_DEP_4) | instskip(NEXT) | instid1(VALU_DEP_4)
	v_fma_f64 v[13:14], v[66:67], v[58:59], v[13:14]
	v_fma_f64 v[15:16], v[68:69], v[58:59], v[15:16]
	s_delay_alu instid0(VALU_DEP_4) | instskip(NEXT) | instid1(VALU_DEP_4)
	v_fma_f64 v[17:18], -v[56:57], v[60:61], v[17:18]
	v_fma_f64 v[11:12], v[54:55], v[60:61], v[11:12]
	s_delay_alu instid0(VALU_DEP_4) | instskip(NEXT) | instid1(VALU_DEP_4)
	v_fma_f64 v[13:14], -v[68:69], v[60:61], v[13:14]
	v_fma_f64 v[15:16], v[66:67], v[60:61], v[15:16]
	s_delay_alu instid0(VALU_DEP_4) | instskip(NEXT) | instid1(VALU_DEP_4)
	v_fma_f64 v[17:18], v[50:51], v[62:63], v[17:18]
	v_fma_f64 v[11:12], v[52:53], v[62:63], v[11:12]
	s_waitcnt vmcnt(0)
	s_delay_alu instid0(VALU_DEP_4) | instskip(NEXT) | instid1(VALU_DEP_4)
	v_fma_f64 v[13:14], v[70:71], v[62:63], v[13:14]
	v_fma_f64 v[15:16], v[72:73], v[62:63], v[15:16]
	s_delay_alu instid0(VALU_DEP_4) | instskip(NEXT) | instid1(VALU_DEP_4)
	v_fma_f64 v[17:18], -v[52:53], v[64:65], v[17:18]
	v_fma_f64 v[11:12], v[50:51], v[64:65], v[11:12]
	s_delay_alu instid0(VALU_DEP_4) | instskip(NEXT) | instid1(VALU_DEP_4)
	v_fma_f64 v[13:14], -v[72:73], v[64:65], v[13:14]
	v_fma_f64 v[15:16], v[70:71], v[64:65], v[15:16]
	s_cbranch_scc0 .LBB280_20
; %bb.21:                               ;   in Loop: Header=BB280_19 Depth=1
	v_add_nc_u32_e32 v9, 16, v9
	v_add_nc_u32_e32 v21, 0x180, v21
	;; [unrolled: 1-line block ×3, first 2 shown]
	s_delay_alu instid0(VALU_DEP_3) | instskip(SKIP_1) | instid1(SALU_CYCLE_1)
	v_cmp_ge_i32_e32 vcc_lo, v9, v24
	s_or_b32 s0, vcc_lo, s0
	s_and_not1_b32 exec_lo, exec_lo, s0
	s_cbranch_execnz .LBB280_19
; %bb.22:
	s_or_b32 exec_lo, exec_lo, s0
.LBB280_23:
	s_delay_alu instid0(SALU_CYCLE_1)
	s_or_b32 exec_lo, exec_lo, s1
.LBB280_24:
	v_mbcnt_lo_u32_b32 v26, -1, 0
	s_delay_alu instid0(VALU_DEP_1) | instskip(NEXT) | instid1(VALU_DEP_1)
	v_xor_b32_e32 v9, 8, v26
	v_cmp_gt_i32_e32 vcc_lo, 32, v9
	v_cndmask_b32_e32 v9, v26, v9, vcc_lo
	s_delay_alu instid0(VALU_DEP_1)
	v_lshlrev_b32_e32 v24, 2, v9
	ds_bpermute_b32 v9, v24, v17
	ds_bpermute_b32 v10, v24, v18
	;; [unrolled: 1-line block ×8, first 2 shown]
	s_waitcnt lgkmcnt(6)
	v_add_f64 v[9:10], v[17:18], v[9:10]
	v_xor_b32_e32 v17, 4, v26
	s_waitcnt lgkmcnt(4)
	v_add_f64 v[11:12], v[11:12], v[19:20]
	s_waitcnt lgkmcnt(2)
	v_add_f64 v[13:14], v[13:14], v[21:22]
	;; [unrolled: 2-line block ×3, first 2 shown]
	v_cmp_gt_i32_e32 vcc_lo, 32, v17
	v_cndmask_b32_e32 v17, v26, v17, vcc_lo
	s_delay_alu instid0(VALU_DEP_1)
	v_lshlrev_b32_e32 v24, 2, v17
	ds_bpermute_b32 v17, v24, v9
	ds_bpermute_b32 v18, v24, v10
	;; [unrolled: 1-line block ×8, first 2 shown]
	s_waitcnt lgkmcnt(6)
	v_add_f64 v[9:10], v[9:10], v[17:18]
	s_waitcnt lgkmcnt(4)
	v_add_f64 v[11:12], v[11:12], v[19:20]
	s_waitcnt lgkmcnt(2)
	v_add_f64 v[13:14], v[13:14], v[21:22]
	s_waitcnt lgkmcnt(0)
	v_add_f64 v[17:18], v[15:16], v[23:24]
	v_xor_b32_e32 v15, 2, v26
	s_delay_alu instid0(VALU_DEP_1) | instskip(SKIP_1) | instid1(VALU_DEP_1)
	v_cmp_gt_i32_e32 vcc_lo, 32, v15
	v_cndmask_b32_e32 v15, v26, v15, vcc_lo
	v_lshlrev_b32_e32 v24, 2, v15
	ds_bpermute_b32 v15, v24, v9
	ds_bpermute_b32 v16, v24, v10
	;; [unrolled: 1-line block ×8, first 2 shown]
	s_waitcnt lgkmcnt(6)
	v_add_f64 v[9:10], v[9:10], v[15:16]
	s_waitcnt lgkmcnt(4)
	v_add_f64 v[15:16], v[11:12], v[19:20]
	;; [unrolled: 2-line block ×4, first 2 shown]
	v_xor_b32_e32 v17, 1, v26
	s_delay_alu instid0(VALU_DEP_1) | instskip(SKIP_2) | instid1(VALU_DEP_2)
	v_cmp_gt_i32_e32 vcc_lo, 32, v17
	v_cndmask_b32_e32 v17, v26, v17, vcc_lo
	v_cmp_eq_u32_e32 vcc_lo, 15, v25
	v_lshlrev_b32_e32 v20, 2, v17
	ds_bpermute_b32 v23, v20, v9
	ds_bpermute_b32 v24, v20, v10
	;; [unrolled: 1-line block ×8, first 2 shown]
	s_and_b32 exec_lo, exec_lo, vcc_lo
	s_cbranch_execz .LBB280_29
; %bb.25:
	v_cmp_eq_f64_e32 vcc_lo, 0, v[4:5]
	v_cmp_eq_f64_e64 s0, 0, v[6:7]
	s_waitcnt lgkmcnt(6)
	v_add_f64 v[9:10], v[9:10], v[23:24]
	s_waitcnt lgkmcnt(4)
	v_add_f64 v[15:16], v[15:16], v[21:22]
	;; [unrolled: 2-line block ×4, first 2 shown]
	s_load_b64 s[2:3], s[2:3], 0x48
	s_and_b32 s0, vcc_lo, s0
	s_delay_alu instid0(SALU_CYCLE_1) | instskip(NEXT) | instid1(SALU_CYCLE_1)
	s_and_saveexec_b32 s1, s0
	s_xor_b32 s0, exec_lo, s1
	s_cbranch_execz .LBB280_27
; %bb.26:
	s_delay_alu instid0(VALU_DEP_3) | instskip(SKIP_1) | instid1(VALU_DEP_3)
	v_mul_f64 v[4:5], v[15:16], -v[2:3]
	v_mul_f64 v[6:7], v[0:1], v[15:16]
	v_mul_f64 v[15:16], v[13:14], -v[2:3]
	v_mul_f64 v[13:14], v[0:1], v[13:14]
	v_lshlrev_b32_e32 v8, 1, v8
	v_fma_f64 v[4:5], v[0:1], v[9:10], v[4:5]
	v_fma_f64 v[6:7], v[2:3], v[9:10], v[6:7]
	;; [unrolled: 1-line block ×4, first 2 shown]
	v_ashrrev_i32_e32 v9, 31, v8
                                        ; implicit-def: $vgpr15_vgpr16
                                        ; implicit-def: $vgpr11_vgpr12
                                        ; implicit-def: $vgpr13_vgpr14
	s_delay_alu instid0(VALU_DEP_1) | instskip(SKIP_1) | instid1(VALU_DEP_1)
	v_lshlrev_b64 v[8:9], 4, v[8:9]
	s_waitcnt lgkmcnt(0)
	v_add_co_u32 v8, vcc_lo, s2, v8
	s_delay_alu instid0(VALU_DEP_2)
	v_add_co_ci_u32_e32 v9, vcc_lo, s3, v9, vcc_lo
	s_clause 0x1
	global_store_b128 v[8:9], v[4:7], off
	global_store_b128 v[8:9], v[0:3], off offset:16
                                        ; implicit-def: $vgpr0_vgpr1
                                        ; implicit-def: $vgpr2_vgpr3
                                        ; implicit-def: $vgpr4_vgpr5
                                        ; implicit-def: $vgpr6_vgpr7
                                        ; implicit-def: $vgpr8
                                        ; implicit-def: $vgpr9_vgpr10
.LBB280_27:
	s_and_not1_saveexec_b32 s0, s0
	s_cbranch_execz .LBB280_29
; %bb.28:
	v_lshlrev_b32_e32 v17, 1, v8
	s_delay_alu instid0(VALU_DEP_4) | instskip(SKIP_1) | instid1(VALU_DEP_4)
	v_mul_f64 v[27:28], v[15:16], -v[2:3]
	v_mul_f64 v[15:16], v[0:1], v[15:16]
	v_mul_f64 v[29:30], v[13:14], -v[2:3]
	v_mul_f64 v[13:14], v[0:1], v[13:14]
	v_ashrrev_i32_e32 v18, 31, v17
	s_delay_alu instid0(VALU_DEP_1) | instskip(SKIP_1) | instid1(VALU_DEP_1)
	v_lshlrev_b64 v[17:18], 4, v[17:18]
	s_waitcnt lgkmcnt(0)
	v_add_co_u32 v25, vcc_lo, s2, v17
	s_delay_alu instid0(VALU_DEP_2)
	v_add_co_ci_u32_e32 v26, vcc_lo, s3, v18, vcc_lo
	s_clause 0x1
	global_load_b128 v[17:20], v[25:26], off
	global_load_b128 v[21:24], v[25:26], off offset:16
	v_fma_f64 v[27:28], v[0:1], v[9:10], v[27:28]
	v_fma_f64 v[8:9], v[2:3], v[9:10], v[15:16]
	;; [unrolled: 1-line block ×4, first 2 shown]
	s_waitcnt vmcnt(1)
	s_delay_alu instid0(VALU_DEP_4) | instskip(NEXT) | instid1(VALU_DEP_4)
	v_fma_f64 v[10:11], v[4:5], v[17:18], v[27:28]
	v_fma_f64 v[8:9], v[6:7], v[17:18], v[8:9]
	s_waitcnt vmcnt(0)
	s_delay_alu instid0(VALU_DEP_4) | instskip(NEXT) | instid1(VALU_DEP_4)
	v_fma_f64 v[12:13], v[4:5], v[21:22], v[0:1]
	v_fma_f64 v[14:15], v[6:7], v[21:22], v[2:3]
	s_delay_alu instid0(VALU_DEP_4) | instskip(NEXT) | instid1(VALU_DEP_4)
	v_fma_f64 v[0:1], -v[6:7], v[19:20], v[10:11]
	v_fma_f64 v[2:3], v[4:5], v[19:20], v[8:9]
	s_delay_alu instid0(VALU_DEP_4) | instskip(NEXT) | instid1(VALU_DEP_4)
	v_fma_f64 v[6:7], -v[6:7], v[23:24], v[12:13]
	v_fma_f64 v[8:9], v[4:5], v[23:24], v[14:15]
	s_clause 0x1
	global_store_b128 v[25:26], v[0:3], off
	global_store_b128 v[25:26], v[6:9], off offset:16
.LBB280_29:
	s_nop 0
	s_sendmsg sendmsg(MSG_DEALLOC_VGPRS)
	s_endpgm
	.section	.rodata,"a",@progbits
	.p2align	6, 0x0
	.amdhsa_kernel _ZN9rocsparseL19gebsrmvn_2xn_kernelILj128ELj12ELj16E21rocsparse_complex_numIdEEEvi20rocsparse_direction_NS_24const_host_device_scalarIT2_EEPKiS8_PKS5_SA_S6_PS5_21rocsparse_index_base_b
		.amdhsa_group_segment_fixed_size 2048
		.amdhsa_private_segment_fixed_size 0
		.amdhsa_kernarg_size 88
		.amdhsa_user_sgpr_count 15
		.amdhsa_user_sgpr_dispatch_ptr 1
		.amdhsa_user_sgpr_queue_ptr 0
		.amdhsa_user_sgpr_kernarg_segment_ptr 1
		.amdhsa_user_sgpr_dispatch_id 0
		.amdhsa_user_sgpr_private_segment_size 0
		.amdhsa_wavefront_size32 1
		.amdhsa_uses_dynamic_stack 0
		.amdhsa_enable_private_segment 0
		.amdhsa_system_sgpr_workgroup_id_x 1
		.amdhsa_system_sgpr_workgroup_id_y 0
		.amdhsa_system_sgpr_workgroup_id_z 0
		.amdhsa_system_sgpr_workgroup_info 0
		.amdhsa_system_vgpr_workitem_id 2
		.amdhsa_next_free_vgpr 76
		.amdhsa_next_free_sgpr 18
		.amdhsa_reserve_vcc 1
		.amdhsa_float_round_mode_32 0
		.amdhsa_float_round_mode_16_64 0
		.amdhsa_float_denorm_mode_32 3
		.amdhsa_float_denorm_mode_16_64 3
		.amdhsa_dx10_clamp 1
		.amdhsa_ieee_mode 1
		.amdhsa_fp16_overflow 0
		.amdhsa_workgroup_processor_mode 1
		.amdhsa_memory_ordered 1
		.amdhsa_forward_progress 0
		.amdhsa_shared_vgpr_count 0
		.amdhsa_exception_fp_ieee_invalid_op 0
		.amdhsa_exception_fp_denorm_src 0
		.amdhsa_exception_fp_ieee_div_zero 0
		.amdhsa_exception_fp_ieee_overflow 0
		.amdhsa_exception_fp_ieee_underflow 0
		.amdhsa_exception_fp_ieee_inexact 0
		.amdhsa_exception_int_div_zero 0
	.end_amdhsa_kernel
	.section	.text._ZN9rocsparseL19gebsrmvn_2xn_kernelILj128ELj12ELj16E21rocsparse_complex_numIdEEEvi20rocsparse_direction_NS_24const_host_device_scalarIT2_EEPKiS8_PKS5_SA_S6_PS5_21rocsparse_index_base_b,"axG",@progbits,_ZN9rocsparseL19gebsrmvn_2xn_kernelILj128ELj12ELj16E21rocsparse_complex_numIdEEEvi20rocsparse_direction_NS_24const_host_device_scalarIT2_EEPKiS8_PKS5_SA_S6_PS5_21rocsparse_index_base_b,comdat
.Lfunc_end280:
	.size	_ZN9rocsparseL19gebsrmvn_2xn_kernelILj128ELj12ELj16E21rocsparse_complex_numIdEEEvi20rocsparse_direction_NS_24const_host_device_scalarIT2_EEPKiS8_PKS5_SA_S6_PS5_21rocsparse_index_base_b, .Lfunc_end280-_ZN9rocsparseL19gebsrmvn_2xn_kernelILj128ELj12ELj16E21rocsparse_complex_numIdEEEvi20rocsparse_direction_NS_24const_host_device_scalarIT2_EEPKiS8_PKS5_SA_S6_PS5_21rocsparse_index_base_b
                                        ; -- End function
	.section	.AMDGPU.csdata,"",@progbits
; Kernel info:
; codeLenInByte = 3028
; NumSgprs: 20
; NumVgprs: 76
; ScratchSize: 0
; MemoryBound: 1
; FloatMode: 240
; IeeeMode: 1
; LDSByteSize: 2048 bytes/workgroup (compile time only)
; SGPRBlocks: 2
; VGPRBlocks: 9
; NumSGPRsForWavesPerEU: 20
; NumVGPRsForWavesPerEU: 76
; Occupancy: 16
; WaveLimiterHint : 1
; COMPUTE_PGM_RSRC2:SCRATCH_EN: 0
; COMPUTE_PGM_RSRC2:USER_SGPR: 15
; COMPUTE_PGM_RSRC2:TRAP_HANDLER: 0
; COMPUTE_PGM_RSRC2:TGID_X_EN: 1
; COMPUTE_PGM_RSRC2:TGID_Y_EN: 0
; COMPUTE_PGM_RSRC2:TGID_Z_EN: 0
; COMPUTE_PGM_RSRC2:TIDIG_COMP_CNT: 2
	.section	.text._ZN9rocsparseL19gebsrmvn_2xn_kernelILj128ELj12ELj32E21rocsparse_complex_numIdEEEvi20rocsparse_direction_NS_24const_host_device_scalarIT2_EEPKiS8_PKS5_SA_S6_PS5_21rocsparse_index_base_b,"axG",@progbits,_ZN9rocsparseL19gebsrmvn_2xn_kernelILj128ELj12ELj32E21rocsparse_complex_numIdEEEvi20rocsparse_direction_NS_24const_host_device_scalarIT2_EEPKiS8_PKS5_SA_S6_PS5_21rocsparse_index_base_b,comdat
	.globl	_ZN9rocsparseL19gebsrmvn_2xn_kernelILj128ELj12ELj32E21rocsparse_complex_numIdEEEvi20rocsparse_direction_NS_24const_host_device_scalarIT2_EEPKiS8_PKS5_SA_S6_PS5_21rocsparse_index_base_b ; -- Begin function _ZN9rocsparseL19gebsrmvn_2xn_kernelILj128ELj12ELj32E21rocsparse_complex_numIdEEEvi20rocsparse_direction_NS_24const_host_device_scalarIT2_EEPKiS8_PKS5_SA_S6_PS5_21rocsparse_index_base_b
	.p2align	8
	.type	_ZN9rocsparseL19gebsrmvn_2xn_kernelILj128ELj12ELj32E21rocsparse_complex_numIdEEEvi20rocsparse_direction_NS_24const_host_device_scalarIT2_EEPKiS8_PKS5_SA_S6_PS5_21rocsparse_index_base_b,@function
_ZN9rocsparseL19gebsrmvn_2xn_kernelILj128ELj12ELj32E21rocsparse_complex_numIdEEEvi20rocsparse_direction_NS_24const_host_device_scalarIT2_EEPKiS8_PKS5_SA_S6_PS5_21rocsparse_index_base_b: ; @_ZN9rocsparseL19gebsrmvn_2xn_kernelILj128ELj12ELj32E21rocsparse_complex_numIdEEEvi20rocsparse_direction_NS_24const_host_device_scalarIT2_EEPKiS8_PKS5_SA_S6_PS5_21rocsparse_index_base_b
; %bb.0:
	s_load_b64 s[12:13], s[2:3], 0x50
	s_load_b64 s[16:17], s[0:1], 0x4
	s_load_b128 s[8:11], s[2:3], 0x8
	v_bfe_u32 v1, v0, 10, 10
	s_mov_b64 s[0:1], src_shared_base
	s_load_b128 s[4:7], s[2:3], 0x38
	v_and_b32_e32 v12, 0x3ff, v0
	v_bfe_u32 v0, v0, 20, 10
	s_waitcnt lgkmcnt(0)
	s_bitcmp1_b32 s13, 0
	v_mul_u32_u24_e32 v1, s17, v1
	s_cselect_b32 s0, -1, 0
	s_delay_alu instid0(SALU_CYCLE_1)
	s_and_b32 vcc_lo, s0, exec_lo
	s_cselect_b32 s13, s1, s9
	s_lshr_b32 s14, s16, 16
	v_dual_mov_b32 v2, s4 :: v_dual_mov_b32 v3, s5
	s_mul_i32 s14, s14, s17
	v_mov_b32_e32 v6, s13
	v_mad_u32_u24 v1, s14, v12, v1
	s_delay_alu instid0(VALU_DEP_1) | instskip(SKIP_1) | instid1(VALU_DEP_2)
	v_add_lshl_u32 v4, v1, v0, 3
	v_dual_mov_b32 v0, s8 :: v_dual_mov_b32 v1, s9
	v_add_nc_u32_e32 v5, 0x400, v4
	ds_store_2addr_stride64_b64 v4, v[2:3], v[0:1] offset1:2
	v_dual_mov_b32 v2, s10 :: v_dual_mov_b32 v3, s11
	v_cndmask_b32_e64 v5, s8, v5, s0
	s_xor_b32 s10, s0, -1
	flat_load_b64 v[0:1], v[5:6]
	s_cbranch_vccnz .LBB281_2
; %bb.1:
	v_dual_mov_b32 v2, s8 :: v_dual_mov_b32 v3, s9
	flat_load_b64 v[2:3], v[2:3] offset:8
.LBB281_2:
	s_and_b32 s8, s0, exec_lo
	s_cselect_b32 s1, s1, s5
	v_cndmask_b32_e64 v4, s4, v4, s0
	v_dual_mov_b32 v5, s1 :: v_dual_mov_b32 v6, s6
	v_mov_b32_e32 v7, s7
	s_and_not1_b32 vcc_lo, exec_lo, s10
	flat_load_b64 v[4:5], v[4:5]
	s_cbranch_vccnz .LBB281_4
; %bb.3:
	v_dual_mov_b32 v7, s5 :: v_dual_mov_b32 v6, s4
	flat_load_b64 v[6:7], v[6:7] offset:8
.LBB281_4:
	s_waitcnt vmcnt(1) lgkmcnt(1)
	v_cmp_eq_f64_e32 vcc_lo, 0, v[0:1]
	v_cmp_eq_f64_e64 s0, 0, v[2:3]
	s_delay_alu instid0(VALU_DEP_1)
	s_and_b32 s4, vcc_lo, s0
	s_mov_b32 s0, -1
	s_and_saveexec_b32 s1, s4
	s_cbranch_execz .LBB281_6
; %bb.5:
	s_waitcnt vmcnt(0) lgkmcnt(0)
	v_cmp_neq_f64_e32 vcc_lo, 1.0, v[4:5]
	v_cmp_neq_f64_e64 s0, 0, v[6:7]
	s_delay_alu instid0(VALU_DEP_1) | instskip(NEXT) | instid1(SALU_CYCLE_1)
	s_or_b32 s0, vcc_lo, s0
	s_or_not1_b32 s0, s0, exec_lo
.LBB281_6:
	s_or_b32 exec_lo, exec_lo, s1
	s_and_saveexec_b32 s1, s0
	s_cbranch_execz .LBB281_29
; %bb.7:
	s_load_b64 s[0:1], s[2:3], 0x0
	v_lshrrev_b32_e32 v8, 5, v12
	s_delay_alu instid0(VALU_DEP_1) | instskip(SKIP_1) | instid1(VALU_DEP_1)
	v_lshl_or_b32 v8, s15, 2, v8
	s_waitcnt lgkmcnt(0)
	v_cmp_gt_i32_e32 vcc_lo, s0, v8
	s_and_b32 exec_lo, exec_lo, vcc_lo
	s_cbranch_execz .LBB281_29
; %bb.8:
	s_load_b256 s[4:11], s[2:3], 0x18
	v_ashrrev_i32_e32 v9, 31, v8
	v_and_b32_e32 v25, 31, v12
	s_cmp_lg_u32 s1, 0
	s_delay_alu instid0(VALU_DEP_2) | instskip(SKIP_1) | instid1(VALU_DEP_1)
	v_lshlrev_b64 v[9:10], 2, v[8:9]
	s_waitcnt lgkmcnt(0)
	v_add_co_u32 v9, vcc_lo, s4, v9
	s_delay_alu instid0(VALU_DEP_2) | instskip(SKIP_4) | instid1(VALU_DEP_2)
	v_add_co_ci_u32_e32 v10, vcc_lo, s5, v10, vcc_lo
	global_load_b64 v[10:11], v[9:10], off
	s_waitcnt vmcnt(0)
	v_subrev_nc_u32_e32 v9, s12, v10
	v_subrev_nc_u32_e32 v24, s12, v11
	v_add_nc_u32_e32 v9, v9, v25
	s_delay_alu instid0(VALU_DEP_1)
	v_cmp_lt_i32_e64 s0, v9, v24
	s_cbranch_scc0 .LBB281_16
; %bb.9:
	v_mov_b32_e32 v11, 0
	v_mov_b32_e32 v12, 0
	s_delay_alu instid0(VALU_DEP_1)
	v_dual_mov_b32 v18, v12 :: v_dual_mov_b32 v17, v11
	v_dual_mov_b32 v14, v12 :: v_dual_mov_b32 v13, v11
	;; [unrolled: 1-line block ×3, first 2 shown]
	s_and_saveexec_b32 s1, s0
	s_cbranch_execz .LBB281_15
; %bb.10:
	v_mul_lo_u32 v13, v10, 24
	v_dual_mov_b32 v11, 0 :: v_dual_mov_b32 v20, 0
	v_dual_mov_b32 v12, 0 :: v_dual_mov_b32 v21, v9
	v_mul_lo_u32 v26, v9, 24
	s_mul_i32 s4, s12, 24
	s_delay_alu instid0(VALU_DEP_2) | instskip(SKIP_2) | instid1(VALU_DEP_2)
	v_dual_mov_b32 v18, v12 :: v_dual_mov_b32 v17, v11
	v_mad_u32_u24 v15, v25, 24, v13
	v_dual_mov_b32 v14, v12 :: v_dual_mov_b32 v13, v11
	v_subrev_nc_u32_e32 v27, s4, v15
	v_dual_mov_b32 v16, v12 :: v_dual_mov_b32 v15, v11
	s_mov_b32 s4, 0
.LBB281_11:                             ; =>This Loop Header: Depth=1
                                        ;     Child Loop BB281_12 Depth 2
	v_ashrrev_i32_e32 v22, 31, v21
	s_mov_b32 s5, 0
	s_delay_alu instid0(VALU_DEP_1) | instskip(NEXT) | instid1(VALU_DEP_1)
	v_lshlrev_b64 v[22:23], 2, v[21:22]
	v_add_co_u32 v22, vcc_lo, s6, v22
	s_delay_alu instid0(VALU_DEP_2) | instskip(SKIP_3) | instid1(VALU_DEP_1)
	v_add_co_ci_u32_e32 v23, vcc_lo, s7, v23, vcc_lo
	global_load_b32 v19, v[22:23], off
	s_waitcnt vmcnt(0)
	v_subrev_nc_u32_e32 v19, s12, v19
	v_mul_lo_u32 v22, v19, 12
.LBB281_12:                             ;   Parent Loop BB281_11 Depth=1
                                        ; =>  This Inner Loop Header: Depth=2
	v_add_nc_u32_e32 v19, s5, v27
	v_mov_b32_e32 v23, v20
	s_delay_alu instid0(VALU_DEP_2) | instskip(NEXT) | instid1(VALU_DEP_2)
	v_lshlrev_b64 v[28:29], 4, v[19:20]
	v_lshlrev_b64 v[30:31], 4, v[22:23]
	v_add_nc_u32_e32 v22, 4, v22
	v_add3_u32 v19, v26, s5, 4
	s_add_i32 s5, s5, 8
	s_delay_alu instid0(SALU_CYCLE_1)
	s_cmp_eq_u32 s5, 24
	v_add_co_u32 v48, vcc_lo, s8, v28
	v_add_co_ci_u32_e32 v49, vcc_lo, s9, v29, vcc_lo
	v_add_co_u32 v56, vcc_lo, s10, v30
	v_add_co_ci_u32_e32 v57, vcc_lo, s11, v31, vcc_lo
	global_load_b128 v[28:31], v[48:49], off
	global_load_b128 v[32:35], v[56:57], off
	global_load_b128 v[36:39], v[48:49], off offset:16
	global_load_b128 v[40:43], v[56:57], off offset:16
	s_clause 0x1
	global_load_b128 v[44:47], v[48:49], off offset:32
	global_load_b128 v[48:51], v[48:49], off offset:48
	v_lshlrev_b64 v[52:53], 4, v[19:20]
	s_delay_alu instid0(VALU_DEP_1) | instskip(NEXT) | instid1(VALU_DEP_2)
	v_add_co_u32 v72, vcc_lo, s8, v52
	v_add_co_ci_u32_e32 v73, vcc_lo, s9, v53, vcc_lo
	s_clause 0x1
	global_load_b128 v[52:55], v[56:57], off offset:48
	global_load_b128 v[56:59], v[56:57], off offset:32
	s_clause 0x3
	global_load_b128 v[60:63], v[72:73], off
	global_load_b128 v[64:67], v[72:73], off offset:16
	global_load_b128 v[68:71], v[72:73], off offset:32
	;; [unrolled: 1-line block ×3, first 2 shown]
	s_waitcnt vmcnt(10)
	v_fma_f64 v[17:18], v[28:29], v[32:33], v[17:18]
	v_fma_f64 v[11:12], v[30:31], v[32:33], v[11:12]
	s_waitcnt vmcnt(9)
	v_fma_f64 v[13:14], v[36:37], v[32:33], v[13:14]
	v_fma_f64 v[15:16], v[38:39], v[32:33], v[15:16]
	s_delay_alu instid0(VALU_DEP_4) | instskip(NEXT) | instid1(VALU_DEP_4)
	v_fma_f64 v[17:18], -v[30:31], v[34:35], v[17:18]
	v_fma_f64 v[11:12], v[28:29], v[34:35], v[11:12]
	s_delay_alu instid0(VALU_DEP_4) | instskip(NEXT) | instid1(VALU_DEP_4)
	v_fma_f64 v[13:14], -v[38:39], v[34:35], v[13:14]
	v_fma_f64 v[15:16], v[36:37], v[34:35], v[15:16]
	s_waitcnt vmcnt(7)
	s_delay_alu instid0(VALU_DEP_4) | instskip(NEXT) | instid1(VALU_DEP_4)
	v_fma_f64 v[17:18], v[44:45], v[40:41], v[17:18]
	v_fma_f64 v[11:12], v[46:47], v[40:41], v[11:12]
	s_waitcnt vmcnt(6)
	s_delay_alu instid0(VALU_DEP_4) | instskip(NEXT) | instid1(VALU_DEP_4)
	v_fma_f64 v[13:14], v[48:49], v[40:41], v[13:14]
	v_fma_f64 v[15:16], v[50:51], v[40:41], v[15:16]
	s_delay_alu instid0(VALU_DEP_4) | instskip(NEXT) | instid1(VALU_DEP_4)
	v_fma_f64 v[17:18], -v[46:47], v[42:43], v[17:18]
	v_fma_f64 v[11:12], v[44:45], v[42:43], v[11:12]
	s_delay_alu instid0(VALU_DEP_4) | instskip(NEXT) | instid1(VALU_DEP_4)
	v_fma_f64 v[13:14], -v[50:51], v[42:43], v[13:14]
	v_fma_f64 v[15:16], v[48:49], v[42:43], v[15:16]
	s_waitcnt vmcnt(3)
	s_delay_alu instid0(VALU_DEP_4) | instskip(NEXT) | instid1(VALU_DEP_4)
	v_fma_f64 v[17:18], v[60:61], v[56:57], v[17:18]
	v_fma_f64 v[11:12], v[62:63], v[56:57], v[11:12]
	s_waitcnt vmcnt(2)
	s_delay_alu instid0(VALU_DEP_4) | instskip(NEXT) | instid1(VALU_DEP_4)
	;; [unrolled: 14-line block ×3, first 2 shown]
	v_fma_f64 v[13:14], v[72:73], v[52:53], v[13:14]
	v_fma_f64 v[15:16], v[74:75], v[52:53], v[15:16]
	s_delay_alu instid0(VALU_DEP_4) | instskip(NEXT) | instid1(VALU_DEP_4)
	v_fma_f64 v[17:18], -v[70:71], v[54:55], v[17:18]
	v_fma_f64 v[11:12], v[68:69], v[54:55], v[11:12]
	s_delay_alu instid0(VALU_DEP_4) | instskip(NEXT) | instid1(VALU_DEP_4)
	v_fma_f64 v[13:14], -v[74:75], v[54:55], v[13:14]
	v_fma_f64 v[15:16], v[72:73], v[54:55], v[15:16]
	s_cbranch_scc0 .LBB281_12
; %bb.13:                               ;   in Loop: Header=BB281_11 Depth=1
	v_add_nc_u32_e32 v21, 32, v21
	v_add_nc_u32_e32 v26, 0x300, v26
	;; [unrolled: 1-line block ×3, first 2 shown]
	s_delay_alu instid0(VALU_DEP_3) | instskip(SKIP_1) | instid1(SALU_CYCLE_1)
	v_cmp_ge_i32_e32 vcc_lo, v21, v24
	s_or_b32 s4, vcc_lo, s4
	s_and_not1_b32 exec_lo, exec_lo, s4
	s_cbranch_execnz .LBB281_11
; %bb.14:
	s_or_b32 exec_lo, exec_lo, s4
.LBB281_15:
	s_delay_alu instid0(SALU_CYCLE_1)
	s_or_b32 exec_lo, exec_lo, s1
	s_cbranch_execz .LBB281_17
	s_branch .LBB281_24
.LBB281_16:
                                        ; implicit-def: $vgpr11_vgpr12
                                        ; implicit-def: $vgpr17_vgpr18
                                        ; implicit-def: $vgpr13_vgpr14
                                        ; implicit-def: $vgpr15_vgpr16
.LBB281_17:
	v_mov_b32_e32 v11, 0
	v_mov_b32_e32 v12, 0
	s_delay_alu instid0(VALU_DEP_1)
	v_dual_mov_b32 v18, v12 :: v_dual_mov_b32 v17, v11
	v_dual_mov_b32 v14, v12 :: v_dual_mov_b32 v13, v11
	;; [unrolled: 1-line block ×3, first 2 shown]
	s_and_saveexec_b32 s1, s0
	s_cbranch_execz .LBB281_23
; %bb.18:
	v_mul_lo_u32 v10, v10, 24
	v_dual_mov_b32 v11, 0 :: v_dual_mov_b32 v20, 0
	v_mov_b32_e32 v12, 0
	v_mul_lo_u32 v21, v9, 24
	s_mul_i32 s0, s12, 24
	s_delay_alu instid0(VALU_DEP_2) | instskip(SKIP_3) | instid1(VALU_DEP_3)
	v_dual_mov_b32 v18, v12 :: v_dual_mov_b32 v17, v11
	v_mad_u32_u24 v10, v25, 24, v10
	v_dual_mov_b32 v14, v12 :: v_dual_mov_b32 v13, v11
	v_dual_mov_b32 v16, v12 :: v_dual_mov_b32 v15, v11
	v_subrev_nc_u32_e32 v22, s0, v10
	s_mov_b32 s0, 0
.LBB281_19:                             ; =>This Loop Header: Depth=1
                                        ;     Child Loop BB281_20 Depth 2
	v_ashrrev_i32_e32 v10, 31, v9
	s_mov_b32 s4, 0
	s_delay_alu instid0(VALU_DEP_1) | instskip(NEXT) | instid1(VALU_DEP_1)
	v_lshlrev_b64 v[26:27], 2, v[9:10]
	v_add_co_u32 v26, vcc_lo, s6, v26
	s_delay_alu instid0(VALU_DEP_2) | instskip(SKIP_3) | instid1(VALU_DEP_1)
	v_add_co_ci_u32_e32 v27, vcc_lo, s7, v27, vcc_lo
	global_load_b32 v10, v[26:27], off
	s_waitcnt vmcnt(0)
	v_subrev_nc_u32_e32 v10, s12, v10
	v_mul_lo_u32 v10, v10, 12
.LBB281_20:                             ;   Parent Loop BB281_19 Depth=1
                                        ; =>  This Inner Loop Header: Depth=2
	v_add_nc_u32_e32 v19, s4, v22
	s_delay_alu instid0(VALU_DEP_1) | instskip(NEXT) | instid1(VALU_DEP_3)
	v_lshlrev_b64 v[26:27], 4, v[19:20]
	v_add_nc_u32_e32 v19, s4, v10
	s_delay_alu instid0(VALU_DEP_1) | instskip(SKIP_1) | instid1(VALU_DEP_4)
	v_lshlrev_b64 v[30:31], 4, v[19:20]
	v_add3_u32 v19, v21, s4, 12
	v_add_co_u32 v54, vcc_lo, s8, v26
	v_add_co_ci_u32_e32 v55, vcc_lo, s9, v27, vcc_lo
	s_delay_alu instid0(VALU_DEP_3)
	v_lshlrev_b64 v[32:33], 4, v[19:20]
	v_add_co_u32 v62, vcc_lo, s10, v30
	v_add_co_ci_u32_e32 v63, vcc_lo, s11, v31, vcc_lo
	global_load_b128 v[26:29], v[54:55], off offset:16
	v_add_co_u32 v70, vcc_lo, s8, v32
	v_add_co_ci_u32_e32 v71, vcc_lo, s9, v33, vcc_lo
	global_load_b128 v[30:33], v[54:55], off
	s_clause 0x1
	global_load_b128 v[34:37], v[62:63], off
	global_load_b128 v[38:41], v[62:63], off offset:16
	s_clause 0x3
	global_load_b128 v[42:45], v[70:71], off
	global_load_b128 v[46:49], v[70:71], off offset:16
	global_load_b128 v[50:53], v[54:55], off offset:48
	;; [unrolled: 1-line block ×3, first 2 shown]
	s_clause 0x1
	global_load_b128 v[58:61], v[62:63], off offset:32
	global_load_b128 v[62:65], v[62:63], off offset:48
	s_clause 0x1
	global_load_b128 v[66:69], v[70:71], off offset:32
	global_load_b128 v[70:73], v[70:71], off offset:48
	s_add_i32 s4, s4, 4
	s_delay_alu instid0(SALU_CYCLE_1)
	s_cmp_eq_u32 s4, 12
	s_waitcnt vmcnt(9)
	v_fma_f64 v[17:18], v[30:31], v[34:35], v[17:18]
	v_fma_f64 v[11:12], v[32:33], v[34:35], v[11:12]
	s_waitcnt vmcnt(7)
	v_fma_f64 v[13:14], v[42:43], v[34:35], v[13:14]
	v_fma_f64 v[15:16], v[44:45], v[34:35], v[15:16]
	s_delay_alu instid0(VALU_DEP_4) | instskip(NEXT) | instid1(VALU_DEP_4)
	v_fma_f64 v[17:18], -v[32:33], v[36:37], v[17:18]
	v_fma_f64 v[11:12], v[30:31], v[36:37], v[11:12]
	s_delay_alu instid0(VALU_DEP_4) | instskip(NEXT) | instid1(VALU_DEP_4)
	v_fma_f64 v[13:14], -v[44:45], v[36:37], v[13:14]
	v_fma_f64 v[15:16], v[42:43], v[36:37], v[15:16]
	s_delay_alu instid0(VALU_DEP_4) | instskip(NEXT) | instid1(VALU_DEP_4)
	v_fma_f64 v[17:18], v[26:27], v[38:39], v[17:18]
	v_fma_f64 v[11:12], v[28:29], v[38:39], v[11:12]
	s_waitcnt vmcnt(6)
	s_delay_alu instid0(VALU_DEP_4) | instskip(NEXT) | instid1(VALU_DEP_4)
	v_fma_f64 v[13:14], v[46:47], v[38:39], v[13:14]
	v_fma_f64 v[15:16], v[48:49], v[38:39], v[15:16]
	s_delay_alu instid0(VALU_DEP_4) | instskip(NEXT) | instid1(VALU_DEP_4)
	v_fma_f64 v[17:18], -v[28:29], v[40:41], v[17:18]
	v_fma_f64 v[11:12], v[26:27], v[40:41], v[11:12]
	s_delay_alu instid0(VALU_DEP_4) | instskip(NEXT) | instid1(VALU_DEP_4)
	v_fma_f64 v[13:14], -v[48:49], v[40:41], v[13:14]
	v_fma_f64 v[15:16], v[46:47], v[40:41], v[15:16]
	s_waitcnt vmcnt(3)
	s_delay_alu instid0(VALU_DEP_4) | instskip(NEXT) | instid1(VALU_DEP_4)
	v_fma_f64 v[17:18], v[54:55], v[58:59], v[17:18]
	v_fma_f64 v[11:12], v[56:57], v[58:59], v[11:12]
	s_waitcnt vmcnt(1)
	s_delay_alu instid0(VALU_DEP_4) | instskip(NEXT) | instid1(VALU_DEP_4)
	v_fma_f64 v[13:14], v[66:67], v[58:59], v[13:14]
	v_fma_f64 v[15:16], v[68:69], v[58:59], v[15:16]
	s_delay_alu instid0(VALU_DEP_4) | instskip(NEXT) | instid1(VALU_DEP_4)
	v_fma_f64 v[17:18], -v[56:57], v[60:61], v[17:18]
	v_fma_f64 v[11:12], v[54:55], v[60:61], v[11:12]
	s_delay_alu instid0(VALU_DEP_4) | instskip(NEXT) | instid1(VALU_DEP_4)
	v_fma_f64 v[13:14], -v[68:69], v[60:61], v[13:14]
	v_fma_f64 v[15:16], v[66:67], v[60:61], v[15:16]
	s_delay_alu instid0(VALU_DEP_4) | instskip(NEXT) | instid1(VALU_DEP_4)
	v_fma_f64 v[17:18], v[50:51], v[62:63], v[17:18]
	v_fma_f64 v[11:12], v[52:53], v[62:63], v[11:12]
	s_waitcnt vmcnt(0)
	s_delay_alu instid0(VALU_DEP_4) | instskip(NEXT) | instid1(VALU_DEP_4)
	v_fma_f64 v[13:14], v[70:71], v[62:63], v[13:14]
	v_fma_f64 v[15:16], v[72:73], v[62:63], v[15:16]
	s_delay_alu instid0(VALU_DEP_4) | instskip(NEXT) | instid1(VALU_DEP_4)
	v_fma_f64 v[17:18], -v[52:53], v[64:65], v[17:18]
	v_fma_f64 v[11:12], v[50:51], v[64:65], v[11:12]
	s_delay_alu instid0(VALU_DEP_4) | instskip(NEXT) | instid1(VALU_DEP_4)
	v_fma_f64 v[13:14], -v[72:73], v[64:65], v[13:14]
	v_fma_f64 v[15:16], v[70:71], v[64:65], v[15:16]
	s_cbranch_scc0 .LBB281_20
; %bb.21:                               ;   in Loop: Header=BB281_19 Depth=1
	v_add_nc_u32_e32 v9, 32, v9
	v_add_nc_u32_e32 v21, 0x300, v21
	;; [unrolled: 1-line block ×3, first 2 shown]
	s_delay_alu instid0(VALU_DEP_3) | instskip(SKIP_1) | instid1(SALU_CYCLE_1)
	v_cmp_ge_i32_e32 vcc_lo, v9, v24
	s_or_b32 s0, vcc_lo, s0
	s_and_not1_b32 exec_lo, exec_lo, s0
	s_cbranch_execnz .LBB281_19
; %bb.22:
	s_or_b32 exec_lo, exec_lo, s0
.LBB281_23:
	s_delay_alu instid0(SALU_CYCLE_1)
	s_or_b32 exec_lo, exec_lo, s1
.LBB281_24:
	v_mbcnt_lo_u32_b32 v26, -1, 0
	s_delay_alu instid0(VALU_DEP_1) | instskip(NEXT) | instid1(VALU_DEP_1)
	v_xor_b32_e32 v9, 16, v26
	v_cmp_gt_i32_e32 vcc_lo, 32, v9
	v_cndmask_b32_e32 v9, v26, v9, vcc_lo
	s_delay_alu instid0(VALU_DEP_1)
	v_lshlrev_b32_e32 v24, 2, v9
	ds_bpermute_b32 v9, v24, v17
	ds_bpermute_b32 v10, v24, v18
	ds_bpermute_b32 v19, v24, v11
	ds_bpermute_b32 v20, v24, v12
	ds_bpermute_b32 v21, v24, v13
	ds_bpermute_b32 v22, v24, v14
	ds_bpermute_b32 v23, v24, v15
	ds_bpermute_b32 v24, v24, v16
	s_waitcnt lgkmcnt(6)
	v_add_f64 v[9:10], v[17:18], v[9:10]
	v_xor_b32_e32 v17, 8, v26
	s_waitcnt lgkmcnt(4)
	v_add_f64 v[11:12], v[11:12], v[19:20]
	s_waitcnt lgkmcnt(2)
	v_add_f64 v[13:14], v[13:14], v[21:22]
	s_waitcnt lgkmcnt(0)
	v_add_f64 v[15:16], v[15:16], v[23:24]
	v_cmp_gt_i32_e32 vcc_lo, 32, v17
	v_cndmask_b32_e32 v17, v26, v17, vcc_lo
	s_delay_alu instid0(VALU_DEP_1)
	v_lshlrev_b32_e32 v24, 2, v17
	ds_bpermute_b32 v17, v24, v9
	ds_bpermute_b32 v18, v24, v10
	;; [unrolled: 1-line block ×8, first 2 shown]
	s_waitcnt lgkmcnt(6)
	v_add_f64 v[9:10], v[9:10], v[17:18]
	v_xor_b32_e32 v17, 4, v26
	s_waitcnt lgkmcnt(4)
	v_add_f64 v[11:12], v[11:12], v[19:20]
	s_waitcnt lgkmcnt(2)
	v_add_f64 v[13:14], v[13:14], v[21:22]
	;; [unrolled: 2-line block ×3, first 2 shown]
	v_cmp_gt_i32_e32 vcc_lo, 32, v17
	v_cndmask_b32_e32 v17, v26, v17, vcc_lo
	s_delay_alu instid0(VALU_DEP_1)
	v_lshlrev_b32_e32 v24, 2, v17
	ds_bpermute_b32 v17, v24, v9
	ds_bpermute_b32 v18, v24, v10
	;; [unrolled: 1-line block ×8, first 2 shown]
	s_waitcnt lgkmcnt(6)
	v_add_f64 v[9:10], v[9:10], v[17:18]
	s_waitcnt lgkmcnt(4)
	v_add_f64 v[11:12], v[11:12], v[19:20]
	;; [unrolled: 2-line block ×4, first 2 shown]
	v_xor_b32_e32 v15, 2, v26
	s_delay_alu instid0(VALU_DEP_1) | instskip(SKIP_1) | instid1(VALU_DEP_1)
	v_cmp_gt_i32_e32 vcc_lo, 32, v15
	v_cndmask_b32_e32 v15, v26, v15, vcc_lo
	v_lshlrev_b32_e32 v24, 2, v15
	ds_bpermute_b32 v15, v24, v9
	ds_bpermute_b32 v16, v24, v10
	ds_bpermute_b32 v19, v24, v11
	ds_bpermute_b32 v20, v24, v12
	ds_bpermute_b32 v21, v24, v13
	ds_bpermute_b32 v22, v24, v14
	ds_bpermute_b32 v23, v24, v17
	ds_bpermute_b32 v24, v24, v18
	s_waitcnt lgkmcnt(6)
	v_add_f64 v[9:10], v[9:10], v[15:16]
	s_waitcnt lgkmcnt(4)
	v_add_f64 v[15:16], v[11:12], v[19:20]
	s_waitcnt lgkmcnt(2)
	v_add_f64 v[11:12], v[13:14], v[21:22]
	s_waitcnt lgkmcnt(0)
	v_add_f64 v[13:14], v[17:18], v[23:24]
	v_xor_b32_e32 v17, 1, v26
	s_delay_alu instid0(VALU_DEP_1) | instskip(SKIP_2) | instid1(VALU_DEP_2)
	v_cmp_gt_i32_e32 vcc_lo, 32, v17
	v_cndmask_b32_e32 v17, v26, v17, vcc_lo
	v_cmp_eq_u32_e32 vcc_lo, 31, v25
	v_lshlrev_b32_e32 v20, 2, v17
	ds_bpermute_b32 v23, v20, v9
	ds_bpermute_b32 v24, v20, v10
	;; [unrolled: 1-line block ×8, first 2 shown]
	s_and_b32 exec_lo, exec_lo, vcc_lo
	s_cbranch_execz .LBB281_29
; %bb.25:
	v_cmp_eq_f64_e32 vcc_lo, 0, v[4:5]
	v_cmp_eq_f64_e64 s0, 0, v[6:7]
	s_waitcnt lgkmcnt(6)
	v_add_f64 v[9:10], v[9:10], v[23:24]
	s_waitcnt lgkmcnt(4)
	v_add_f64 v[15:16], v[15:16], v[21:22]
	;; [unrolled: 2-line block ×4, first 2 shown]
	s_load_b64 s[2:3], s[2:3], 0x48
	s_and_b32 s0, vcc_lo, s0
	s_delay_alu instid0(SALU_CYCLE_1) | instskip(NEXT) | instid1(SALU_CYCLE_1)
	s_and_saveexec_b32 s1, s0
	s_xor_b32 s0, exec_lo, s1
	s_cbranch_execz .LBB281_27
; %bb.26:
	s_delay_alu instid0(VALU_DEP_3) | instskip(SKIP_1) | instid1(VALU_DEP_3)
	v_mul_f64 v[4:5], v[15:16], -v[2:3]
	v_mul_f64 v[6:7], v[0:1], v[15:16]
	v_mul_f64 v[15:16], v[13:14], -v[2:3]
	v_mul_f64 v[13:14], v[0:1], v[13:14]
	v_lshlrev_b32_e32 v8, 1, v8
	v_fma_f64 v[4:5], v[0:1], v[9:10], v[4:5]
	v_fma_f64 v[6:7], v[2:3], v[9:10], v[6:7]
	;; [unrolled: 1-line block ×4, first 2 shown]
	v_ashrrev_i32_e32 v9, 31, v8
                                        ; implicit-def: $vgpr15_vgpr16
                                        ; implicit-def: $vgpr11_vgpr12
                                        ; implicit-def: $vgpr13_vgpr14
	s_delay_alu instid0(VALU_DEP_1) | instskip(SKIP_1) | instid1(VALU_DEP_1)
	v_lshlrev_b64 v[8:9], 4, v[8:9]
	s_waitcnt lgkmcnt(0)
	v_add_co_u32 v8, vcc_lo, s2, v8
	s_delay_alu instid0(VALU_DEP_2)
	v_add_co_ci_u32_e32 v9, vcc_lo, s3, v9, vcc_lo
	s_clause 0x1
	global_store_b128 v[8:9], v[4:7], off
	global_store_b128 v[8:9], v[0:3], off offset:16
                                        ; implicit-def: $vgpr0_vgpr1
                                        ; implicit-def: $vgpr2_vgpr3
                                        ; implicit-def: $vgpr4_vgpr5
                                        ; implicit-def: $vgpr6_vgpr7
                                        ; implicit-def: $vgpr8
                                        ; implicit-def: $vgpr9_vgpr10
.LBB281_27:
	s_and_not1_saveexec_b32 s0, s0
	s_cbranch_execz .LBB281_29
; %bb.28:
	v_lshlrev_b32_e32 v17, 1, v8
	s_delay_alu instid0(VALU_DEP_4) | instskip(SKIP_1) | instid1(VALU_DEP_4)
	v_mul_f64 v[27:28], v[15:16], -v[2:3]
	v_mul_f64 v[15:16], v[0:1], v[15:16]
	v_mul_f64 v[29:30], v[13:14], -v[2:3]
	v_mul_f64 v[13:14], v[0:1], v[13:14]
	v_ashrrev_i32_e32 v18, 31, v17
	s_delay_alu instid0(VALU_DEP_1) | instskip(SKIP_1) | instid1(VALU_DEP_1)
	v_lshlrev_b64 v[17:18], 4, v[17:18]
	s_waitcnt lgkmcnt(0)
	v_add_co_u32 v25, vcc_lo, s2, v17
	s_delay_alu instid0(VALU_DEP_2)
	v_add_co_ci_u32_e32 v26, vcc_lo, s3, v18, vcc_lo
	s_clause 0x1
	global_load_b128 v[17:20], v[25:26], off
	global_load_b128 v[21:24], v[25:26], off offset:16
	v_fma_f64 v[27:28], v[0:1], v[9:10], v[27:28]
	v_fma_f64 v[8:9], v[2:3], v[9:10], v[15:16]
	;; [unrolled: 1-line block ×4, first 2 shown]
	s_waitcnt vmcnt(1)
	s_delay_alu instid0(VALU_DEP_4) | instskip(NEXT) | instid1(VALU_DEP_4)
	v_fma_f64 v[10:11], v[4:5], v[17:18], v[27:28]
	v_fma_f64 v[8:9], v[6:7], v[17:18], v[8:9]
	s_waitcnt vmcnt(0)
	s_delay_alu instid0(VALU_DEP_4) | instskip(NEXT) | instid1(VALU_DEP_4)
	v_fma_f64 v[12:13], v[4:5], v[21:22], v[0:1]
	v_fma_f64 v[14:15], v[6:7], v[21:22], v[2:3]
	s_delay_alu instid0(VALU_DEP_4) | instskip(NEXT) | instid1(VALU_DEP_4)
	v_fma_f64 v[0:1], -v[6:7], v[19:20], v[10:11]
	v_fma_f64 v[2:3], v[4:5], v[19:20], v[8:9]
	s_delay_alu instid0(VALU_DEP_4) | instskip(NEXT) | instid1(VALU_DEP_4)
	v_fma_f64 v[6:7], -v[6:7], v[23:24], v[12:13]
	v_fma_f64 v[8:9], v[4:5], v[23:24], v[14:15]
	s_clause 0x1
	global_store_b128 v[25:26], v[0:3], off
	global_store_b128 v[25:26], v[6:9], off offset:16
.LBB281_29:
	s_nop 0
	s_sendmsg sendmsg(MSG_DEALLOC_VGPRS)
	s_endpgm
	.section	.rodata,"a",@progbits
	.p2align	6, 0x0
	.amdhsa_kernel _ZN9rocsparseL19gebsrmvn_2xn_kernelILj128ELj12ELj32E21rocsparse_complex_numIdEEEvi20rocsparse_direction_NS_24const_host_device_scalarIT2_EEPKiS8_PKS5_SA_S6_PS5_21rocsparse_index_base_b
		.amdhsa_group_segment_fixed_size 2048
		.amdhsa_private_segment_fixed_size 0
		.amdhsa_kernarg_size 88
		.amdhsa_user_sgpr_count 15
		.amdhsa_user_sgpr_dispatch_ptr 1
		.amdhsa_user_sgpr_queue_ptr 0
		.amdhsa_user_sgpr_kernarg_segment_ptr 1
		.amdhsa_user_sgpr_dispatch_id 0
		.amdhsa_user_sgpr_private_segment_size 0
		.amdhsa_wavefront_size32 1
		.amdhsa_uses_dynamic_stack 0
		.amdhsa_enable_private_segment 0
		.amdhsa_system_sgpr_workgroup_id_x 1
		.amdhsa_system_sgpr_workgroup_id_y 0
		.amdhsa_system_sgpr_workgroup_id_z 0
		.amdhsa_system_sgpr_workgroup_info 0
		.amdhsa_system_vgpr_workitem_id 2
		.amdhsa_next_free_vgpr 76
		.amdhsa_next_free_sgpr 18
		.amdhsa_reserve_vcc 1
		.amdhsa_float_round_mode_32 0
		.amdhsa_float_round_mode_16_64 0
		.amdhsa_float_denorm_mode_32 3
		.amdhsa_float_denorm_mode_16_64 3
		.amdhsa_dx10_clamp 1
		.amdhsa_ieee_mode 1
		.amdhsa_fp16_overflow 0
		.amdhsa_workgroup_processor_mode 1
		.amdhsa_memory_ordered 1
		.amdhsa_forward_progress 0
		.amdhsa_shared_vgpr_count 0
		.amdhsa_exception_fp_ieee_invalid_op 0
		.amdhsa_exception_fp_denorm_src 0
		.amdhsa_exception_fp_ieee_div_zero 0
		.amdhsa_exception_fp_ieee_overflow 0
		.amdhsa_exception_fp_ieee_underflow 0
		.amdhsa_exception_fp_ieee_inexact 0
		.amdhsa_exception_int_div_zero 0
	.end_amdhsa_kernel
	.section	.text._ZN9rocsparseL19gebsrmvn_2xn_kernelILj128ELj12ELj32E21rocsparse_complex_numIdEEEvi20rocsparse_direction_NS_24const_host_device_scalarIT2_EEPKiS8_PKS5_SA_S6_PS5_21rocsparse_index_base_b,"axG",@progbits,_ZN9rocsparseL19gebsrmvn_2xn_kernelILj128ELj12ELj32E21rocsparse_complex_numIdEEEvi20rocsparse_direction_NS_24const_host_device_scalarIT2_EEPKiS8_PKS5_SA_S6_PS5_21rocsparse_index_base_b,comdat
.Lfunc_end281:
	.size	_ZN9rocsparseL19gebsrmvn_2xn_kernelILj128ELj12ELj32E21rocsparse_complex_numIdEEEvi20rocsparse_direction_NS_24const_host_device_scalarIT2_EEPKiS8_PKS5_SA_S6_PS5_21rocsparse_index_base_b, .Lfunc_end281-_ZN9rocsparseL19gebsrmvn_2xn_kernelILj128ELj12ELj32E21rocsparse_complex_numIdEEEvi20rocsparse_direction_NS_24const_host_device_scalarIT2_EEPKiS8_PKS5_SA_S6_PS5_21rocsparse_index_base_b
                                        ; -- End function
	.section	.AMDGPU.csdata,"",@progbits
; Kernel info:
; codeLenInByte = 3160
; NumSgprs: 20
; NumVgprs: 76
; ScratchSize: 0
; MemoryBound: 1
; FloatMode: 240
; IeeeMode: 1
; LDSByteSize: 2048 bytes/workgroup (compile time only)
; SGPRBlocks: 2
; VGPRBlocks: 9
; NumSGPRsForWavesPerEU: 20
; NumVGPRsForWavesPerEU: 76
; Occupancy: 16
; WaveLimiterHint : 1
; COMPUTE_PGM_RSRC2:SCRATCH_EN: 0
; COMPUTE_PGM_RSRC2:USER_SGPR: 15
; COMPUTE_PGM_RSRC2:TRAP_HANDLER: 0
; COMPUTE_PGM_RSRC2:TGID_X_EN: 1
; COMPUTE_PGM_RSRC2:TGID_Y_EN: 0
; COMPUTE_PGM_RSRC2:TGID_Z_EN: 0
; COMPUTE_PGM_RSRC2:TIDIG_COMP_CNT: 2
	.section	.text._ZN9rocsparseL19gebsrmvn_2xn_kernelILj128ELj12ELj64E21rocsparse_complex_numIdEEEvi20rocsparse_direction_NS_24const_host_device_scalarIT2_EEPKiS8_PKS5_SA_S6_PS5_21rocsparse_index_base_b,"axG",@progbits,_ZN9rocsparseL19gebsrmvn_2xn_kernelILj128ELj12ELj64E21rocsparse_complex_numIdEEEvi20rocsparse_direction_NS_24const_host_device_scalarIT2_EEPKiS8_PKS5_SA_S6_PS5_21rocsparse_index_base_b,comdat
	.globl	_ZN9rocsparseL19gebsrmvn_2xn_kernelILj128ELj12ELj64E21rocsparse_complex_numIdEEEvi20rocsparse_direction_NS_24const_host_device_scalarIT2_EEPKiS8_PKS5_SA_S6_PS5_21rocsparse_index_base_b ; -- Begin function _ZN9rocsparseL19gebsrmvn_2xn_kernelILj128ELj12ELj64E21rocsparse_complex_numIdEEEvi20rocsparse_direction_NS_24const_host_device_scalarIT2_EEPKiS8_PKS5_SA_S6_PS5_21rocsparse_index_base_b
	.p2align	8
	.type	_ZN9rocsparseL19gebsrmvn_2xn_kernelILj128ELj12ELj64E21rocsparse_complex_numIdEEEvi20rocsparse_direction_NS_24const_host_device_scalarIT2_EEPKiS8_PKS5_SA_S6_PS5_21rocsparse_index_base_b,@function
_ZN9rocsparseL19gebsrmvn_2xn_kernelILj128ELj12ELj64E21rocsparse_complex_numIdEEEvi20rocsparse_direction_NS_24const_host_device_scalarIT2_EEPKiS8_PKS5_SA_S6_PS5_21rocsparse_index_base_b: ; @_ZN9rocsparseL19gebsrmvn_2xn_kernelILj128ELj12ELj64E21rocsparse_complex_numIdEEEvi20rocsparse_direction_NS_24const_host_device_scalarIT2_EEPKiS8_PKS5_SA_S6_PS5_21rocsparse_index_base_b
; %bb.0:
	s_load_b64 s[12:13], s[2:3], 0x50
	s_load_b64 s[16:17], s[0:1], 0x4
	s_load_b128 s[8:11], s[2:3], 0x8
	v_bfe_u32 v1, v0, 10, 10
	s_mov_b64 s[0:1], src_shared_base
	s_load_b128 s[4:7], s[2:3], 0x38
	v_and_b32_e32 v12, 0x3ff, v0
	v_bfe_u32 v0, v0, 20, 10
	s_waitcnt lgkmcnt(0)
	s_bitcmp1_b32 s13, 0
	v_mul_u32_u24_e32 v1, s17, v1
	s_cselect_b32 s0, -1, 0
	s_delay_alu instid0(SALU_CYCLE_1)
	s_and_b32 vcc_lo, s0, exec_lo
	s_cselect_b32 s13, s1, s9
	s_lshr_b32 s14, s16, 16
	v_dual_mov_b32 v2, s4 :: v_dual_mov_b32 v3, s5
	s_mul_i32 s14, s14, s17
	v_mov_b32_e32 v6, s13
	v_mad_u32_u24 v1, s14, v12, v1
	s_delay_alu instid0(VALU_DEP_1) | instskip(SKIP_1) | instid1(VALU_DEP_2)
	v_add_lshl_u32 v4, v1, v0, 3
	v_dual_mov_b32 v0, s8 :: v_dual_mov_b32 v1, s9
	v_add_nc_u32_e32 v5, 0x400, v4
	ds_store_2addr_stride64_b64 v4, v[2:3], v[0:1] offset1:2
	v_dual_mov_b32 v2, s10 :: v_dual_mov_b32 v3, s11
	v_cndmask_b32_e64 v5, s8, v5, s0
	s_xor_b32 s10, s0, -1
	flat_load_b64 v[0:1], v[5:6]
	s_cbranch_vccnz .LBB282_2
; %bb.1:
	v_dual_mov_b32 v2, s8 :: v_dual_mov_b32 v3, s9
	flat_load_b64 v[2:3], v[2:3] offset:8
.LBB282_2:
	s_and_b32 s8, s0, exec_lo
	s_cselect_b32 s1, s1, s5
	v_cndmask_b32_e64 v4, s4, v4, s0
	v_dual_mov_b32 v5, s1 :: v_dual_mov_b32 v6, s6
	v_mov_b32_e32 v7, s7
	s_and_not1_b32 vcc_lo, exec_lo, s10
	flat_load_b64 v[4:5], v[4:5]
	s_cbranch_vccnz .LBB282_4
; %bb.3:
	v_dual_mov_b32 v7, s5 :: v_dual_mov_b32 v6, s4
	flat_load_b64 v[6:7], v[6:7] offset:8
.LBB282_4:
	s_waitcnt vmcnt(1) lgkmcnt(1)
	v_cmp_eq_f64_e32 vcc_lo, 0, v[0:1]
	v_cmp_eq_f64_e64 s0, 0, v[2:3]
	s_delay_alu instid0(VALU_DEP_1)
	s_and_b32 s4, vcc_lo, s0
	s_mov_b32 s0, -1
	s_and_saveexec_b32 s1, s4
	s_cbranch_execz .LBB282_6
; %bb.5:
	s_waitcnt vmcnt(0) lgkmcnt(0)
	v_cmp_neq_f64_e32 vcc_lo, 1.0, v[4:5]
	v_cmp_neq_f64_e64 s0, 0, v[6:7]
	s_delay_alu instid0(VALU_DEP_1) | instskip(NEXT) | instid1(SALU_CYCLE_1)
	s_or_b32 s0, vcc_lo, s0
	s_or_not1_b32 s0, s0, exec_lo
.LBB282_6:
	s_or_b32 exec_lo, exec_lo, s1
	s_and_saveexec_b32 s1, s0
	s_cbranch_execz .LBB282_29
; %bb.7:
	s_load_b64 s[0:1], s[2:3], 0x0
	v_lshrrev_b32_e32 v8, 6, v12
	s_delay_alu instid0(VALU_DEP_1) | instskip(SKIP_1) | instid1(VALU_DEP_1)
	v_lshl_or_b32 v8, s15, 1, v8
	s_waitcnt lgkmcnt(0)
	v_cmp_gt_i32_e32 vcc_lo, s0, v8
	s_and_b32 exec_lo, exec_lo, vcc_lo
	s_cbranch_execz .LBB282_29
; %bb.8:
	s_load_b256 s[4:11], s[2:3], 0x18
	v_ashrrev_i32_e32 v9, 31, v8
	v_and_b32_e32 v25, 63, v12
	s_cmp_lg_u32 s1, 0
	s_delay_alu instid0(VALU_DEP_2) | instskip(SKIP_1) | instid1(VALU_DEP_1)
	v_lshlrev_b64 v[9:10], 2, v[8:9]
	s_waitcnt lgkmcnt(0)
	v_add_co_u32 v9, vcc_lo, s4, v9
	s_delay_alu instid0(VALU_DEP_2) | instskip(SKIP_4) | instid1(VALU_DEP_2)
	v_add_co_ci_u32_e32 v10, vcc_lo, s5, v10, vcc_lo
	global_load_b64 v[10:11], v[9:10], off
	s_waitcnt vmcnt(0)
	v_subrev_nc_u32_e32 v9, s12, v10
	v_subrev_nc_u32_e32 v24, s12, v11
	v_add_nc_u32_e32 v9, v9, v25
	s_delay_alu instid0(VALU_DEP_1)
	v_cmp_lt_i32_e64 s0, v9, v24
	s_cbranch_scc0 .LBB282_16
; %bb.9:
	v_mov_b32_e32 v11, 0
	v_mov_b32_e32 v12, 0
	s_delay_alu instid0(VALU_DEP_1)
	v_dual_mov_b32 v18, v12 :: v_dual_mov_b32 v17, v11
	v_dual_mov_b32 v14, v12 :: v_dual_mov_b32 v13, v11
	;; [unrolled: 1-line block ×3, first 2 shown]
	s_and_saveexec_b32 s1, s0
	s_cbranch_execz .LBB282_15
; %bb.10:
	v_mul_lo_u32 v13, v10, 24
	v_dual_mov_b32 v11, 0 :: v_dual_mov_b32 v20, 0
	v_dual_mov_b32 v12, 0 :: v_dual_mov_b32 v21, v9
	v_mul_lo_u32 v26, v9, 24
	s_mul_i32 s4, s12, 24
	s_delay_alu instid0(VALU_DEP_2) | instskip(SKIP_2) | instid1(VALU_DEP_2)
	v_dual_mov_b32 v18, v12 :: v_dual_mov_b32 v17, v11
	v_mad_u32_u24 v15, v25, 24, v13
	v_dual_mov_b32 v14, v12 :: v_dual_mov_b32 v13, v11
	v_subrev_nc_u32_e32 v27, s4, v15
	v_dual_mov_b32 v16, v12 :: v_dual_mov_b32 v15, v11
	s_mov_b32 s4, 0
.LBB282_11:                             ; =>This Loop Header: Depth=1
                                        ;     Child Loop BB282_12 Depth 2
	v_ashrrev_i32_e32 v22, 31, v21
	s_mov_b32 s5, 0
	s_delay_alu instid0(VALU_DEP_1) | instskip(NEXT) | instid1(VALU_DEP_1)
	v_lshlrev_b64 v[22:23], 2, v[21:22]
	v_add_co_u32 v22, vcc_lo, s6, v22
	s_delay_alu instid0(VALU_DEP_2) | instskip(SKIP_3) | instid1(VALU_DEP_1)
	v_add_co_ci_u32_e32 v23, vcc_lo, s7, v23, vcc_lo
	global_load_b32 v19, v[22:23], off
	s_waitcnt vmcnt(0)
	v_subrev_nc_u32_e32 v19, s12, v19
	v_mul_lo_u32 v22, v19, 12
.LBB282_12:                             ;   Parent Loop BB282_11 Depth=1
                                        ; =>  This Inner Loop Header: Depth=2
	v_add_nc_u32_e32 v19, s5, v27
	v_mov_b32_e32 v23, v20
	s_delay_alu instid0(VALU_DEP_2) | instskip(NEXT) | instid1(VALU_DEP_2)
	v_lshlrev_b64 v[28:29], 4, v[19:20]
	v_lshlrev_b64 v[30:31], 4, v[22:23]
	v_add_nc_u32_e32 v22, 4, v22
	v_add3_u32 v19, v26, s5, 4
	s_add_i32 s5, s5, 8
	s_delay_alu instid0(SALU_CYCLE_1)
	s_cmp_eq_u32 s5, 24
	v_add_co_u32 v48, vcc_lo, s8, v28
	v_add_co_ci_u32_e32 v49, vcc_lo, s9, v29, vcc_lo
	v_add_co_u32 v56, vcc_lo, s10, v30
	v_add_co_ci_u32_e32 v57, vcc_lo, s11, v31, vcc_lo
	global_load_b128 v[28:31], v[48:49], off
	global_load_b128 v[32:35], v[56:57], off
	global_load_b128 v[36:39], v[48:49], off offset:16
	global_load_b128 v[40:43], v[56:57], off offset:16
	s_clause 0x1
	global_load_b128 v[44:47], v[48:49], off offset:32
	global_load_b128 v[48:51], v[48:49], off offset:48
	v_lshlrev_b64 v[52:53], 4, v[19:20]
	s_delay_alu instid0(VALU_DEP_1) | instskip(NEXT) | instid1(VALU_DEP_2)
	v_add_co_u32 v72, vcc_lo, s8, v52
	v_add_co_ci_u32_e32 v73, vcc_lo, s9, v53, vcc_lo
	s_clause 0x1
	global_load_b128 v[52:55], v[56:57], off offset:48
	global_load_b128 v[56:59], v[56:57], off offset:32
	s_clause 0x3
	global_load_b128 v[60:63], v[72:73], off
	global_load_b128 v[64:67], v[72:73], off offset:16
	global_load_b128 v[68:71], v[72:73], off offset:32
	;; [unrolled: 1-line block ×3, first 2 shown]
	s_waitcnt vmcnt(10)
	v_fma_f64 v[17:18], v[28:29], v[32:33], v[17:18]
	v_fma_f64 v[11:12], v[30:31], v[32:33], v[11:12]
	s_waitcnt vmcnt(9)
	v_fma_f64 v[13:14], v[36:37], v[32:33], v[13:14]
	v_fma_f64 v[15:16], v[38:39], v[32:33], v[15:16]
	s_delay_alu instid0(VALU_DEP_4) | instskip(NEXT) | instid1(VALU_DEP_4)
	v_fma_f64 v[17:18], -v[30:31], v[34:35], v[17:18]
	v_fma_f64 v[11:12], v[28:29], v[34:35], v[11:12]
	s_delay_alu instid0(VALU_DEP_4) | instskip(NEXT) | instid1(VALU_DEP_4)
	v_fma_f64 v[13:14], -v[38:39], v[34:35], v[13:14]
	v_fma_f64 v[15:16], v[36:37], v[34:35], v[15:16]
	s_waitcnt vmcnt(7)
	s_delay_alu instid0(VALU_DEP_4) | instskip(NEXT) | instid1(VALU_DEP_4)
	v_fma_f64 v[17:18], v[44:45], v[40:41], v[17:18]
	v_fma_f64 v[11:12], v[46:47], v[40:41], v[11:12]
	s_waitcnt vmcnt(6)
	s_delay_alu instid0(VALU_DEP_4) | instskip(NEXT) | instid1(VALU_DEP_4)
	v_fma_f64 v[13:14], v[48:49], v[40:41], v[13:14]
	v_fma_f64 v[15:16], v[50:51], v[40:41], v[15:16]
	s_delay_alu instid0(VALU_DEP_4) | instskip(NEXT) | instid1(VALU_DEP_4)
	v_fma_f64 v[17:18], -v[46:47], v[42:43], v[17:18]
	v_fma_f64 v[11:12], v[44:45], v[42:43], v[11:12]
	s_delay_alu instid0(VALU_DEP_4) | instskip(NEXT) | instid1(VALU_DEP_4)
	v_fma_f64 v[13:14], -v[50:51], v[42:43], v[13:14]
	v_fma_f64 v[15:16], v[48:49], v[42:43], v[15:16]
	s_waitcnt vmcnt(3)
	s_delay_alu instid0(VALU_DEP_4) | instskip(NEXT) | instid1(VALU_DEP_4)
	v_fma_f64 v[17:18], v[60:61], v[56:57], v[17:18]
	v_fma_f64 v[11:12], v[62:63], v[56:57], v[11:12]
	s_waitcnt vmcnt(2)
	s_delay_alu instid0(VALU_DEP_4) | instskip(NEXT) | instid1(VALU_DEP_4)
	;; [unrolled: 14-line block ×3, first 2 shown]
	v_fma_f64 v[13:14], v[72:73], v[52:53], v[13:14]
	v_fma_f64 v[15:16], v[74:75], v[52:53], v[15:16]
	s_delay_alu instid0(VALU_DEP_4) | instskip(NEXT) | instid1(VALU_DEP_4)
	v_fma_f64 v[17:18], -v[70:71], v[54:55], v[17:18]
	v_fma_f64 v[11:12], v[68:69], v[54:55], v[11:12]
	s_delay_alu instid0(VALU_DEP_4) | instskip(NEXT) | instid1(VALU_DEP_4)
	v_fma_f64 v[13:14], -v[74:75], v[54:55], v[13:14]
	v_fma_f64 v[15:16], v[72:73], v[54:55], v[15:16]
	s_cbranch_scc0 .LBB282_12
; %bb.13:                               ;   in Loop: Header=BB282_11 Depth=1
	v_add_nc_u32_e32 v21, 64, v21
	v_add_nc_u32_e32 v26, 0x600, v26
	;; [unrolled: 1-line block ×3, first 2 shown]
	s_delay_alu instid0(VALU_DEP_3) | instskip(SKIP_1) | instid1(SALU_CYCLE_1)
	v_cmp_ge_i32_e32 vcc_lo, v21, v24
	s_or_b32 s4, vcc_lo, s4
	s_and_not1_b32 exec_lo, exec_lo, s4
	s_cbranch_execnz .LBB282_11
; %bb.14:
	s_or_b32 exec_lo, exec_lo, s4
.LBB282_15:
	s_delay_alu instid0(SALU_CYCLE_1)
	s_or_b32 exec_lo, exec_lo, s1
	s_cbranch_execz .LBB282_17
	s_branch .LBB282_24
.LBB282_16:
                                        ; implicit-def: $vgpr11_vgpr12
                                        ; implicit-def: $vgpr17_vgpr18
                                        ; implicit-def: $vgpr13_vgpr14
                                        ; implicit-def: $vgpr15_vgpr16
.LBB282_17:
	v_mov_b32_e32 v11, 0
	v_mov_b32_e32 v12, 0
	s_delay_alu instid0(VALU_DEP_1)
	v_dual_mov_b32 v18, v12 :: v_dual_mov_b32 v17, v11
	v_dual_mov_b32 v14, v12 :: v_dual_mov_b32 v13, v11
	;; [unrolled: 1-line block ×3, first 2 shown]
	s_and_saveexec_b32 s1, s0
	s_cbranch_execz .LBB282_23
; %bb.18:
	v_mul_lo_u32 v10, v10, 24
	v_dual_mov_b32 v11, 0 :: v_dual_mov_b32 v20, 0
	v_mov_b32_e32 v12, 0
	v_mul_lo_u32 v21, v9, 24
	s_mul_i32 s0, s12, 24
	s_delay_alu instid0(VALU_DEP_2) | instskip(SKIP_3) | instid1(VALU_DEP_3)
	v_dual_mov_b32 v18, v12 :: v_dual_mov_b32 v17, v11
	v_mad_u32_u24 v10, v25, 24, v10
	v_dual_mov_b32 v14, v12 :: v_dual_mov_b32 v13, v11
	v_dual_mov_b32 v16, v12 :: v_dual_mov_b32 v15, v11
	v_subrev_nc_u32_e32 v22, s0, v10
	s_mov_b32 s0, 0
.LBB282_19:                             ; =>This Loop Header: Depth=1
                                        ;     Child Loop BB282_20 Depth 2
	v_ashrrev_i32_e32 v10, 31, v9
	s_mov_b32 s4, 0
	s_delay_alu instid0(VALU_DEP_1) | instskip(NEXT) | instid1(VALU_DEP_1)
	v_lshlrev_b64 v[26:27], 2, v[9:10]
	v_add_co_u32 v26, vcc_lo, s6, v26
	s_delay_alu instid0(VALU_DEP_2) | instskip(SKIP_3) | instid1(VALU_DEP_1)
	v_add_co_ci_u32_e32 v27, vcc_lo, s7, v27, vcc_lo
	global_load_b32 v10, v[26:27], off
	s_waitcnt vmcnt(0)
	v_subrev_nc_u32_e32 v10, s12, v10
	v_mul_lo_u32 v10, v10, 12
.LBB282_20:                             ;   Parent Loop BB282_19 Depth=1
                                        ; =>  This Inner Loop Header: Depth=2
	v_add_nc_u32_e32 v19, s4, v22
	s_delay_alu instid0(VALU_DEP_1) | instskip(NEXT) | instid1(VALU_DEP_3)
	v_lshlrev_b64 v[26:27], 4, v[19:20]
	v_add_nc_u32_e32 v19, s4, v10
	s_delay_alu instid0(VALU_DEP_1) | instskip(SKIP_1) | instid1(VALU_DEP_4)
	v_lshlrev_b64 v[30:31], 4, v[19:20]
	v_add3_u32 v19, v21, s4, 12
	v_add_co_u32 v54, vcc_lo, s8, v26
	v_add_co_ci_u32_e32 v55, vcc_lo, s9, v27, vcc_lo
	s_delay_alu instid0(VALU_DEP_3)
	v_lshlrev_b64 v[32:33], 4, v[19:20]
	v_add_co_u32 v62, vcc_lo, s10, v30
	v_add_co_ci_u32_e32 v63, vcc_lo, s11, v31, vcc_lo
	global_load_b128 v[26:29], v[54:55], off offset:16
	v_add_co_u32 v70, vcc_lo, s8, v32
	v_add_co_ci_u32_e32 v71, vcc_lo, s9, v33, vcc_lo
	global_load_b128 v[30:33], v[54:55], off
	s_clause 0x1
	global_load_b128 v[34:37], v[62:63], off
	global_load_b128 v[38:41], v[62:63], off offset:16
	s_clause 0x3
	global_load_b128 v[42:45], v[70:71], off
	global_load_b128 v[46:49], v[70:71], off offset:16
	global_load_b128 v[50:53], v[54:55], off offset:48
	;; [unrolled: 1-line block ×3, first 2 shown]
	s_clause 0x1
	global_load_b128 v[58:61], v[62:63], off offset:32
	global_load_b128 v[62:65], v[62:63], off offset:48
	s_clause 0x1
	global_load_b128 v[66:69], v[70:71], off offset:32
	global_load_b128 v[70:73], v[70:71], off offset:48
	s_add_i32 s4, s4, 4
	s_delay_alu instid0(SALU_CYCLE_1)
	s_cmp_eq_u32 s4, 12
	s_waitcnt vmcnt(9)
	v_fma_f64 v[17:18], v[30:31], v[34:35], v[17:18]
	v_fma_f64 v[11:12], v[32:33], v[34:35], v[11:12]
	s_waitcnt vmcnt(7)
	v_fma_f64 v[13:14], v[42:43], v[34:35], v[13:14]
	v_fma_f64 v[15:16], v[44:45], v[34:35], v[15:16]
	s_delay_alu instid0(VALU_DEP_4) | instskip(NEXT) | instid1(VALU_DEP_4)
	v_fma_f64 v[17:18], -v[32:33], v[36:37], v[17:18]
	v_fma_f64 v[11:12], v[30:31], v[36:37], v[11:12]
	s_delay_alu instid0(VALU_DEP_4) | instskip(NEXT) | instid1(VALU_DEP_4)
	v_fma_f64 v[13:14], -v[44:45], v[36:37], v[13:14]
	v_fma_f64 v[15:16], v[42:43], v[36:37], v[15:16]
	s_delay_alu instid0(VALU_DEP_4) | instskip(NEXT) | instid1(VALU_DEP_4)
	v_fma_f64 v[17:18], v[26:27], v[38:39], v[17:18]
	v_fma_f64 v[11:12], v[28:29], v[38:39], v[11:12]
	s_waitcnt vmcnt(6)
	s_delay_alu instid0(VALU_DEP_4) | instskip(NEXT) | instid1(VALU_DEP_4)
	v_fma_f64 v[13:14], v[46:47], v[38:39], v[13:14]
	v_fma_f64 v[15:16], v[48:49], v[38:39], v[15:16]
	s_delay_alu instid0(VALU_DEP_4) | instskip(NEXT) | instid1(VALU_DEP_4)
	v_fma_f64 v[17:18], -v[28:29], v[40:41], v[17:18]
	v_fma_f64 v[11:12], v[26:27], v[40:41], v[11:12]
	s_delay_alu instid0(VALU_DEP_4) | instskip(NEXT) | instid1(VALU_DEP_4)
	v_fma_f64 v[13:14], -v[48:49], v[40:41], v[13:14]
	v_fma_f64 v[15:16], v[46:47], v[40:41], v[15:16]
	s_waitcnt vmcnt(3)
	s_delay_alu instid0(VALU_DEP_4) | instskip(NEXT) | instid1(VALU_DEP_4)
	v_fma_f64 v[17:18], v[54:55], v[58:59], v[17:18]
	v_fma_f64 v[11:12], v[56:57], v[58:59], v[11:12]
	s_waitcnt vmcnt(1)
	s_delay_alu instid0(VALU_DEP_4) | instskip(NEXT) | instid1(VALU_DEP_4)
	v_fma_f64 v[13:14], v[66:67], v[58:59], v[13:14]
	v_fma_f64 v[15:16], v[68:69], v[58:59], v[15:16]
	s_delay_alu instid0(VALU_DEP_4) | instskip(NEXT) | instid1(VALU_DEP_4)
	v_fma_f64 v[17:18], -v[56:57], v[60:61], v[17:18]
	v_fma_f64 v[11:12], v[54:55], v[60:61], v[11:12]
	s_delay_alu instid0(VALU_DEP_4) | instskip(NEXT) | instid1(VALU_DEP_4)
	v_fma_f64 v[13:14], -v[68:69], v[60:61], v[13:14]
	v_fma_f64 v[15:16], v[66:67], v[60:61], v[15:16]
	s_delay_alu instid0(VALU_DEP_4) | instskip(NEXT) | instid1(VALU_DEP_4)
	v_fma_f64 v[17:18], v[50:51], v[62:63], v[17:18]
	v_fma_f64 v[11:12], v[52:53], v[62:63], v[11:12]
	s_waitcnt vmcnt(0)
	s_delay_alu instid0(VALU_DEP_4) | instskip(NEXT) | instid1(VALU_DEP_4)
	v_fma_f64 v[13:14], v[70:71], v[62:63], v[13:14]
	v_fma_f64 v[15:16], v[72:73], v[62:63], v[15:16]
	s_delay_alu instid0(VALU_DEP_4) | instskip(NEXT) | instid1(VALU_DEP_4)
	v_fma_f64 v[17:18], -v[52:53], v[64:65], v[17:18]
	v_fma_f64 v[11:12], v[50:51], v[64:65], v[11:12]
	s_delay_alu instid0(VALU_DEP_4) | instskip(NEXT) | instid1(VALU_DEP_4)
	v_fma_f64 v[13:14], -v[72:73], v[64:65], v[13:14]
	v_fma_f64 v[15:16], v[70:71], v[64:65], v[15:16]
	s_cbranch_scc0 .LBB282_20
; %bb.21:                               ;   in Loop: Header=BB282_19 Depth=1
	v_add_nc_u32_e32 v9, 64, v9
	v_add_nc_u32_e32 v21, 0x600, v21
	v_add_nc_u32_e32 v22, 0x600, v22
	s_delay_alu instid0(VALU_DEP_3) | instskip(SKIP_1) | instid1(SALU_CYCLE_1)
	v_cmp_ge_i32_e32 vcc_lo, v9, v24
	s_or_b32 s0, vcc_lo, s0
	s_and_not1_b32 exec_lo, exec_lo, s0
	s_cbranch_execnz .LBB282_19
; %bb.22:
	s_or_b32 exec_lo, exec_lo, s0
.LBB282_23:
	s_delay_alu instid0(SALU_CYCLE_1)
	s_or_b32 exec_lo, exec_lo, s1
.LBB282_24:
	v_mbcnt_lo_u32_b32 v26, -1, 0
	s_delay_alu instid0(VALU_DEP_1) | instskip(NEXT) | instid1(VALU_DEP_1)
	v_or_b32_e32 v9, 32, v26
	v_cmp_gt_i32_e32 vcc_lo, 32, v9
	v_cndmask_b32_e32 v9, v26, v9, vcc_lo
	s_delay_alu instid0(VALU_DEP_1)
	v_lshlrev_b32_e32 v24, 2, v9
	ds_bpermute_b32 v9, v24, v17
	ds_bpermute_b32 v10, v24, v18
	ds_bpermute_b32 v19, v24, v11
	ds_bpermute_b32 v20, v24, v12
	ds_bpermute_b32 v21, v24, v13
	ds_bpermute_b32 v22, v24, v14
	ds_bpermute_b32 v23, v24, v15
	ds_bpermute_b32 v24, v24, v16
	s_waitcnt lgkmcnt(6)
	v_add_f64 v[9:10], v[17:18], v[9:10]
	v_xor_b32_e32 v17, 16, v26
	s_waitcnt lgkmcnt(4)
	v_add_f64 v[11:12], v[11:12], v[19:20]
	s_waitcnt lgkmcnt(2)
	v_add_f64 v[13:14], v[13:14], v[21:22]
	s_waitcnt lgkmcnt(0)
	v_add_f64 v[15:16], v[15:16], v[23:24]
	v_cmp_gt_i32_e32 vcc_lo, 32, v17
	v_cndmask_b32_e32 v17, v26, v17, vcc_lo
	s_delay_alu instid0(VALU_DEP_1)
	v_lshlrev_b32_e32 v24, 2, v17
	ds_bpermute_b32 v17, v24, v9
	ds_bpermute_b32 v18, v24, v10
	ds_bpermute_b32 v19, v24, v11
	ds_bpermute_b32 v20, v24, v12
	ds_bpermute_b32 v21, v24, v13
	ds_bpermute_b32 v22, v24, v14
	ds_bpermute_b32 v23, v24, v15
	ds_bpermute_b32 v24, v24, v16
	s_waitcnt lgkmcnt(6)
	v_add_f64 v[9:10], v[9:10], v[17:18]
	v_xor_b32_e32 v17, 8, v26
	s_waitcnt lgkmcnt(4)
	v_add_f64 v[11:12], v[11:12], v[19:20]
	s_waitcnt lgkmcnt(2)
	v_add_f64 v[13:14], v[13:14], v[21:22]
	s_waitcnt lgkmcnt(0)
	v_add_f64 v[15:16], v[15:16], v[23:24]
	;; [unrolled: 21-line block ×3, first 2 shown]
	v_cmp_gt_i32_e32 vcc_lo, 32, v17
	v_cndmask_b32_e32 v17, v26, v17, vcc_lo
	s_delay_alu instid0(VALU_DEP_1)
	v_lshlrev_b32_e32 v24, 2, v17
	ds_bpermute_b32 v17, v24, v9
	ds_bpermute_b32 v18, v24, v10
	;; [unrolled: 1-line block ×8, first 2 shown]
	s_waitcnt lgkmcnt(6)
	v_add_f64 v[9:10], v[9:10], v[17:18]
	s_waitcnt lgkmcnt(4)
	v_add_f64 v[11:12], v[11:12], v[19:20]
	;; [unrolled: 2-line block ×4, first 2 shown]
	v_xor_b32_e32 v15, 2, v26
	s_delay_alu instid0(VALU_DEP_1) | instskip(SKIP_1) | instid1(VALU_DEP_1)
	v_cmp_gt_i32_e32 vcc_lo, 32, v15
	v_cndmask_b32_e32 v15, v26, v15, vcc_lo
	v_lshlrev_b32_e32 v24, 2, v15
	ds_bpermute_b32 v15, v24, v9
	ds_bpermute_b32 v16, v24, v10
	;; [unrolled: 1-line block ×8, first 2 shown]
	s_waitcnt lgkmcnt(6)
	v_add_f64 v[9:10], v[9:10], v[15:16]
	s_waitcnt lgkmcnt(4)
	v_add_f64 v[15:16], v[11:12], v[19:20]
	;; [unrolled: 2-line block ×4, first 2 shown]
	v_xor_b32_e32 v17, 1, v26
	s_delay_alu instid0(VALU_DEP_1) | instskip(SKIP_2) | instid1(VALU_DEP_2)
	v_cmp_gt_i32_e32 vcc_lo, 32, v17
	v_cndmask_b32_e32 v17, v26, v17, vcc_lo
	v_cmp_eq_u32_e32 vcc_lo, 63, v25
	v_lshlrev_b32_e32 v20, 2, v17
	ds_bpermute_b32 v23, v20, v9
	ds_bpermute_b32 v24, v20, v10
	;; [unrolled: 1-line block ×8, first 2 shown]
	s_and_b32 exec_lo, exec_lo, vcc_lo
	s_cbranch_execz .LBB282_29
; %bb.25:
	v_cmp_eq_f64_e32 vcc_lo, 0, v[4:5]
	v_cmp_eq_f64_e64 s0, 0, v[6:7]
	s_waitcnt lgkmcnt(6)
	v_add_f64 v[9:10], v[9:10], v[23:24]
	s_waitcnt lgkmcnt(4)
	v_add_f64 v[15:16], v[15:16], v[21:22]
	;; [unrolled: 2-line block ×4, first 2 shown]
	s_load_b64 s[2:3], s[2:3], 0x48
	s_and_b32 s0, vcc_lo, s0
	s_delay_alu instid0(SALU_CYCLE_1) | instskip(NEXT) | instid1(SALU_CYCLE_1)
	s_and_saveexec_b32 s1, s0
	s_xor_b32 s0, exec_lo, s1
	s_cbranch_execz .LBB282_27
; %bb.26:
	s_delay_alu instid0(VALU_DEP_3) | instskip(SKIP_1) | instid1(VALU_DEP_3)
	v_mul_f64 v[4:5], v[15:16], -v[2:3]
	v_mul_f64 v[6:7], v[0:1], v[15:16]
	v_mul_f64 v[15:16], v[13:14], -v[2:3]
	v_mul_f64 v[13:14], v[0:1], v[13:14]
	v_lshlrev_b32_e32 v8, 1, v8
	v_fma_f64 v[4:5], v[0:1], v[9:10], v[4:5]
	v_fma_f64 v[6:7], v[2:3], v[9:10], v[6:7]
	;; [unrolled: 1-line block ×4, first 2 shown]
	v_ashrrev_i32_e32 v9, 31, v8
                                        ; implicit-def: $vgpr15_vgpr16
                                        ; implicit-def: $vgpr11_vgpr12
                                        ; implicit-def: $vgpr13_vgpr14
	s_delay_alu instid0(VALU_DEP_1) | instskip(SKIP_1) | instid1(VALU_DEP_1)
	v_lshlrev_b64 v[8:9], 4, v[8:9]
	s_waitcnt lgkmcnt(0)
	v_add_co_u32 v8, vcc_lo, s2, v8
	s_delay_alu instid0(VALU_DEP_2)
	v_add_co_ci_u32_e32 v9, vcc_lo, s3, v9, vcc_lo
	s_clause 0x1
	global_store_b128 v[8:9], v[4:7], off
	global_store_b128 v[8:9], v[0:3], off offset:16
                                        ; implicit-def: $vgpr0_vgpr1
                                        ; implicit-def: $vgpr2_vgpr3
                                        ; implicit-def: $vgpr4_vgpr5
                                        ; implicit-def: $vgpr6_vgpr7
                                        ; implicit-def: $vgpr8
                                        ; implicit-def: $vgpr9_vgpr10
.LBB282_27:
	s_and_not1_saveexec_b32 s0, s0
	s_cbranch_execz .LBB282_29
; %bb.28:
	v_lshlrev_b32_e32 v17, 1, v8
	s_delay_alu instid0(VALU_DEP_4) | instskip(SKIP_1) | instid1(VALU_DEP_4)
	v_mul_f64 v[27:28], v[15:16], -v[2:3]
	v_mul_f64 v[15:16], v[0:1], v[15:16]
	v_mul_f64 v[29:30], v[13:14], -v[2:3]
	v_mul_f64 v[13:14], v[0:1], v[13:14]
	v_ashrrev_i32_e32 v18, 31, v17
	s_delay_alu instid0(VALU_DEP_1) | instskip(SKIP_1) | instid1(VALU_DEP_1)
	v_lshlrev_b64 v[17:18], 4, v[17:18]
	s_waitcnt lgkmcnt(0)
	v_add_co_u32 v25, vcc_lo, s2, v17
	s_delay_alu instid0(VALU_DEP_2)
	v_add_co_ci_u32_e32 v26, vcc_lo, s3, v18, vcc_lo
	s_clause 0x1
	global_load_b128 v[17:20], v[25:26], off
	global_load_b128 v[21:24], v[25:26], off offset:16
	v_fma_f64 v[27:28], v[0:1], v[9:10], v[27:28]
	v_fma_f64 v[8:9], v[2:3], v[9:10], v[15:16]
	;; [unrolled: 1-line block ×4, first 2 shown]
	s_waitcnt vmcnt(1)
	s_delay_alu instid0(VALU_DEP_4) | instskip(NEXT) | instid1(VALU_DEP_4)
	v_fma_f64 v[10:11], v[4:5], v[17:18], v[27:28]
	v_fma_f64 v[8:9], v[6:7], v[17:18], v[8:9]
	s_waitcnt vmcnt(0)
	s_delay_alu instid0(VALU_DEP_4) | instskip(NEXT) | instid1(VALU_DEP_4)
	v_fma_f64 v[12:13], v[4:5], v[21:22], v[0:1]
	v_fma_f64 v[14:15], v[6:7], v[21:22], v[2:3]
	s_delay_alu instid0(VALU_DEP_4) | instskip(NEXT) | instid1(VALU_DEP_4)
	v_fma_f64 v[0:1], -v[6:7], v[19:20], v[10:11]
	v_fma_f64 v[2:3], v[4:5], v[19:20], v[8:9]
	s_delay_alu instid0(VALU_DEP_4) | instskip(NEXT) | instid1(VALU_DEP_4)
	v_fma_f64 v[6:7], -v[6:7], v[23:24], v[12:13]
	v_fma_f64 v[8:9], v[4:5], v[23:24], v[14:15]
	s_clause 0x1
	global_store_b128 v[25:26], v[0:3], off
	global_store_b128 v[25:26], v[6:9], off offset:16
.LBB282_29:
	s_nop 0
	s_sendmsg sendmsg(MSG_DEALLOC_VGPRS)
	s_endpgm
	.section	.rodata,"a",@progbits
	.p2align	6, 0x0
	.amdhsa_kernel _ZN9rocsparseL19gebsrmvn_2xn_kernelILj128ELj12ELj64E21rocsparse_complex_numIdEEEvi20rocsparse_direction_NS_24const_host_device_scalarIT2_EEPKiS8_PKS5_SA_S6_PS5_21rocsparse_index_base_b
		.amdhsa_group_segment_fixed_size 2048
		.amdhsa_private_segment_fixed_size 0
		.amdhsa_kernarg_size 88
		.amdhsa_user_sgpr_count 15
		.amdhsa_user_sgpr_dispatch_ptr 1
		.amdhsa_user_sgpr_queue_ptr 0
		.amdhsa_user_sgpr_kernarg_segment_ptr 1
		.amdhsa_user_sgpr_dispatch_id 0
		.amdhsa_user_sgpr_private_segment_size 0
		.amdhsa_wavefront_size32 1
		.amdhsa_uses_dynamic_stack 0
		.amdhsa_enable_private_segment 0
		.amdhsa_system_sgpr_workgroup_id_x 1
		.amdhsa_system_sgpr_workgroup_id_y 0
		.amdhsa_system_sgpr_workgroup_id_z 0
		.amdhsa_system_sgpr_workgroup_info 0
		.amdhsa_system_vgpr_workitem_id 2
		.amdhsa_next_free_vgpr 76
		.amdhsa_next_free_sgpr 18
		.amdhsa_reserve_vcc 1
		.amdhsa_float_round_mode_32 0
		.amdhsa_float_round_mode_16_64 0
		.amdhsa_float_denorm_mode_32 3
		.amdhsa_float_denorm_mode_16_64 3
		.amdhsa_dx10_clamp 1
		.amdhsa_ieee_mode 1
		.amdhsa_fp16_overflow 0
		.amdhsa_workgroup_processor_mode 1
		.amdhsa_memory_ordered 1
		.amdhsa_forward_progress 0
		.amdhsa_shared_vgpr_count 0
		.amdhsa_exception_fp_ieee_invalid_op 0
		.amdhsa_exception_fp_denorm_src 0
		.amdhsa_exception_fp_ieee_div_zero 0
		.amdhsa_exception_fp_ieee_overflow 0
		.amdhsa_exception_fp_ieee_underflow 0
		.amdhsa_exception_fp_ieee_inexact 0
		.amdhsa_exception_int_div_zero 0
	.end_amdhsa_kernel
	.section	.text._ZN9rocsparseL19gebsrmvn_2xn_kernelILj128ELj12ELj64E21rocsparse_complex_numIdEEEvi20rocsparse_direction_NS_24const_host_device_scalarIT2_EEPKiS8_PKS5_SA_S6_PS5_21rocsparse_index_base_b,"axG",@progbits,_ZN9rocsparseL19gebsrmvn_2xn_kernelILj128ELj12ELj64E21rocsparse_complex_numIdEEEvi20rocsparse_direction_NS_24const_host_device_scalarIT2_EEPKiS8_PKS5_SA_S6_PS5_21rocsparse_index_base_b,comdat
.Lfunc_end282:
	.size	_ZN9rocsparseL19gebsrmvn_2xn_kernelILj128ELj12ELj64E21rocsparse_complex_numIdEEEvi20rocsparse_direction_NS_24const_host_device_scalarIT2_EEPKiS8_PKS5_SA_S6_PS5_21rocsparse_index_base_b, .Lfunc_end282-_ZN9rocsparseL19gebsrmvn_2xn_kernelILj128ELj12ELj64E21rocsparse_complex_numIdEEEvi20rocsparse_direction_NS_24const_host_device_scalarIT2_EEPKiS8_PKS5_SA_S6_PS5_21rocsparse_index_base_b
                                        ; -- End function
	.section	.AMDGPU.csdata,"",@progbits
; Kernel info:
; codeLenInByte = 3292
; NumSgprs: 20
; NumVgprs: 76
; ScratchSize: 0
; MemoryBound: 1
; FloatMode: 240
; IeeeMode: 1
; LDSByteSize: 2048 bytes/workgroup (compile time only)
; SGPRBlocks: 2
; VGPRBlocks: 9
; NumSGPRsForWavesPerEU: 20
; NumVGPRsForWavesPerEU: 76
; Occupancy: 16
; WaveLimiterHint : 1
; COMPUTE_PGM_RSRC2:SCRATCH_EN: 0
; COMPUTE_PGM_RSRC2:USER_SGPR: 15
; COMPUTE_PGM_RSRC2:TRAP_HANDLER: 0
; COMPUTE_PGM_RSRC2:TGID_X_EN: 1
; COMPUTE_PGM_RSRC2:TGID_Y_EN: 0
; COMPUTE_PGM_RSRC2:TGID_Z_EN: 0
; COMPUTE_PGM_RSRC2:TIDIG_COMP_CNT: 2
	.section	.text._ZN9rocsparseL19gebsrmvn_2xn_kernelILj128ELj13ELj4E21rocsparse_complex_numIdEEEvi20rocsparse_direction_NS_24const_host_device_scalarIT2_EEPKiS8_PKS5_SA_S6_PS5_21rocsparse_index_base_b,"axG",@progbits,_ZN9rocsparseL19gebsrmvn_2xn_kernelILj128ELj13ELj4E21rocsparse_complex_numIdEEEvi20rocsparse_direction_NS_24const_host_device_scalarIT2_EEPKiS8_PKS5_SA_S6_PS5_21rocsparse_index_base_b,comdat
	.globl	_ZN9rocsparseL19gebsrmvn_2xn_kernelILj128ELj13ELj4E21rocsparse_complex_numIdEEEvi20rocsparse_direction_NS_24const_host_device_scalarIT2_EEPKiS8_PKS5_SA_S6_PS5_21rocsparse_index_base_b ; -- Begin function _ZN9rocsparseL19gebsrmvn_2xn_kernelILj128ELj13ELj4E21rocsparse_complex_numIdEEEvi20rocsparse_direction_NS_24const_host_device_scalarIT2_EEPKiS8_PKS5_SA_S6_PS5_21rocsparse_index_base_b
	.p2align	8
	.type	_ZN9rocsparseL19gebsrmvn_2xn_kernelILj128ELj13ELj4E21rocsparse_complex_numIdEEEvi20rocsparse_direction_NS_24const_host_device_scalarIT2_EEPKiS8_PKS5_SA_S6_PS5_21rocsparse_index_base_b,@function
_ZN9rocsparseL19gebsrmvn_2xn_kernelILj128ELj13ELj4E21rocsparse_complex_numIdEEEvi20rocsparse_direction_NS_24const_host_device_scalarIT2_EEPKiS8_PKS5_SA_S6_PS5_21rocsparse_index_base_b: ; @_ZN9rocsparseL19gebsrmvn_2xn_kernelILj128ELj13ELj4E21rocsparse_complex_numIdEEEvi20rocsparse_direction_NS_24const_host_device_scalarIT2_EEPKiS8_PKS5_SA_S6_PS5_21rocsparse_index_base_b
; %bb.0:
	s_load_b64 s[12:13], s[2:3], 0x50
	s_load_b64 s[16:17], s[0:1], 0x4
	s_load_b128 s[8:11], s[2:3], 0x8
	v_bfe_u32 v1, v0, 10, 10
	s_mov_b64 s[0:1], src_shared_base
	s_load_b128 s[4:7], s[2:3], 0x38
	v_and_b32_e32 v12, 0x3ff, v0
	v_bfe_u32 v0, v0, 20, 10
	s_waitcnt lgkmcnt(0)
	s_bitcmp1_b32 s13, 0
	v_mul_u32_u24_e32 v1, s17, v1
	s_cselect_b32 s0, -1, 0
	s_delay_alu instid0(SALU_CYCLE_1)
	s_and_b32 vcc_lo, s0, exec_lo
	s_cselect_b32 s13, s1, s9
	s_lshr_b32 s14, s16, 16
	v_dual_mov_b32 v2, s4 :: v_dual_mov_b32 v3, s5
	s_mul_i32 s14, s14, s17
	v_mov_b32_e32 v6, s13
	v_mad_u32_u24 v1, s14, v12, v1
	s_delay_alu instid0(VALU_DEP_1) | instskip(SKIP_1) | instid1(VALU_DEP_2)
	v_add_lshl_u32 v4, v1, v0, 3
	v_dual_mov_b32 v0, s8 :: v_dual_mov_b32 v1, s9
	v_add_nc_u32_e32 v5, 0x400, v4
	ds_store_2addr_stride64_b64 v4, v[2:3], v[0:1] offset1:2
	v_dual_mov_b32 v2, s10 :: v_dual_mov_b32 v3, s11
	v_cndmask_b32_e64 v5, s8, v5, s0
	s_xor_b32 s10, s0, -1
	flat_load_b64 v[0:1], v[5:6]
	s_cbranch_vccnz .LBB283_2
; %bb.1:
	v_dual_mov_b32 v2, s8 :: v_dual_mov_b32 v3, s9
	flat_load_b64 v[2:3], v[2:3] offset:8
.LBB283_2:
	s_and_b32 s8, s0, exec_lo
	s_cselect_b32 s1, s1, s5
	v_cndmask_b32_e64 v4, s4, v4, s0
	v_dual_mov_b32 v5, s1 :: v_dual_mov_b32 v6, s6
	v_mov_b32_e32 v7, s7
	s_and_not1_b32 vcc_lo, exec_lo, s10
	flat_load_b64 v[4:5], v[4:5]
	s_cbranch_vccnz .LBB283_4
; %bb.3:
	v_dual_mov_b32 v7, s5 :: v_dual_mov_b32 v6, s4
	flat_load_b64 v[6:7], v[6:7] offset:8
.LBB283_4:
	s_waitcnt vmcnt(1) lgkmcnt(1)
	v_cmp_eq_f64_e32 vcc_lo, 0, v[0:1]
	v_cmp_eq_f64_e64 s0, 0, v[2:3]
	s_delay_alu instid0(VALU_DEP_1)
	s_and_b32 s4, vcc_lo, s0
	s_mov_b32 s0, -1
	s_and_saveexec_b32 s1, s4
	s_cbranch_execz .LBB283_6
; %bb.5:
	s_waitcnt vmcnt(0) lgkmcnt(0)
	v_cmp_neq_f64_e32 vcc_lo, 1.0, v[4:5]
	v_cmp_neq_f64_e64 s0, 0, v[6:7]
	s_delay_alu instid0(VALU_DEP_1) | instskip(NEXT) | instid1(SALU_CYCLE_1)
	s_or_b32 s0, vcc_lo, s0
	s_or_not1_b32 s0, s0, exec_lo
.LBB283_6:
	s_or_b32 exec_lo, exec_lo, s1
	s_and_saveexec_b32 s1, s0
	s_cbranch_execz .LBB283_33
; %bb.7:
	s_load_b64 s[0:1], s[2:3], 0x0
	v_lshrrev_b32_e32 v8, 2, v12
	s_delay_alu instid0(VALU_DEP_1) | instskip(SKIP_1) | instid1(VALU_DEP_1)
	v_lshl_or_b32 v8, s15, 5, v8
	s_waitcnt lgkmcnt(0)
	v_cmp_gt_i32_e32 vcc_lo, s0, v8
	s_and_b32 exec_lo, exec_lo, vcc_lo
	s_cbranch_execz .LBB283_33
; %bb.8:
	s_load_b256 s[4:11], s[2:3], 0x18
	v_ashrrev_i32_e32 v9, 31, v8
	v_and_b32_e32 v32, 3, v12
	s_cmp_lg_u32 s1, 0
	s_delay_alu instid0(VALU_DEP_2) | instskip(SKIP_1) | instid1(VALU_DEP_1)
	v_lshlrev_b64 v[9:10], 2, v[8:9]
	s_waitcnt lgkmcnt(0)
	v_add_co_u32 v9, vcc_lo, s4, v9
	s_delay_alu instid0(VALU_DEP_2) | instskip(SKIP_4) | instid1(VALU_DEP_2)
	v_add_co_ci_u32_e32 v10, vcc_lo, s5, v10, vcc_lo
	global_load_b64 v[10:11], v[9:10], off
	s_waitcnt vmcnt(0)
	v_subrev_nc_u32_e32 v9, s12, v10
	v_subrev_nc_u32_e32 v33, s12, v11
	v_add_nc_u32_e32 v9, v9, v32
	s_delay_alu instid0(VALU_DEP_1)
	v_cmp_lt_i32_e64 s0, v9, v33
	s_cbranch_scc0 .LBB283_16
; %bb.9:
	v_mov_b32_e32 v11, 0
	v_mov_b32_e32 v12, 0
	s_delay_alu instid0(VALU_DEP_1)
	v_dual_mov_b32 v14, v12 :: v_dual_mov_b32 v13, v11
	v_dual_mov_b32 v16, v12 :: v_dual_mov_b32 v15, v11
	v_dual_mov_b32 v18, v12 :: v_dual_mov_b32 v17, v11
	s_and_saveexec_b32 s1, s0
	s_cbranch_execz .LBB283_18
; %bb.10:
	v_mul_lo_u32 v13, v10, 26
	v_dual_mov_b32 v11, 0 :: v_dual_mov_b32 v20, 0
	v_dual_mov_b32 v12, 0 :: v_dual_mov_b32 v21, v9
	v_mul_lo_u32 v34, v9, 26
	s_mul_i32 s4, s12, 26
	s_delay_alu instid0(VALU_DEP_2) | instskip(SKIP_2) | instid1(VALU_DEP_2)
	v_dual_mov_b32 v16, v12 :: v_dual_mov_b32 v15, v11
	v_mad_u32_u24 v17, v32, 26, v13
	v_dual_mov_b32 v14, v12 :: v_dual_mov_b32 v13, v11
	v_subrev_nc_u32_e32 v35, s4, v17
	v_dual_mov_b32 v18, v12 :: v_dual_mov_b32 v17, v11
	s_mov_b32 s4, 0
	s_branch .LBB283_12
.LBB283_11:                             ;   in Loop: Header=BB283_12 Depth=1
	v_add_nc_u32_e32 v21, 4, v21
	v_add_nc_u32_e32 v34, 0x68, v34
	;; [unrolled: 1-line block ×3, first 2 shown]
	s_delay_alu instid0(VALU_DEP_3) | instskip(SKIP_1) | instid1(SALU_CYCLE_1)
	v_cmp_ge_i32_e32 vcc_lo, v21, v33
	s_or_b32 s4, vcc_lo, s4
	s_and_not1_b32 exec_lo, exec_lo, s4
	s_cbranch_execz .LBB283_17
.LBB283_12:                             ; =>This Loop Header: Depth=1
                                        ;     Child Loop BB283_14 Depth 2
	v_ashrrev_i32_e32 v22, 31, v21
	v_dual_mov_b32 v29, v12 :: v_dual_mov_b32 v28, v11
	v_dual_mov_b32 v31, v14 :: v_dual_mov_b32 v30, v13
	s_delay_alu instid0(VALU_DEP_3) | instskip(SKIP_3) | instid1(VALU_DEP_3)
	v_lshlrev_b64 v[22:23], 2, v[21:22]
	v_dual_mov_b32 v27, v16 :: v_dual_mov_b32 v26, v15
	v_dual_mov_b32 v25, v18 :: v_dual_mov_b32 v24, v17
	s_mov_b32 s5, 0
	v_add_co_u32 v22, vcc_lo, s6, v22
	s_delay_alu instid0(VALU_DEP_4) | instskip(SKIP_3) | instid1(VALU_DEP_1)
	v_add_co_ci_u32_e32 v23, vcc_lo, s7, v23, vcc_lo
	global_load_b32 v19, v[22:23], off
	s_waitcnt vmcnt(0)
	v_subrev_nc_u32_e32 v19, s12, v19
	v_mul_lo_u32 v22, v19, 13
	s_branch .LBB283_14
.LBB283_13:                             ;   in Loop: Header=BB283_12 Depth=1
                                        ; implicit-def: $vgpr24_vgpr25
                                        ; implicit-def: $vgpr26_vgpr27
                                        ; implicit-def: $vgpr30_vgpr31
                                        ; implicit-def: $vgpr28_vgpr29
                                        ; implicit-def: $sgpr5
                                        ; implicit-def: $vgpr22
	s_branch .LBB283_11
.LBB283_14:                             ;   Parent Loop BB283_12 Depth=1
                                        ; =>  This Inner Loop Header: Depth=2
	v_add_nc_u32_e32 v19, s5, v35
	v_mov_b32_e32 v23, v20
	s_cmp_eq_u32 s5, 24
	s_delay_alu instid0(VALU_DEP_2) | instskip(NEXT) | instid1(VALU_DEP_2)
	v_lshlrev_b64 v[11:12], 4, v[19:20]
	v_lshlrev_b64 v[13:14], 4, v[22:23]
	s_delay_alu instid0(VALU_DEP_2) | instskip(NEXT) | instid1(VALU_DEP_3)
	v_add_co_u32 v36, vcc_lo, s8, v11
	v_add_co_ci_u32_e32 v37, vcc_lo, s9, v12, vcc_lo
	s_delay_alu instid0(VALU_DEP_3) | instskip(NEXT) | instid1(VALU_DEP_4)
	v_add_co_u32 v15, vcc_lo, s10, v13
	v_add_co_ci_u32_e32 v16, vcc_lo, s11, v14, vcc_lo
	global_load_b128 v[11:14], v[36:37], off
	global_load_b128 v[15:18], v[15:16], off
	global_load_b128 v[36:39], v[36:37], off offset:16
	s_waitcnt vmcnt(1)
	v_fma_f64 v[30:31], v[11:12], v[15:16], v[30:31]
	v_fma_f64 v[28:29], v[13:14], v[15:16], v[28:29]
	s_waitcnt vmcnt(0)
	v_fma_f64 v[26:27], v[36:37], v[15:16], v[26:27]
	v_fma_f64 v[23:24], v[38:39], v[15:16], v[24:25]
	s_delay_alu instid0(VALU_DEP_4) | instskip(NEXT) | instid1(VALU_DEP_4)
	v_fma_f64 v[13:14], -v[13:14], v[17:18], v[30:31]
	v_fma_f64 v[11:12], v[11:12], v[17:18], v[28:29]
	s_delay_alu instid0(VALU_DEP_4) | instskip(NEXT) | instid1(VALU_DEP_4)
	v_fma_f64 v[15:16], -v[38:39], v[17:18], v[26:27]
	v_fma_f64 v[17:18], v[36:37], v[17:18], v[23:24]
	s_cbranch_scc1 .LBB283_13
; %bb.15:                               ;   in Loop: Header=BB283_14 Depth=2
	v_add_nc_u32_e32 v31, s5, v34
	s_add_i32 s5, s5, 8
	s_delay_alu instid0(VALU_DEP_1) | instskip(NEXT) | instid1(VALU_DEP_1)
	v_add_nc_u32_e32 v19, 2, v31
	v_lshlrev_b64 v[23:24], 4, v[19:20]
	v_add_nc_u32_e32 v19, 1, v22
	s_delay_alu instid0(VALU_DEP_1) | instskip(NEXT) | instid1(VALU_DEP_3)
	v_lshlrev_b64 v[25:26], 4, v[19:20]
	v_add_co_u32 v36, vcc_lo, s8, v23
	s_delay_alu instid0(VALU_DEP_4) | instskip(SKIP_1) | instid1(VALU_DEP_4)
	v_add_co_ci_u32_e32 v37, vcc_lo, s9, v24, vcc_lo
	v_add_nc_u32_e32 v19, 4, v31
	v_add_co_u32 v27, vcc_lo, s10, v25
	v_add_co_ci_u32_e32 v28, vcc_lo, s11, v26, vcc_lo
	s_delay_alu instid0(VALU_DEP_3)
	v_lshlrev_b64 v[40:41], 4, v[19:20]
	global_load_b128 v[23:26], v[36:37], off
	global_load_b128 v[27:30], v[27:28], off
	global_load_b128 v[36:39], v[36:37], off offset:16
	v_add_nc_u32_e32 v19, 2, v22
	v_add_co_u32 v48, vcc_lo, s8, v40
	s_delay_alu instid0(VALU_DEP_2) | instskip(SKIP_2) | instid1(VALU_DEP_3)
	v_lshlrev_b64 v[42:43], 4, v[19:20]
	v_add_co_ci_u32_e32 v49, vcc_lo, s9, v41, vcc_lo
	v_add_nc_u32_e32 v19, 6, v31
	v_add_co_u32 v44, vcc_lo, s10, v42
	s_delay_alu instid0(VALU_DEP_4)
	v_add_co_ci_u32_e32 v45, vcc_lo, s11, v43, vcc_lo
	global_load_b128 v[40:43], v[48:49], off
	global_load_b128 v[44:47], v[44:45], off
	global_load_b128 v[48:51], v[48:49], off offset:16
	v_lshlrev_b64 v[52:53], 4, v[19:20]
	v_add_nc_u32_e32 v19, 3, v22
	v_add_nc_u32_e32 v22, 4, v22
	s_delay_alu instid0(VALU_DEP_2) | instskip(NEXT) | instid1(VALU_DEP_4)
	v_lshlrev_b64 v[54:55], 4, v[19:20]
	v_add_co_u32 v60, vcc_lo, s8, v52
	v_add_co_ci_u32_e32 v61, vcc_lo, s9, v53, vcc_lo
	s_delay_alu instid0(VALU_DEP_3) | instskip(NEXT) | instid1(VALU_DEP_4)
	v_add_co_u32 v56, vcc_lo, s10, v54
	v_add_co_ci_u32_e32 v57, vcc_lo, s11, v55, vcc_lo
	global_load_b128 v[52:55], v[60:61], off
	global_load_b128 v[56:59], v[56:57], off
	global_load_b128 v[60:63], v[60:61], off offset:16
	s_waitcnt vmcnt(7)
	v_fma_f64 v[64:65], v[23:24], v[27:28], v[13:14]
	v_fma_f64 v[66:67], v[25:26], v[27:28], v[11:12]
	s_waitcnt vmcnt(6)
	v_fma_f64 v[68:69], v[36:37], v[27:28], v[15:16]
	v_fma_f64 v[27:28], v[38:39], v[27:28], v[17:18]
	s_delay_alu instid0(VALU_DEP_4) | instskip(NEXT) | instid1(VALU_DEP_4)
	v_fma_f64 v[25:26], -v[25:26], v[29:30], v[64:65]
	v_fma_f64 v[23:24], v[23:24], v[29:30], v[66:67]
	s_delay_alu instid0(VALU_DEP_4) | instskip(NEXT) | instid1(VALU_DEP_4)
	v_fma_f64 v[38:39], -v[38:39], v[29:30], v[68:69]
	v_fma_f64 v[27:28], v[36:37], v[29:30], v[27:28]
	s_waitcnt vmcnt(4)
	s_delay_alu instid0(VALU_DEP_4) | instskip(NEXT) | instid1(VALU_DEP_4)
	v_fma_f64 v[25:26], v[40:41], v[44:45], v[25:26]
	v_fma_f64 v[23:24], v[42:43], v[44:45], v[23:24]
	s_waitcnt vmcnt(3)
	s_delay_alu instid0(VALU_DEP_4) | instskip(NEXT) | instid1(VALU_DEP_4)
	v_fma_f64 v[29:30], v[48:49], v[44:45], v[38:39]
	v_fma_f64 v[27:28], v[50:51], v[44:45], v[27:28]
	s_delay_alu instid0(VALU_DEP_4) | instskip(NEXT) | instid1(VALU_DEP_4)
	v_fma_f64 v[25:26], -v[42:43], v[46:47], v[25:26]
	v_fma_f64 v[23:24], v[40:41], v[46:47], v[23:24]
	s_delay_alu instid0(VALU_DEP_4) | instskip(NEXT) | instid1(VALU_DEP_4)
	v_fma_f64 v[29:30], -v[50:51], v[46:47], v[29:30]
	v_fma_f64 v[27:28], v[48:49], v[46:47], v[27:28]
	s_waitcnt vmcnt(1)
	s_delay_alu instid0(VALU_DEP_4) | instskip(NEXT) | instid1(VALU_DEP_4)
	v_fma_f64 v[25:26], v[52:53], v[56:57], v[25:26]
	v_fma_f64 v[23:24], v[54:55], v[56:57], v[23:24]
	s_waitcnt vmcnt(0)
	s_delay_alu instid0(VALU_DEP_4) | instskip(NEXT) | instid1(VALU_DEP_4)
	v_fma_f64 v[36:37], v[60:61], v[56:57], v[29:30]
	v_fma_f64 v[38:39], v[62:63], v[56:57], v[27:28]
	s_delay_alu instid0(VALU_DEP_4) | instskip(NEXT) | instid1(VALU_DEP_4)
	v_fma_f64 v[30:31], -v[54:55], v[58:59], v[25:26]
	v_fma_f64 v[28:29], v[52:53], v[58:59], v[23:24]
	s_delay_alu instid0(VALU_DEP_4) | instskip(NEXT) | instid1(VALU_DEP_4)
	v_fma_f64 v[26:27], -v[62:63], v[58:59], v[36:37]
	v_fma_f64 v[24:25], v[60:61], v[58:59], v[38:39]
	s_cbranch_execnz .LBB283_14
	s_branch .LBB283_11
.LBB283_16:
                                        ; implicit-def: $vgpr11_vgpr12
                                        ; implicit-def: $vgpr13_vgpr14
                                        ; implicit-def: $vgpr15_vgpr16
                                        ; implicit-def: $vgpr17_vgpr18
	s_branch .LBB283_19
.LBB283_17:
	s_or_b32 exec_lo, exec_lo, s4
.LBB283_18:
	s_delay_alu instid0(SALU_CYCLE_1)
	s_or_b32 exec_lo, exec_lo, s1
	s_cbranch_execnz .LBB283_28
.LBB283_19:
	v_mov_b32_e32 v11, 0
	v_mov_b32_e32 v12, 0
	s_delay_alu instid0(VALU_DEP_1)
	v_dual_mov_b32 v14, v12 :: v_dual_mov_b32 v13, v11
	v_dual_mov_b32 v16, v12 :: v_dual_mov_b32 v15, v11
	v_dual_mov_b32 v18, v12 :: v_dual_mov_b32 v17, v11
	s_and_saveexec_b32 s1, s0
	s_cbranch_execz .LBB283_27
; %bb.20:
	v_mul_lo_u32 v10, v10, 26
	v_dual_mov_b32 v11, 0 :: v_dual_mov_b32 v20, 0
	v_mov_b32_e32 v12, 0
	v_mul_lo_u32 v29, v9, 26
	s_mul_i32 s0, s12, 26
	s_delay_alu instid0(VALU_DEP_2) | instskip(SKIP_3) | instid1(VALU_DEP_3)
	v_dual_mov_b32 v14, v12 :: v_dual_mov_b32 v13, v11
	v_mad_u32_u24 v10, v32, 26, v10
	v_dual_mov_b32 v16, v12 :: v_dual_mov_b32 v15, v11
	v_dual_mov_b32 v18, v12 :: v_dual_mov_b32 v17, v11
	v_subrev_nc_u32_e32 v30, s0, v10
	s_mov_b32 s0, 0
	s_branch .LBB283_22
.LBB283_21:                             ;   in Loop: Header=BB283_22 Depth=1
	v_add_nc_u32_e32 v9, 4, v9
	v_add_nc_u32_e32 v29, 0x68, v29
	;; [unrolled: 1-line block ×3, first 2 shown]
	s_delay_alu instid0(VALU_DEP_3) | instskip(SKIP_1) | instid1(SALU_CYCLE_1)
	v_cmp_ge_i32_e32 vcc_lo, v9, v33
	s_or_b32 s0, vcc_lo, s0
	s_and_not1_b32 exec_lo, exec_lo, s0
	s_cbranch_execz .LBB283_26
.LBB283_22:                             ; =>This Loop Header: Depth=1
                                        ;     Child Loop BB283_24 Depth 2
	v_ashrrev_i32_e32 v10, 31, v9
	v_dual_mov_b32 v26, v12 :: v_dual_mov_b32 v25, v11
	v_dual_mov_b32 v28, v14 :: v_dual_mov_b32 v27, v13
	s_delay_alu instid0(VALU_DEP_3) | instskip(SKIP_2) | instid1(VALU_DEP_2)
	v_lshlrev_b64 v[21:22], 2, v[9:10]
	v_dual_mov_b32 v24, v16 :: v_dual_mov_b32 v23, v15
	s_mov_b32 s4, 0
	v_add_co_u32 v21, vcc_lo, s6, v21
	s_delay_alu instid0(VALU_DEP_3) | instskip(SKIP_4) | instid1(VALU_DEP_1)
	v_add_co_ci_u32_e32 v22, vcc_lo, s7, v22, vcc_lo
	global_load_b32 v10, v[21:22], off
	v_dual_mov_b32 v22, v18 :: v_dual_mov_b32 v21, v17
	s_waitcnt vmcnt(0)
	v_subrev_nc_u32_e32 v10, s12, v10
	v_mul_lo_u32 v10, v10, 13
	s_branch .LBB283_24
.LBB283_23:                             ;   in Loop: Header=BB283_22 Depth=1
                                        ; implicit-def: $vgpr21_vgpr22
                                        ; implicit-def: $vgpr23_vgpr24
                                        ; implicit-def: $vgpr27_vgpr28
                                        ; implicit-def: $vgpr25_vgpr26
                                        ; implicit-def: $sgpr4
	s_branch .LBB283_21
.LBB283_24:                             ;   Parent Loop BB283_22 Depth=1
                                        ; =>  This Inner Loop Header: Depth=2
	v_dual_mov_b32 v12, v20 :: v_dual_add_nc_u32 v19, s4, v30
	v_add_nc_u32_e32 v31, s4, v29
	s_cmp_eq_u32 s4, 12
	s_delay_alu instid0(VALU_DEP_2) | instskip(NEXT) | instid1(VALU_DEP_4)
	v_lshlrev_b64 v[13:14], 4, v[19:20]
	v_add_nc_u32_e32 v19, s4, v10
	s_delay_alu instid0(VALU_DEP_3) | instskip(NEXT) | instid1(VALU_DEP_2)
	v_add_nc_u32_e32 v11, 13, v31
	v_lshlrev_b64 v[15:16], 4, v[19:20]
	s_delay_alu instid0(VALU_DEP_2) | instskip(SKIP_2) | instid1(VALU_DEP_4)
	v_lshlrev_b64 v[11:12], 4, v[11:12]
	v_add_co_u32 v13, vcc_lo, s8, v13
	v_add_co_ci_u32_e32 v14, vcc_lo, s9, v14, vcc_lo
	v_add_co_u32 v15, vcc_lo, s10, v15
	v_add_co_ci_u32_e32 v16, vcc_lo, s11, v16, vcc_lo
	;; [unrolled: 2-line block ×3, first 2 shown]
	global_load_b128 v[11:14], v[13:14], off
	global_load_b128 v[15:18], v[15:16], off
	;; [unrolled: 1-line block ×3, first 2 shown]
	s_waitcnt vmcnt(1)
	v_fma_f64 v[27:28], v[11:12], v[15:16], v[27:28]
	v_fma_f64 v[25:26], v[13:14], v[15:16], v[25:26]
	s_waitcnt vmcnt(0)
	v_fma_f64 v[23:24], v[34:35], v[15:16], v[23:24]
	v_fma_f64 v[21:22], v[36:37], v[15:16], v[21:22]
	s_delay_alu instid0(VALU_DEP_4) | instskip(NEXT) | instid1(VALU_DEP_4)
	v_fma_f64 v[13:14], -v[13:14], v[17:18], v[27:28]
	v_fma_f64 v[11:12], v[11:12], v[17:18], v[25:26]
	s_delay_alu instid0(VALU_DEP_4) | instskip(NEXT) | instid1(VALU_DEP_4)
	v_fma_f64 v[15:16], -v[36:37], v[17:18], v[23:24]
	v_fma_f64 v[17:18], v[34:35], v[17:18], v[21:22]
	s_cbranch_scc1 .LBB283_23
; %bb.25:                               ;   in Loop: Header=BB283_24 Depth=2
	v_dual_mov_b32 v22, v20 :: v_dual_add_nc_u32 v21, 1, v31
	v_dual_mov_b32 v24, v20 :: v_dual_add_nc_u32 v23, 1, v19
	;; [unrolled: 1-line block ×3, first 2 shown]
	s_delay_alu instid0(VALU_DEP_3) | instskip(SKIP_1) | instid1(VALU_DEP_4)
	v_lshlrev_b64 v[21:22], 4, v[21:22]
	v_dual_mov_b32 v39, v20 :: v_dual_add_nc_u32 v38, 2, v31
	v_lshlrev_b64 v[23:24], 4, v[23:24]
	s_delay_alu instid0(VALU_DEP_4)
	v_lshlrev_b64 v[25:26], 4, v[25:26]
	v_dual_mov_b32 v41, v20 :: v_dual_add_nc_u32 v40, 2, v19
	v_add_co_u32 v21, vcc_lo, s8, v21
	v_add_co_ci_u32_e32 v22, vcc_lo, s9, v22, vcc_lo
	v_add_co_u32 v27, vcc_lo, s10, v23
	v_add_co_ci_u32_e32 v28, vcc_lo, s11, v24, vcc_lo
	;; [unrolled: 2-line block ×3, first 2 shown]
	global_load_b128 v[21:24], v[21:22], off
	global_load_b128 v[25:28], v[27:28], off
	;; [unrolled: 1-line block ×3, first 2 shown]
	v_lshlrev_b64 v[38:39], 4, v[38:39]
	v_lshlrev_b64 v[40:41], 4, v[40:41]
	v_add_nc_u32_e32 v19, 3, v19
	s_add_i32 s4, s4, 4
	s_delay_alu instid0(VALU_DEP_3) | instskip(NEXT) | instid1(VALU_DEP_4)
	v_add_co_u32 v50, vcc_lo, s8, v38
	v_add_co_ci_u32_e32 v51, vcc_lo, s9, v39, vcc_lo
	s_delay_alu instid0(VALU_DEP_4)
	v_add_co_u32 v42, vcc_lo, s10, v40
	v_add_co_ci_u32_e32 v43, vcc_lo, s11, v41, vcc_lo
	global_load_b128 v[38:41], v[50:51], off
	global_load_b128 v[42:45], v[42:43], off
	global_load_b128 v[46:49], v[46:47], off offset:16
	v_lshlrev_b64 v[52:53], 4, v[19:20]
	v_add_nc_u32_e32 v19, 16, v31
	s_delay_alu instid0(VALU_DEP_1) | instskip(NEXT) | instid1(VALU_DEP_3)
	v_lshlrev_b64 v[54:55], 4, v[19:20]
	v_add_co_u32 v56, vcc_lo, s10, v52
	s_delay_alu instid0(VALU_DEP_4) | instskip(NEXT) | instid1(VALU_DEP_3)
	v_add_co_ci_u32_e32 v57, vcc_lo, s11, v53, vcc_lo
	v_add_co_u32 v58, vcc_lo, s8, v54
	s_delay_alu instid0(VALU_DEP_4)
	v_add_co_ci_u32_e32 v59, vcc_lo, s9, v55, vcc_lo
	global_load_b128 v[50:53], v[50:51], off offset:16
	global_load_b128 v[54:57], v[56:57], off
	global_load_b128 v[58:61], v[58:59], off
	s_waitcnt vmcnt(7)
	v_fma_f64 v[62:63], v[21:22], v[25:26], v[13:14]
	v_fma_f64 v[64:65], v[23:24], v[25:26], v[11:12]
	s_waitcnt vmcnt(6)
	v_fma_f64 v[66:67], v[34:35], v[25:26], v[15:16]
	v_fma_f64 v[25:26], v[36:37], v[25:26], v[17:18]
	s_delay_alu instid0(VALU_DEP_4) | instskip(NEXT) | instid1(VALU_DEP_4)
	v_fma_f64 v[23:24], -v[23:24], v[27:28], v[62:63]
	v_fma_f64 v[21:22], v[21:22], v[27:28], v[64:65]
	s_delay_alu instid0(VALU_DEP_4) | instskip(NEXT) | instid1(VALU_DEP_4)
	v_fma_f64 v[36:37], -v[36:37], v[27:28], v[66:67]
	v_fma_f64 v[25:26], v[34:35], v[27:28], v[25:26]
	s_waitcnt vmcnt(4)
	s_delay_alu instid0(VALU_DEP_4) | instskip(NEXT) | instid1(VALU_DEP_4)
	v_fma_f64 v[23:24], v[38:39], v[42:43], v[23:24]
	v_fma_f64 v[21:22], v[40:41], v[42:43], v[21:22]
	s_waitcnt vmcnt(3)
	s_delay_alu instid0(VALU_DEP_4) | instskip(NEXT) | instid1(VALU_DEP_4)
	v_fma_f64 v[27:28], v[46:47], v[42:43], v[36:37]
	v_fma_f64 v[25:26], v[48:49], v[42:43], v[25:26]
	s_delay_alu instid0(VALU_DEP_4) | instskip(NEXT) | instid1(VALU_DEP_4)
	v_fma_f64 v[23:24], -v[40:41], v[44:45], v[23:24]
	v_fma_f64 v[21:22], v[38:39], v[44:45], v[21:22]
	s_delay_alu instid0(VALU_DEP_4) | instskip(NEXT) | instid1(VALU_DEP_4)
	v_fma_f64 v[27:28], -v[48:49], v[44:45], v[27:28]
	v_fma_f64 v[25:26], v[46:47], v[44:45], v[25:26]
	s_waitcnt vmcnt(1)
	s_delay_alu instid0(VALU_DEP_4) | instskip(NEXT) | instid1(VALU_DEP_4)
	v_fma_f64 v[23:24], v[50:51], v[54:55], v[23:24]
	v_fma_f64 v[21:22], v[52:53], v[54:55], v[21:22]
	s_waitcnt vmcnt(0)
	s_delay_alu instid0(VALU_DEP_4) | instskip(NEXT) | instid1(VALU_DEP_4)
	v_fma_f64 v[34:35], v[58:59], v[54:55], v[27:28]
	v_fma_f64 v[36:37], v[60:61], v[54:55], v[25:26]
	s_delay_alu instid0(VALU_DEP_4) | instskip(NEXT) | instid1(VALU_DEP_4)
	v_fma_f64 v[27:28], -v[52:53], v[56:57], v[23:24]
	v_fma_f64 v[25:26], v[50:51], v[56:57], v[21:22]
	s_delay_alu instid0(VALU_DEP_4) | instskip(NEXT) | instid1(VALU_DEP_4)
	v_fma_f64 v[23:24], -v[60:61], v[56:57], v[34:35]
	v_fma_f64 v[21:22], v[58:59], v[56:57], v[36:37]
	s_cbranch_execnz .LBB283_24
	s_branch .LBB283_21
.LBB283_26:
	s_or_b32 exec_lo, exec_lo, s0
.LBB283_27:
	s_delay_alu instid0(SALU_CYCLE_1)
	s_or_b32 exec_lo, exec_lo, s1
.LBB283_28:
	v_mbcnt_lo_u32_b32 v25, -1, 0
	s_delay_alu instid0(VALU_DEP_1) | instskip(NEXT) | instid1(VALU_DEP_1)
	v_xor_b32_e32 v9, 2, v25
	v_cmp_gt_i32_e32 vcc_lo, 32, v9
	v_cndmask_b32_e32 v9, v25, v9, vcc_lo
	s_delay_alu instid0(VALU_DEP_1)
	v_lshlrev_b32_e32 v24, 2, v9
	ds_bpermute_b32 v19, v24, v11
	ds_bpermute_b32 v20, v24, v12
	;; [unrolled: 1-line block ×4, first 2 shown]
	s_waitcnt lgkmcnt(2)
	v_add_f64 v[19:20], v[11:12], v[19:20]
	s_waitcnt lgkmcnt(0)
	v_add_f64 v[11:12], v[15:16], v[21:22]
	v_xor_b32_e32 v15, 1, v25
	s_delay_alu instid0(VALU_DEP_1)
	v_cmp_gt_i32_e32 vcc_lo, 32, v15
	v_cndmask_b32_e32 v15, v25, v15, vcc_lo
	ds_bpermute_b32 v9, v24, v13
	ds_bpermute_b32 v10, v24, v14
	;; [unrolled: 1-line block ×4, first 2 shown]
	v_lshlrev_b32_e32 v22, 2, v15
	v_cmp_eq_u32_e32 vcc_lo, 3, v32
	s_waitcnt lgkmcnt(2)
	v_add_f64 v[9:10], v[13:14], v[9:10]
	s_waitcnt lgkmcnt(0)
	v_add_f64 v[13:14], v[17:18], v[23:24]
	ds_bpermute_b32 v15, v22, v19
	ds_bpermute_b32 v16, v22, v20
	ds_bpermute_b32 v17, v22, v11
	ds_bpermute_b32 v18, v22, v12
	ds_bpermute_b32 v23, v22, v9
	ds_bpermute_b32 v24, v22, v10
	ds_bpermute_b32 v21, v22, v13
	ds_bpermute_b32 v22, v22, v14
	s_and_b32 exec_lo, exec_lo, vcc_lo
	s_cbranch_execz .LBB283_33
; %bb.29:
	v_cmp_eq_f64_e32 vcc_lo, 0, v[4:5]
	v_cmp_eq_f64_e64 s0, 0, v[6:7]
	s_waitcnt lgkmcnt(2)
	v_add_f64 v[9:10], v[9:10], v[23:24]
	v_add_f64 v[15:16], v[19:20], v[15:16]
	;; [unrolled: 1-line block ×3, first 2 shown]
	s_waitcnt lgkmcnt(0)
	v_add_f64 v[13:14], v[13:14], v[21:22]
	s_load_b64 s[2:3], s[2:3], 0x48
	s_and_b32 s0, vcc_lo, s0
	s_delay_alu instid0(SALU_CYCLE_1) | instskip(NEXT) | instid1(SALU_CYCLE_1)
	s_and_saveexec_b32 s1, s0
	s_xor_b32 s0, exec_lo, s1
	s_cbranch_execz .LBB283_31
; %bb.30:
	s_delay_alu instid0(VALU_DEP_3) | instskip(SKIP_1) | instid1(VALU_DEP_3)
	v_mul_f64 v[4:5], v[15:16], -v[2:3]
	v_mul_f64 v[6:7], v[0:1], v[15:16]
	v_mul_f64 v[15:16], v[13:14], -v[2:3]
	v_mul_f64 v[13:14], v[0:1], v[13:14]
	v_lshlrev_b32_e32 v8, 1, v8
	v_fma_f64 v[4:5], v[0:1], v[9:10], v[4:5]
	v_fma_f64 v[6:7], v[2:3], v[9:10], v[6:7]
	;; [unrolled: 1-line block ×4, first 2 shown]
	v_ashrrev_i32_e32 v9, 31, v8
                                        ; implicit-def: $vgpr15_vgpr16
                                        ; implicit-def: $vgpr11_vgpr12
                                        ; implicit-def: $vgpr13_vgpr14
	s_delay_alu instid0(VALU_DEP_1) | instskip(SKIP_1) | instid1(VALU_DEP_1)
	v_lshlrev_b64 v[8:9], 4, v[8:9]
	s_waitcnt lgkmcnt(0)
	v_add_co_u32 v8, vcc_lo, s2, v8
	s_delay_alu instid0(VALU_DEP_2)
	v_add_co_ci_u32_e32 v9, vcc_lo, s3, v9, vcc_lo
	s_clause 0x1
	global_store_b128 v[8:9], v[4:7], off
	global_store_b128 v[8:9], v[0:3], off offset:16
                                        ; implicit-def: $vgpr0_vgpr1
                                        ; implicit-def: $vgpr2_vgpr3
                                        ; implicit-def: $vgpr4_vgpr5
                                        ; implicit-def: $vgpr6_vgpr7
                                        ; implicit-def: $vgpr8
                                        ; implicit-def: $vgpr9_vgpr10
.LBB283_31:
	s_and_not1_saveexec_b32 s0, s0
	s_cbranch_execz .LBB283_33
; %bb.32:
	v_lshlrev_b32_e32 v17, 1, v8
	s_delay_alu instid0(VALU_DEP_4) | instskip(SKIP_1) | instid1(VALU_DEP_4)
	v_mul_f64 v[27:28], v[15:16], -v[2:3]
	v_mul_f64 v[15:16], v[0:1], v[15:16]
	v_mul_f64 v[29:30], v[13:14], -v[2:3]
	v_mul_f64 v[13:14], v[0:1], v[13:14]
	v_ashrrev_i32_e32 v18, 31, v17
	s_delay_alu instid0(VALU_DEP_1) | instskip(SKIP_1) | instid1(VALU_DEP_1)
	v_lshlrev_b64 v[17:18], 4, v[17:18]
	s_waitcnt lgkmcnt(0)
	v_add_co_u32 v25, vcc_lo, s2, v17
	s_delay_alu instid0(VALU_DEP_2)
	v_add_co_ci_u32_e32 v26, vcc_lo, s3, v18, vcc_lo
	s_clause 0x1
	global_load_b128 v[17:20], v[25:26], off
	global_load_b128 v[21:24], v[25:26], off offset:16
	v_fma_f64 v[27:28], v[0:1], v[9:10], v[27:28]
	v_fma_f64 v[8:9], v[2:3], v[9:10], v[15:16]
	;; [unrolled: 1-line block ×4, first 2 shown]
	s_waitcnt vmcnt(1)
	s_delay_alu instid0(VALU_DEP_4) | instskip(NEXT) | instid1(VALU_DEP_4)
	v_fma_f64 v[10:11], v[4:5], v[17:18], v[27:28]
	v_fma_f64 v[8:9], v[6:7], v[17:18], v[8:9]
	s_waitcnt vmcnt(0)
	s_delay_alu instid0(VALU_DEP_4) | instskip(NEXT) | instid1(VALU_DEP_4)
	v_fma_f64 v[12:13], v[4:5], v[21:22], v[0:1]
	v_fma_f64 v[14:15], v[6:7], v[21:22], v[2:3]
	s_delay_alu instid0(VALU_DEP_4) | instskip(NEXT) | instid1(VALU_DEP_4)
	v_fma_f64 v[0:1], -v[6:7], v[19:20], v[10:11]
	v_fma_f64 v[2:3], v[4:5], v[19:20], v[8:9]
	s_delay_alu instid0(VALU_DEP_4) | instskip(NEXT) | instid1(VALU_DEP_4)
	v_fma_f64 v[6:7], -v[6:7], v[23:24], v[12:13]
	v_fma_f64 v[8:9], v[4:5], v[23:24], v[14:15]
	s_clause 0x1
	global_store_b128 v[25:26], v[0:3], off
	global_store_b128 v[25:26], v[6:9], off offset:16
.LBB283_33:
	s_nop 0
	s_sendmsg sendmsg(MSG_DEALLOC_VGPRS)
	s_endpgm
	.section	.rodata,"a",@progbits
	.p2align	6, 0x0
	.amdhsa_kernel _ZN9rocsparseL19gebsrmvn_2xn_kernelILj128ELj13ELj4E21rocsparse_complex_numIdEEEvi20rocsparse_direction_NS_24const_host_device_scalarIT2_EEPKiS8_PKS5_SA_S6_PS5_21rocsparse_index_base_b
		.amdhsa_group_segment_fixed_size 2048
		.amdhsa_private_segment_fixed_size 0
		.amdhsa_kernarg_size 88
		.amdhsa_user_sgpr_count 15
		.amdhsa_user_sgpr_dispatch_ptr 1
		.amdhsa_user_sgpr_queue_ptr 0
		.amdhsa_user_sgpr_kernarg_segment_ptr 1
		.amdhsa_user_sgpr_dispatch_id 0
		.amdhsa_user_sgpr_private_segment_size 0
		.amdhsa_wavefront_size32 1
		.amdhsa_uses_dynamic_stack 0
		.amdhsa_enable_private_segment 0
		.amdhsa_system_sgpr_workgroup_id_x 1
		.amdhsa_system_sgpr_workgroup_id_y 0
		.amdhsa_system_sgpr_workgroup_id_z 0
		.amdhsa_system_sgpr_workgroup_info 0
		.amdhsa_system_vgpr_workitem_id 2
		.amdhsa_next_free_vgpr 70
		.amdhsa_next_free_sgpr 18
		.amdhsa_reserve_vcc 1
		.amdhsa_float_round_mode_32 0
		.amdhsa_float_round_mode_16_64 0
		.amdhsa_float_denorm_mode_32 3
		.amdhsa_float_denorm_mode_16_64 3
		.amdhsa_dx10_clamp 1
		.amdhsa_ieee_mode 1
		.amdhsa_fp16_overflow 0
		.amdhsa_workgroup_processor_mode 1
		.amdhsa_memory_ordered 1
		.amdhsa_forward_progress 0
		.amdhsa_shared_vgpr_count 0
		.amdhsa_exception_fp_ieee_invalid_op 0
		.amdhsa_exception_fp_denorm_src 0
		.amdhsa_exception_fp_ieee_div_zero 0
		.amdhsa_exception_fp_ieee_overflow 0
		.amdhsa_exception_fp_ieee_underflow 0
		.amdhsa_exception_fp_ieee_inexact 0
		.amdhsa_exception_int_div_zero 0
	.end_amdhsa_kernel
	.section	.text._ZN9rocsparseL19gebsrmvn_2xn_kernelILj128ELj13ELj4E21rocsparse_complex_numIdEEEvi20rocsparse_direction_NS_24const_host_device_scalarIT2_EEPKiS8_PKS5_SA_S6_PS5_21rocsparse_index_base_b,"axG",@progbits,_ZN9rocsparseL19gebsrmvn_2xn_kernelILj128ELj13ELj4E21rocsparse_complex_numIdEEEvi20rocsparse_direction_NS_24const_host_device_scalarIT2_EEPKiS8_PKS5_SA_S6_PS5_21rocsparse_index_base_b,comdat
.Lfunc_end283:
	.size	_ZN9rocsparseL19gebsrmvn_2xn_kernelILj128ELj13ELj4E21rocsparse_complex_numIdEEEvi20rocsparse_direction_NS_24const_host_device_scalarIT2_EEPKiS8_PKS5_SA_S6_PS5_21rocsparse_index_base_b, .Lfunc_end283-_ZN9rocsparseL19gebsrmvn_2xn_kernelILj128ELj13ELj4E21rocsparse_complex_numIdEEEvi20rocsparse_direction_NS_24const_host_device_scalarIT2_EEPKiS8_PKS5_SA_S6_PS5_21rocsparse_index_base_b
                                        ; -- End function
	.section	.AMDGPU.csdata,"",@progbits
; Kernel info:
; codeLenInByte = 3192
; NumSgprs: 20
; NumVgprs: 70
; ScratchSize: 0
; MemoryBound: 0
; FloatMode: 240
; IeeeMode: 1
; LDSByteSize: 2048 bytes/workgroup (compile time only)
; SGPRBlocks: 2
; VGPRBlocks: 8
; NumSGPRsForWavesPerEU: 20
; NumVGPRsForWavesPerEU: 70
; Occupancy: 16
; WaveLimiterHint : 1
; COMPUTE_PGM_RSRC2:SCRATCH_EN: 0
; COMPUTE_PGM_RSRC2:USER_SGPR: 15
; COMPUTE_PGM_RSRC2:TRAP_HANDLER: 0
; COMPUTE_PGM_RSRC2:TGID_X_EN: 1
; COMPUTE_PGM_RSRC2:TGID_Y_EN: 0
; COMPUTE_PGM_RSRC2:TGID_Z_EN: 0
; COMPUTE_PGM_RSRC2:TIDIG_COMP_CNT: 2
	.section	.text._ZN9rocsparseL19gebsrmvn_2xn_kernelILj128ELj13ELj8E21rocsparse_complex_numIdEEEvi20rocsparse_direction_NS_24const_host_device_scalarIT2_EEPKiS8_PKS5_SA_S6_PS5_21rocsparse_index_base_b,"axG",@progbits,_ZN9rocsparseL19gebsrmvn_2xn_kernelILj128ELj13ELj8E21rocsparse_complex_numIdEEEvi20rocsparse_direction_NS_24const_host_device_scalarIT2_EEPKiS8_PKS5_SA_S6_PS5_21rocsparse_index_base_b,comdat
	.globl	_ZN9rocsparseL19gebsrmvn_2xn_kernelILj128ELj13ELj8E21rocsparse_complex_numIdEEEvi20rocsparse_direction_NS_24const_host_device_scalarIT2_EEPKiS8_PKS5_SA_S6_PS5_21rocsparse_index_base_b ; -- Begin function _ZN9rocsparseL19gebsrmvn_2xn_kernelILj128ELj13ELj8E21rocsparse_complex_numIdEEEvi20rocsparse_direction_NS_24const_host_device_scalarIT2_EEPKiS8_PKS5_SA_S6_PS5_21rocsparse_index_base_b
	.p2align	8
	.type	_ZN9rocsparseL19gebsrmvn_2xn_kernelILj128ELj13ELj8E21rocsparse_complex_numIdEEEvi20rocsparse_direction_NS_24const_host_device_scalarIT2_EEPKiS8_PKS5_SA_S6_PS5_21rocsparse_index_base_b,@function
_ZN9rocsparseL19gebsrmvn_2xn_kernelILj128ELj13ELj8E21rocsparse_complex_numIdEEEvi20rocsparse_direction_NS_24const_host_device_scalarIT2_EEPKiS8_PKS5_SA_S6_PS5_21rocsparse_index_base_b: ; @_ZN9rocsparseL19gebsrmvn_2xn_kernelILj128ELj13ELj8E21rocsparse_complex_numIdEEEvi20rocsparse_direction_NS_24const_host_device_scalarIT2_EEPKiS8_PKS5_SA_S6_PS5_21rocsparse_index_base_b
; %bb.0:
	s_load_b64 s[12:13], s[2:3], 0x50
	s_load_b64 s[16:17], s[0:1], 0x4
	s_load_b128 s[8:11], s[2:3], 0x8
	v_bfe_u32 v1, v0, 10, 10
	s_mov_b64 s[0:1], src_shared_base
	s_load_b128 s[4:7], s[2:3], 0x38
	v_and_b32_e32 v12, 0x3ff, v0
	v_bfe_u32 v0, v0, 20, 10
	s_waitcnt lgkmcnt(0)
	s_bitcmp1_b32 s13, 0
	v_mul_u32_u24_e32 v1, s17, v1
	s_cselect_b32 s0, -1, 0
	s_delay_alu instid0(SALU_CYCLE_1)
	s_and_b32 vcc_lo, s0, exec_lo
	s_cselect_b32 s13, s1, s9
	s_lshr_b32 s14, s16, 16
	v_dual_mov_b32 v2, s4 :: v_dual_mov_b32 v3, s5
	s_mul_i32 s14, s14, s17
	v_mov_b32_e32 v6, s13
	v_mad_u32_u24 v1, s14, v12, v1
	s_delay_alu instid0(VALU_DEP_1) | instskip(SKIP_1) | instid1(VALU_DEP_2)
	v_add_lshl_u32 v4, v1, v0, 3
	v_dual_mov_b32 v0, s8 :: v_dual_mov_b32 v1, s9
	v_add_nc_u32_e32 v5, 0x400, v4
	ds_store_2addr_stride64_b64 v4, v[2:3], v[0:1] offset1:2
	v_dual_mov_b32 v2, s10 :: v_dual_mov_b32 v3, s11
	v_cndmask_b32_e64 v5, s8, v5, s0
	s_xor_b32 s10, s0, -1
	flat_load_b64 v[0:1], v[5:6]
	s_cbranch_vccnz .LBB284_2
; %bb.1:
	v_dual_mov_b32 v2, s8 :: v_dual_mov_b32 v3, s9
	flat_load_b64 v[2:3], v[2:3] offset:8
.LBB284_2:
	s_and_b32 s8, s0, exec_lo
	s_cselect_b32 s1, s1, s5
	v_cndmask_b32_e64 v4, s4, v4, s0
	v_dual_mov_b32 v5, s1 :: v_dual_mov_b32 v6, s6
	v_mov_b32_e32 v7, s7
	s_and_not1_b32 vcc_lo, exec_lo, s10
	flat_load_b64 v[4:5], v[4:5]
	s_cbranch_vccnz .LBB284_4
; %bb.3:
	v_dual_mov_b32 v7, s5 :: v_dual_mov_b32 v6, s4
	flat_load_b64 v[6:7], v[6:7] offset:8
.LBB284_4:
	s_waitcnt vmcnt(1) lgkmcnt(1)
	v_cmp_eq_f64_e32 vcc_lo, 0, v[0:1]
	v_cmp_eq_f64_e64 s0, 0, v[2:3]
	s_delay_alu instid0(VALU_DEP_1)
	s_and_b32 s4, vcc_lo, s0
	s_mov_b32 s0, -1
	s_and_saveexec_b32 s1, s4
	s_cbranch_execz .LBB284_6
; %bb.5:
	s_waitcnt vmcnt(0) lgkmcnt(0)
	v_cmp_neq_f64_e32 vcc_lo, 1.0, v[4:5]
	v_cmp_neq_f64_e64 s0, 0, v[6:7]
	s_delay_alu instid0(VALU_DEP_1) | instskip(NEXT) | instid1(SALU_CYCLE_1)
	s_or_b32 s0, vcc_lo, s0
	s_or_not1_b32 s0, s0, exec_lo
.LBB284_6:
	s_or_b32 exec_lo, exec_lo, s1
	s_and_saveexec_b32 s1, s0
	s_cbranch_execz .LBB284_33
; %bb.7:
	s_load_b64 s[0:1], s[2:3], 0x0
	v_lshrrev_b32_e32 v8, 3, v12
	s_delay_alu instid0(VALU_DEP_1) | instskip(SKIP_1) | instid1(VALU_DEP_1)
	v_lshl_or_b32 v8, s15, 4, v8
	s_waitcnt lgkmcnt(0)
	v_cmp_gt_i32_e32 vcc_lo, s0, v8
	s_and_b32 exec_lo, exec_lo, vcc_lo
	s_cbranch_execz .LBB284_33
; %bb.8:
	s_load_b256 s[4:11], s[2:3], 0x18
	v_ashrrev_i32_e32 v9, 31, v8
	v_and_b32_e32 v32, 7, v12
	s_cmp_lg_u32 s1, 0
	s_delay_alu instid0(VALU_DEP_2) | instskip(SKIP_1) | instid1(VALU_DEP_1)
	v_lshlrev_b64 v[9:10], 2, v[8:9]
	s_waitcnt lgkmcnt(0)
	v_add_co_u32 v9, vcc_lo, s4, v9
	s_delay_alu instid0(VALU_DEP_2) | instskip(SKIP_4) | instid1(VALU_DEP_2)
	v_add_co_ci_u32_e32 v10, vcc_lo, s5, v10, vcc_lo
	global_load_b64 v[10:11], v[9:10], off
	s_waitcnt vmcnt(0)
	v_subrev_nc_u32_e32 v9, s12, v10
	v_subrev_nc_u32_e32 v33, s12, v11
	v_add_nc_u32_e32 v9, v9, v32
	s_delay_alu instid0(VALU_DEP_1)
	v_cmp_lt_i32_e64 s0, v9, v33
	s_cbranch_scc0 .LBB284_16
; %bb.9:
	v_mov_b32_e32 v11, 0
	v_mov_b32_e32 v12, 0
	s_delay_alu instid0(VALU_DEP_1)
	v_dual_mov_b32 v14, v12 :: v_dual_mov_b32 v13, v11
	v_dual_mov_b32 v16, v12 :: v_dual_mov_b32 v15, v11
	;; [unrolled: 1-line block ×3, first 2 shown]
	s_and_saveexec_b32 s1, s0
	s_cbranch_execz .LBB284_18
; %bb.10:
	v_mul_lo_u32 v13, v10, 26
	v_dual_mov_b32 v11, 0 :: v_dual_mov_b32 v20, 0
	v_dual_mov_b32 v12, 0 :: v_dual_mov_b32 v21, v9
	v_mul_lo_u32 v34, v9, 26
	s_mul_i32 s4, s12, 26
	s_delay_alu instid0(VALU_DEP_2) | instskip(SKIP_2) | instid1(VALU_DEP_2)
	v_dual_mov_b32 v16, v12 :: v_dual_mov_b32 v15, v11
	v_mad_u32_u24 v17, v32, 26, v13
	v_dual_mov_b32 v14, v12 :: v_dual_mov_b32 v13, v11
	v_subrev_nc_u32_e32 v35, s4, v17
	v_dual_mov_b32 v18, v12 :: v_dual_mov_b32 v17, v11
	s_mov_b32 s4, 0
	s_branch .LBB284_12
.LBB284_11:                             ;   in Loop: Header=BB284_12 Depth=1
	v_add_nc_u32_e32 v21, 8, v21
	v_add_nc_u32_e32 v34, 0xd0, v34
	;; [unrolled: 1-line block ×3, first 2 shown]
	s_delay_alu instid0(VALU_DEP_3) | instskip(SKIP_1) | instid1(SALU_CYCLE_1)
	v_cmp_ge_i32_e32 vcc_lo, v21, v33
	s_or_b32 s4, vcc_lo, s4
	s_and_not1_b32 exec_lo, exec_lo, s4
	s_cbranch_execz .LBB284_17
.LBB284_12:                             ; =>This Loop Header: Depth=1
                                        ;     Child Loop BB284_14 Depth 2
	v_ashrrev_i32_e32 v22, 31, v21
	v_dual_mov_b32 v29, v12 :: v_dual_mov_b32 v28, v11
	v_dual_mov_b32 v31, v14 :: v_dual_mov_b32 v30, v13
	s_delay_alu instid0(VALU_DEP_3) | instskip(SKIP_3) | instid1(VALU_DEP_3)
	v_lshlrev_b64 v[22:23], 2, v[21:22]
	v_dual_mov_b32 v27, v16 :: v_dual_mov_b32 v26, v15
	v_dual_mov_b32 v25, v18 :: v_dual_mov_b32 v24, v17
	s_mov_b32 s5, 0
	v_add_co_u32 v22, vcc_lo, s6, v22
	s_delay_alu instid0(VALU_DEP_4) | instskip(SKIP_3) | instid1(VALU_DEP_1)
	v_add_co_ci_u32_e32 v23, vcc_lo, s7, v23, vcc_lo
	global_load_b32 v19, v[22:23], off
	s_waitcnt vmcnt(0)
	v_subrev_nc_u32_e32 v19, s12, v19
	v_mul_lo_u32 v22, v19, 13
	s_branch .LBB284_14
.LBB284_13:                             ;   in Loop: Header=BB284_12 Depth=1
                                        ; implicit-def: $vgpr24_vgpr25
                                        ; implicit-def: $vgpr26_vgpr27
                                        ; implicit-def: $vgpr30_vgpr31
                                        ; implicit-def: $vgpr28_vgpr29
                                        ; implicit-def: $sgpr5
                                        ; implicit-def: $vgpr22
	s_branch .LBB284_11
.LBB284_14:                             ;   Parent Loop BB284_12 Depth=1
                                        ; =>  This Inner Loop Header: Depth=2
	v_add_nc_u32_e32 v19, s5, v35
	v_mov_b32_e32 v23, v20
	s_cmp_eq_u32 s5, 24
	s_delay_alu instid0(VALU_DEP_2) | instskip(NEXT) | instid1(VALU_DEP_2)
	v_lshlrev_b64 v[11:12], 4, v[19:20]
	v_lshlrev_b64 v[13:14], 4, v[22:23]
	s_delay_alu instid0(VALU_DEP_2) | instskip(NEXT) | instid1(VALU_DEP_3)
	v_add_co_u32 v36, vcc_lo, s8, v11
	v_add_co_ci_u32_e32 v37, vcc_lo, s9, v12, vcc_lo
	s_delay_alu instid0(VALU_DEP_3) | instskip(NEXT) | instid1(VALU_DEP_4)
	v_add_co_u32 v15, vcc_lo, s10, v13
	v_add_co_ci_u32_e32 v16, vcc_lo, s11, v14, vcc_lo
	global_load_b128 v[11:14], v[36:37], off
	global_load_b128 v[15:18], v[15:16], off
	global_load_b128 v[36:39], v[36:37], off offset:16
	s_waitcnt vmcnt(1)
	v_fma_f64 v[30:31], v[11:12], v[15:16], v[30:31]
	v_fma_f64 v[28:29], v[13:14], v[15:16], v[28:29]
	s_waitcnt vmcnt(0)
	v_fma_f64 v[26:27], v[36:37], v[15:16], v[26:27]
	v_fma_f64 v[23:24], v[38:39], v[15:16], v[24:25]
	s_delay_alu instid0(VALU_DEP_4) | instskip(NEXT) | instid1(VALU_DEP_4)
	v_fma_f64 v[13:14], -v[13:14], v[17:18], v[30:31]
	v_fma_f64 v[11:12], v[11:12], v[17:18], v[28:29]
	s_delay_alu instid0(VALU_DEP_4) | instskip(NEXT) | instid1(VALU_DEP_4)
	v_fma_f64 v[15:16], -v[38:39], v[17:18], v[26:27]
	v_fma_f64 v[17:18], v[36:37], v[17:18], v[23:24]
	s_cbranch_scc1 .LBB284_13
; %bb.15:                               ;   in Loop: Header=BB284_14 Depth=2
	v_add_nc_u32_e32 v31, s5, v34
	s_add_i32 s5, s5, 8
	s_delay_alu instid0(VALU_DEP_1) | instskip(NEXT) | instid1(VALU_DEP_1)
	v_add_nc_u32_e32 v19, 2, v31
	v_lshlrev_b64 v[23:24], 4, v[19:20]
	v_add_nc_u32_e32 v19, 1, v22
	s_delay_alu instid0(VALU_DEP_1) | instskip(NEXT) | instid1(VALU_DEP_3)
	v_lshlrev_b64 v[25:26], 4, v[19:20]
	v_add_co_u32 v36, vcc_lo, s8, v23
	s_delay_alu instid0(VALU_DEP_4) | instskip(SKIP_1) | instid1(VALU_DEP_4)
	v_add_co_ci_u32_e32 v37, vcc_lo, s9, v24, vcc_lo
	v_add_nc_u32_e32 v19, 4, v31
	v_add_co_u32 v27, vcc_lo, s10, v25
	v_add_co_ci_u32_e32 v28, vcc_lo, s11, v26, vcc_lo
	s_delay_alu instid0(VALU_DEP_3)
	v_lshlrev_b64 v[40:41], 4, v[19:20]
	global_load_b128 v[23:26], v[36:37], off
	global_load_b128 v[27:30], v[27:28], off
	global_load_b128 v[36:39], v[36:37], off offset:16
	v_add_nc_u32_e32 v19, 2, v22
	v_add_co_u32 v48, vcc_lo, s8, v40
	s_delay_alu instid0(VALU_DEP_2) | instskip(SKIP_2) | instid1(VALU_DEP_3)
	v_lshlrev_b64 v[42:43], 4, v[19:20]
	v_add_co_ci_u32_e32 v49, vcc_lo, s9, v41, vcc_lo
	v_add_nc_u32_e32 v19, 6, v31
	v_add_co_u32 v44, vcc_lo, s10, v42
	s_delay_alu instid0(VALU_DEP_4)
	v_add_co_ci_u32_e32 v45, vcc_lo, s11, v43, vcc_lo
	global_load_b128 v[40:43], v[48:49], off
	global_load_b128 v[44:47], v[44:45], off
	global_load_b128 v[48:51], v[48:49], off offset:16
	v_lshlrev_b64 v[52:53], 4, v[19:20]
	v_add_nc_u32_e32 v19, 3, v22
	v_add_nc_u32_e32 v22, 4, v22
	s_delay_alu instid0(VALU_DEP_2) | instskip(NEXT) | instid1(VALU_DEP_4)
	v_lshlrev_b64 v[54:55], 4, v[19:20]
	v_add_co_u32 v60, vcc_lo, s8, v52
	v_add_co_ci_u32_e32 v61, vcc_lo, s9, v53, vcc_lo
	s_delay_alu instid0(VALU_DEP_3) | instskip(NEXT) | instid1(VALU_DEP_4)
	v_add_co_u32 v56, vcc_lo, s10, v54
	v_add_co_ci_u32_e32 v57, vcc_lo, s11, v55, vcc_lo
	global_load_b128 v[52:55], v[60:61], off
	global_load_b128 v[56:59], v[56:57], off
	global_load_b128 v[60:63], v[60:61], off offset:16
	s_waitcnt vmcnt(7)
	v_fma_f64 v[64:65], v[23:24], v[27:28], v[13:14]
	v_fma_f64 v[66:67], v[25:26], v[27:28], v[11:12]
	s_waitcnt vmcnt(6)
	v_fma_f64 v[68:69], v[36:37], v[27:28], v[15:16]
	v_fma_f64 v[27:28], v[38:39], v[27:28], v[17:18]
	s_delay_alu instid0(VALU_DEP_4) | instskip(NEXT) | instid1(VALU_DEP_4)
	v_fma_f64 v[25:26], -v[25:26], v[29:30], v[64:65]
	v_fma_f64 v[23:24], v[23:24], v[29:30], v[66:67]
	s_delay_alu instid0(VALU_DEP_4) | instskip(NEXT) | instid1(VALU_DEP_4)
	v_fma_f64 v[38:39], -v[38:39], v[29:30], v[68:69]
	v_fma_f64 v[27:28], v[36:37], v[29:30], v[27:28]
	s_waitcnt vmcnt(4)
	s_delay_alu instid0(VALU_DEP_4) | instskip(NEXT) | instid1(VALU_DEP_4)
	v_fma_f64 v[25:26], v[40:41], v[44:45], v[25:26]
	v_fma_f64 v[23:24], v[42:43], v[44:45], v[23:24]
	s_waitcnt vmcnt(3)
	s_delay_alu instid0(VALU_DEP_4) | instskip(NEXT) | instid1(VALU_DEP_4)
	v_fma_f64 v[29:30], v[48:49], v[44:45], v[38:39]
	v_fma_f64 v[27:28], v[50:51], v[44:45], v[27:28]
	s_delay_alu instid0(VALU_DEP_4) | instskip(NEXT) | instid1(VALU_DEP_4)
	v_fma_f64 v[25:26], -v[42:43], v[46:47], v[25:26]
	v_fma_f64 v[23:24], v[40:41], v[46:47], v[23:24]
	s_delay_alu instid0(VALU_DEP_4) | instskip(NEXT) | instid1(VALU_DEP_4)
	v_fma_f64 v[29:30], -v[50:51], v[46:47], v[29:30]
	v_fma_f64 v[27:28], v[48:49], v[46:47], v[27:28]
	s_waitcnt vmcnt(1)
	s_delay_alu instid0(VALU_DEP_4) | instskip(NEXT) | instid1(VALU_DEP_4)
	v_fma_f64 v[25:26], v[52:53], v[56:57], v[25:26]
	v_fma_f64 v[23:24], v[54:55], v[56:57], v[23:24]
	s_waitcnt vmcnt(0)
	s_delay_alu instid0(VALU_DEP_4) | instskip(NEXT) | instid1(VALU_DEP_4)
	v_fma_f64 v[36:37], v[60:61], v[56:57], v[29:30]
	v_fma_f64 v[38:39], v[62:63], v[56:57], v[27:28]
	s_delay_alu instid0(VALU_DEP_4) | instskip(NEXT) | instid1(VALU_DEP_4)
	v_fma_f64 v[30:31], -v[54:55], v[58:59], v[25:26]
	v_fma_f64 v[28:29], v[52:53], v[58:59], v[23:24]
	s_delay_alu instid0(VALU_DEP_4) | instskip(NEXT) | instid1(VALU_DEP_4)
	v_fma_f64 v[26:27], -v[62:63], v[58:59], v[36:37]
	v_fma_f64 v[24:25], v[60:61], v[58:59], v[38:39]
	s_cbranch_execnz .LBB284_14
	s_branch .LBB284_11
.LBB284_16:
                                        ; implicit-def: $vgpr11_vgpr12
                                        ; implicit-def: $vgpr13_vgpr14
                                        ; implicit-def: $vgpr15_vgpr16
                                        ; implicit-def: $vgpr17_vgpr18
	s_branch .LBB284_19
.LBB284_17:
	s_or_b32 exec_lo, exec_lo, s4
.LBB284_18:
	s_delay_alu instid0(SALU_CYCLE_1)
	s_or_b32 exec_lo, exec_lo, s1
	s_cbranch_execnz .LBB284_28
.LBB284_19:
	v_mov_b32_e32 v11, 0
	v_mov_b32_e32 v12, 0
	s_delay_alu instid0(VALU_DEP_1)
	v_dual_mov_b32 v14, v12 :: v_dual_mov_b32 v13, v11
	v_dual_mov_b32 v16, v12 :: v_dual_mov_b32 v15, v11
	;; [unrolled: 1-line block ×3, first 2 shown]
	s_and_saveexec_b32 s1, s0
	s_cbranch_execz .LBB284_27
; %bb.20:
	v_mul_lo_u32 v10, v10, 26
	v_dual_mov_b32 v11, 0 :: v_dual_mov_b32 v20, 0
	v_mov_b32_e32 v12, 0
	v_mul_lo_u32 v29, v9, 26
	s_mul_i32 s0, s12, 26
	s_delay_alu instid0(VALU_DEP_2) | instskip(SKIP_3) | instid1(VALU_DEP_3)
	v_dual_mov_b32 v14, v12 :: v_dual_mov_b32 v13, v11
	v_mad_u32_u24 v10, v32, 26, v10
	v_dual_mov_b32 v16, v12 :: v_dual_mov_b32 v15, v11
	v_dual_mov_b32 v18, v12 :: v_dual_mov_b32 v17, v11
	v_subrev_nc_u32_e32 v30, s0, v10
	s_mov_b32 s0, 0
	s_branch .LBB284_22
.LBB284_21:                             ;   in Loop: Header=BB284_22 Depth=1
	v_add_nc_u32_e32 v9, 8, v9
	v_add_nc_u32_e32 v29, 0xd0, v29
	;; [unrolled: 1-line block ×3, first 2 shown]
	s_delay_alu instid0(VALU_DEP_3) | instskip(SKIP_1) | instid1(SALU_CYCLE_1)
	v_cmp_ge_i32_e32 vcc_lo, v9, v33
	s_or_b32 s0, vcc_lo, s0
	s_and_not1_b32 exec_lo, exec_lo, s0
	s_cbranch_execz .LBB284_26
.LBB284_22:                             ; =>This Loop Header: Depth=1
                                        ;     Child Loop BB284_24 Depth 2
	v_ashrrev_i32_e32 v10, 31, v9
	v_dual_mov_b32 v26, v12 :: v_dual_mov_b32 v25, v11
	v_dual_mov_b32 v28, v14 :: v_dual_mov_b32 v27, v13
	s_delay_alu instid0(VALU_DEP_3) | instskip(SKIP_2) | instid1(VALU_DEP_2)
	v_lshlrev_b64 v[21:22], 2, v[9:10]
	v_dual_mov_b32 v24, v16 :: v_dual_mov_b32 v23, v15
	s_mov_b32 s4, 0
	v_add_co_u32 v21, vcc_lo, s6, v21
	s_delay_alu instid0(VALU_DEP_3) | instskip(SKIP_4) | instid1(VALU_DEP_1)
	v_add_co_ci_u32_e32 v22, vcc_lo, s7, v22, vcc_lo
	global_load_b32 v10, v[21:22], off
	v_dual_mov_b32 v22, v18 :: v_dual_mov_b32 v21, v17
	s_waitcnt vmcnt(0)
	v_subrev_nc_u32_e32 v10, s12, v10
	v_mul_lo_u32 v10, v10, 13
	s_branch .LBB284_24
.LBB284_23:                             ;   in Loop: Header=BB284_22 Depth=1
                                        ; implicit-def: $vgpr21_vgpr22
                                        ; implicit-def: $vgpr23_vgpr24
                                        ; implicit-def: $vgpr27_vgpr28
                                        ; implicit-def: $vgpr25_vgpr26
                                        ; implicit-def: $sgpr4
	s_branch .LBB284_21
.LBB284_24:                             ;   Parent Loop BB284_22 Depth=1
                                        ; =>  This Inner Loop Header: Depth=2
	v_dual_mov_b32 v12, v20 :: v_dual_add_nc_u32 v19, s4, v30
	v_add_nc_u32_e32 v31, s4, v29
	s_cmp_eq_u32 s4, 12
	s_delay_alu instid0(VALU_DEP_2) | instskip(NEXT) | instid1(VALU_DEP_4)
	v_lshlrev_b64 v[13:14], 4, v[19:20]
	v_add_nc_u32_e32 v19, s4, v10
	s_delay_alu instid0(VALU_DEP_3) | instskip(NEXT) | instid1(VALU_DEP_2)
	v_add_nc_u32_e32 v11, 13, v31
	v_lshlrev_b64 v[15:16], 4, v[19:20]
	s_delay_alu instid0(VALU_DEP_2) | instskip(SKIP_2) | instid1(VALU_DEP_4)
	v_lshlrev_b64 v[11:12], 4, v[11:12]
	v_add_co_u32 v13, vcc_lo, s8, v13
	v_add_co_ci_u32_e32 v14, vcc_lo, s9, v14, vcc_lo
	v_add_co_u32 v15, vcc_lo, s10, v15
	v_add_co_ci_u32_e32 v16, vcc_lo, s11, v16, vcc_lo
	;; [unrolled: 2-line block ×3, first 2 shown]
	global_load_b128 v[11:14], v[13:14], off
	global_load_b128 v[15:18], v[15:16], off
	;; [unrolled: 1-line block ×3, first 2 shown]
	s_waitcnt vmcnt(1)
	v_fma_f64 v[27:28], v[11:12], v[15:16], v[27:28]
	v_fma_f64 v[25:26], v[13:14], v[15:16], v[25:26]
	s_waitcnt vmcnt(0)
	v_fma_f64 v[23:24], v[34:35], v[15:16], v[23:24]
	v_fma_f64 v[21:22], v[36:37], v[15:16], v[21:22]
	s_delay_alu instid0(VALU_DEP_4) | instskip(NEXT) | instid1(VALU_DEP_4)
	v_fma_f64 v[13:14], -v[13:14], v[17:18], v[27:28]
	v_fma_f64 v[11:12], v[11:12], v[17:18], v[25:26]
	s_delay_alu instid0(VALU_DEP_4) | instskip(NEXT) | instid1(VALU_DEP_4)
	v_fma_f64 v[15:16], -v[36:37], v[17:18], v[23:24]
	v_fma_f64 v[17:18], v[34:35], v[17:18], v[21:22]
	s_cbranch_scc1 .LBB284_23
; %bb.25:                               ;   in Loop: Header=BB284_24 Depth=2
	v_dual_mov_b32 v22, v20 :: v_dual_add_nc_u32 v21, 1, v31
	v_dual_mov_b32 v24, v20 :: v_dual_add_nc_u32 v23, 1, v19
	;; [unrolled: 1-line block ×3, first 2 shown]
	s_delay_alu instid0(VALU_DEP_3) | instskip(SKIP_1) | instid1(VALU_DEP_4)
	v_lshlrev_b64 v[21:22], 4, v[21:22]
	v_dual_mov_b32 v39, v20 :: v_dual_add_nc_u32 v38, 2, v31
	v_lshlrev_b64 v[23:24], 4, v[23:24]
	s_delay_alu instid0(VALU_DEP_4)
	v_lshlrev_b64 v[25:26], 4, v[25:26]
	v_dual_mov_b32 v41, v20 :: v_dual_add_nc_u32 v40, 2, v19
	v_add_co_u32 v21, vcc_lo, s8, v21
	v_add_co_ci_u32_e32 v22, vcc_lo, s9, v22, vcc_lo
	v_add_co_u32 v27, vcc_lo, s10, v23
	v_add_co_ci_u32_e32 v28, vcc_lo, s11, v24, vcc_lo
	;; [unrolled: 2-line block ×3, first 2 shown]
	global_load_b128 v[21:24], v[21:22], off
	global_load_b128 v[25:28], v[27:28], off
	;; [unrolled: 1-line block ×3, first 2 shown]
	v_lshlrev_b64 v[38:39], 4, v[38:39]
	v_lshlrev_b64 v[40:41], 4, v[40:41]
	v_add_nc_u32_e32 v19, 3, v19
	s_add_i32 s4, s4, 4
	s_delay_alu instid0(VALU_DEP_3) | instskip(NEXT) | instid1(VALU_DEP_4)
	v_add_co_u32 v50, vcc_lo, s8, v38
	v_add_co_ci_u32_e32 v51, vcc_lo, s9, v39, vcc_lo
	s_delay_alu instid0(VALU_DEP_4)
	v_add_co_u32 v42, vcc_lo, s10, v40
	v_add_co_ci_u32_e32 v43, vcc_lo, s11, v41, vcc_lo
	global_load_b128 v[38:41], v[50:51], off
	global_load_b128 v[42:45], v[42:43], off
	global_load_b128 v[46:49], v[46:47], off offset:16
	v_lshlrev_b64 v[52:53], 4, v[19:20]
	v_add_nc_u32_e32 v19, 16, v31
	s_delay_alu instid0(VALU_DEP_1) | instskip(NEXT) | instid1(VALU_DEP_3)
	v_lshlrev_b64 v[54:55], 4, v[19:20]
	v_add_co_u32 v56, vcc_lo, s10, v52
	s_delay_alu instid0(VALU_DEP_4) | instskip(NEXT) | instid1(VALU_DEP_3)
	v_add_co_ci_u32_e32 v57, vcc_lo, s11, v53, vcc_lo
	v_add_co_u32 v58, vcc_lo, s8, v54
	s_delay_alu instid0(VALU_DEP_4)
	v_add_co_ci_u32_e32 v59, vcc_lo, s9, v55, vcc_lo
	global_load_b128 v[50:53], v[50:51], off offset:16
	global_load_b128 v[54:57], v[56:57], off
	global_load_b128 v[58:61], v[58:59], off
	s_waitcnt vmcnt(7)
	v_fma_f64 v[62:63], v[21:22], v[25:26], v[13:14]
	v_fma_f64 v[64:65], v[23:24], v[25:26], v[11:12]
	s_waitcnt vmcnt(6)
	v_fma_f64 v[66:67], v[34:35], v[25:26], v[15:16]
	v_fma_f64 v[25:26], v[36:37], v[25:26], v[17:18]
	s_delay_alu instid0(VALU_DEP_4) | instskip(NEXT) | instid1(VALU_DEP_4)
	v_fma_f64 v[23:24], -v[23:24], v[27:28], v[62:63]
	v_fma_f64 v[21:22], v[21:22], v[27:28], v[64:65]
	s_delay_alu instid0(VALU_DEP_4) | instskip(NEXT) | instid1(VALU_DEP_4)
	v_fma_f64 v[36:37], -v[36:37], v[27:28], v[66:67]
	v_fma_f64 v[25:26], v[34:35], v[27:28], v[25:26]
	s_waitcnt vmcnt(4)
	s_delay_alu instid0(VALU_DEP_4) | instskip(NEXT) | instid1(VALU_DEP_4)
	v_fma_f64 v[23:24], v[38:39], v[42:43], v[23:24]
	v_fma_f64 v[21:22], v[40:41], v[42:43], v[21:22]
	s_waitcnt vmcnt(3)
	s_delay_alu instid0(VALU_DEP_4) | instskip(NEXT) | instid1(VALU_DEP_4)
	v_fma_f64 v[27:28], v[46:47], v[42:43], v[36:37]
	v_fma_f64 v[25:26], v[48:49], v[42:43], v[25:26]
	s_delay_alu instid0(VALU_DEP_4) | instskip(NEXT) | instid1(VALU_DEP_4)
	v_fma_f64 v[23:24], -v[40:41], v[44:45], v[23:24]
	v_fma_f64 v[21:22], v[38:39], v[44:45], v[21:22]
	s_delay_alu instid0(VALU_DEP_4) | instskip(NEXT) | instid1(VALU_DEP_4)
	v_fma_f64 v[27:28], -v[48:49], v[44:45], v[27:28]
	v_fma_f64 v[25:26], v[46:47], v[44:45], v[25:26]
	s_waitcnt vmcnt(1)
	s_delay_alu instid0(VALU_DEP_4) | instskip(NEXT) | instid1(VALU_DEP_4)
	v_fma_f64 v[23:24], v[50:51], v[54:55], v[23:24]
	v_fma_f64 v[21:22], v[52:53], v[54:55], v[21:22]
	s_waitcnt vmcnt(0)
	s_delay_alu instid0(VALU_DEP_4) | instskip(NEXT) | instid1(VALU_DEP_4)
	v_fma_f64 v[34:35], v[58:59], v[54:55], v[27:28]
	v_fma_f64 v[36:37], v[60:61], v[54:55], v[25:26]
	s_delay_alu instid0(VALU_DEP_4) | instskip(NEXT) | instid1(VALU_DEP_4)
	v_fma_f64 v[27:28], -v[52:53], v[56:57], v[23:24]
	v_fma_f64 v[25:26], v[50:51], v[56:57], v[21:22]
	s_delay_alu instid0(VALU_DEP_4) | instskip(NEXT) | instid1(VALU_DEP_4)
	v_fma_f64 v[23:24], -v[60:61], v[56:57], v[34:35]
	v_fma_f64 v[21:22], v[58:59], v[56:57], v[36:37]
	s_cbranch_execnz .LBB284_24
	s_branch .LBB284_21
.LBB284_26:
	s_or_b32 exec_lo, exec_lo, s0
.LBB284_27:
	s_delay_alu instid0(SALU_CYCLE_1)
	s_or_b32 exec_lo, exec_lo, s1
.LBB284_28:
	v_mbcnt_lo_u32_b32 v25, -1, 0
	s_delay_alu instid0(VALU_DEP_1) | instskip(NEXT) | instid1(VALU_DEP_1)
	v_xor_b32_e32 v9, 4, v25
	v_cmp_gt_i32_e32 vcc_lo, 32, v9
	v_cndmask_b32_e32 v9, v25, v9, vcc_lo
	s_delay_alu instid0(VALU_DEP_1)
	v_lshlrev_b32_e32 v24, 2, v9
	ds_bpermute_b32 v9, v24, v13
	ds_bpermute_b32 v10, v24, v14
	;; [unrolled: 1-line block ×4, first 2 shown]
	s_waitcnt lgkmcnt(2)
	v_add_f64 v[9:10], v[13:14], v[9:10]
	s_waitcnt lgkmcnt(0)
	v_add_f64 v[13:14], v[15:16], v[21:22]
	v_xor_b32_e32 v15, 2, v25
	s_delay_alu instid0(VALU_DEP_1)
	v_cmp_gt_i32_e32 vcc_lo, 32, v15
	v_cndmask_b32_e32 v15, v25, v15, vcc_lo
	ds_bpermute_b32 v19, v24, v11
	ds_bpermute_b32 v20, v24, v12
	;; [unrolled: 1-line block ×4, first 2 shown]
	s_waitcnt lgkmcnt(2)
	v_add_f64 v[11:12], v[11:12], v[19:20]
	s_waitcnt lgkmcnt(0)
	v_add_f64 v[17:18], v[17:18], v[23:24]
	v_lshlrev_b32_e32 v24, 2, v15
	ds_bpermute_b32 v15, v24, v9
	ds_bpermute_b32 v16, v24, v10
	;; [unrolled: 1-line block ×4, first 2 shown]
	s_waitcnt lgkmcnt(2)
	v_add_f64 v[9:10], v[9:10], v[15:16]
	ds_bpermute_b32 v19, v24, v11
	ds_bpermute_b32 v20, v24, v12
	;; [unrolled: 1-line block ×4, first 2 shown]
	s_waitcnt lgkmcnt(2)
	v_add_f64 v[15:16], v[11:12], v[19:20]
	v_add_f64 v[11:12], v[13:14], v[21:22]
	s_waitcnt lgkmcnt(0)
	v_add_f64 v[13:14], v[17:18], v[23:24]
	v_xor_b32_e32 v17, 1, v25
	s_delay_alu instid0(VALU_DEP_1) | instskip(SKIP_2) | instid1(VALU_DEP_2)
	v_cmp_gt_i32_e32 vcc_lo, 32, v17
	v_cndmask_b32_e32 v17, v25, v17, vcc_lo
	v_cmp_eq_u32_e32 vcc_lo, 7, v32
	v_lshlrev_b32_e32 v20, 2, v17
	ds_bpermute_b32 v23, v20, v9
	ds_bpermute_b32 v24, v20, v10
	;; [unrolled: 1-line block ×8, first 2 shown]
	s_and_b32 exec_lo, exec_lo, vcc_lo
	s_cbranch_execz .LBB284_33
; %bb.29:
	v_cmp_eq_f64_e32 vcc_lo, 0, v[4:5]
	v_cmp_eq_f64_e64 s0, 0, v[6:7]
	s_waitcnt lgkmcnt(6)
	v_add_f64 v[9:10], v[9:10], v[23:24]
	s_waitcnt lgkmcnt(4)
	v_add_f64 v[15:16], v[15:16], v[21:22]
	;; [unrolled: 2-line block ×4, first 2 shown]
	s_load_b64 s[2:3], s[2:3], 0x48
	s_and_b32 s0, vcc_lo, s0
	s_delay_alu instid0(SALU_CYCLE_1) | instskip(NEXT) | instid1(SALU_CYCLE_1)
	s_and_saveexec_b32 s1, s0
	s_xor_b32 s0, exec_lo, s1
	s_cbranch_execz .LBB284_31
; %bb.30:
	s_delay_alu instid0(VALU_DEP_3) | instskip(SKIP_1) | instid1(VALU_DEP_3)
	v_mul_f64 v[4:5], v[15:16], -v[2:3]
	v_mul_f64 v[6:7], v[0:1], v[15:16]
	v_mul_f64 v[15:16], v[13:14], -v[2:3]
	v_mul_f64 v[13:14], v[0:1], v[13:14]
	v_lshlrev_b32_e32 v8, 1, v8
	v_fma_f64 v[4:5], v[0:1], v[9:10], v[4:5]
	v_fma_f64 v[6:7], v[2:3], v[9:10], v[6:7]
	;; [unrolled: 1-line block ×4, first 2 shown]
	v_ashrrev_i32_e32 v9, 31, v8
                                        ; implicit-def: $vgpr15_vgpr16
                                        ; implicit-def: $vgpr11_vgpr12
                                        ; implicit-def: $vgpr13_vgpr14
	s_delay_alu instid0(VALU_DEP_1) | instskip(SKIP_1) | instid1(VALU_DEP_1)
	v_lshlrev_b64 v[8:9], 4, v[8:9]
	s_waitcnt lgkmcnt(0)
	v_add_co_u32 v8, vcc_lo, s2, v8
	s_delay_alu instid0(VALU_DEP_2)
	v_add_co_ci_u32_e32 v9, vcc_lo, s3, v9, vcc_lo
	s_clause 0x1
	global_store_b128 v[8:9], v[4:7], off
	global_store_b128 v[8:9], v[0:3], off offset:16
                                        ; implicit-def: $vgpr0_vgpr1
                                        ; implicit-def: $vgpr2_vgpr3
                                        ; implicit-def: $vgpr4_vgpr5
                                        ; implicit-def: $vgpr6_vgpr7
                                        ; implicit-def: $vgpr8
                                        ; implicit-def: $vgpr9_vgpr10
.LBB284_31:
	s_and_not1_saveexec_b32 s0, s0
	s_cbranch_execz .LBB284_33
; %bb.32:
	v_lshlrev_b32_e32 v17, 1, v8
	s_delay_alu instid0(VALU_DEP_4) | instskip(SKIP_1) | instid1(VALU_DEP_4)
	v_mul_f64 v[27:28], v[15:16], -v[2:3]
	v_mul_f64 v[15:16], v[0:1], v[15:16]
	v_mul_f64 v[29:30], v[13:14], -v[2:3]
	v_mul_f64 v[13:14], v[0:1], v[13:14]
	v_ashrrev_i32_e32 v18, 31, v17
	s_delay_alu instid0(VALU_DEP_1) | instskip(SKIP_1) | instid1(VALU_DEP_1)
	v_lshlrev_b64 v[17:18], 4, v[17:18]
	s_waitcnt lgkmcnt(0)
	v_add_co_u32 v25, vcc_lo, s2, v17
	s_delay_alu instid0(VALU_DEP_2)
	v_add_co_ci_u32_e32 v26, vcc_lo, s3, v18, vcc_lo
	s_clause 0x1
	global_load_b128 v[17:20], v[25:26], off
	global_load_b128 v[21:24], v[25:26], off offset:16
	v_fma_f64 v[27:28], v[0:1], v[9:10], v[27:28]
	v_fma_f64 v[8:9], v[2:3], v[9:10], v[15:16]
	;; [unrolled: 1-line block ×4, first 2 shown]
	s_waitcnt vmcnt(1)
	s_delay_alu instid0(VALU_DEP_4) | instskip(NEXT) | instid1(VALU_DEP_4)
	v_fma_f64 v[10:11], v[4:5], v[17:18], v[27:28]
	v_fma_f64 v[8:9], v[6:7], v[17:18], v[8:9]
	s_waitcnt vmcnt(0)
	s_delay_alu instid0(VALU_DEP_4) | instskip(NEXT) | instid1(VALU_DEP_4)
	v_fma_f64 v[12:13], v[4:5], v[21:22], v[0:1]
	v_fma_f64 v[14:15], v[6:7], v[21:22], v[2:3]
	s_delay_alu instid0(VALU_DEP_4) | instskip(NEXT) | instid1(VALU_DEP_4)
	v_fma_f64 v[0:1], -v[6:7], v[19:20], v[10:11]
	v_fma_f64 v[2:3], v[4:5], v[19:20], v[8:9]
	s_delay_alu instid0(VALU_DEP_4) | instskip(NEXT) | instid1(VALU_DEP_4)
	v_fma_f64 v[6:7], -v[6:7], v[23:24], v[12:13]
	v_fma_f64 v[8:9], v[4:5], v[23:24], v[14:15]
	s_clause 0x1
	global_store_b128 v[25:26], v[0:3], off
	global_store_b128 v[25:26], v[6:9], off offset:16
.LBB284_33:
	s_nop 0
	s_sendmsg sendmsg(MSG_DEALLOC_VGPRS)
	s_endpgm
	.section	.rodata,"a",@progbits
	.p2align	6, 0x0
	.amdhsa_kernel _ZN9rocsparseL19gebsrmvn_2xn_kernelILj128ELj13ELj8E21rocsparse_complex_numIdEEEvi20rocsparse_direction_NS_24const_host_device_scalarIT2_EEPKiS8_PKS5_SA_S6_PS5_21rocsparse_index_base_b
		.amdhsa_group_segment_fixed_size 2048
		.amdhsa_private_segment_fixed_size 0
		.amdhsa_kernarg_size 88
		.amdhsa_user_sgpr_count 15
		.amdhsa_user_sgpr_dispatch_ptr 1
		.amdhsa_user_sgpr_queue_ptr 0
		.amdhsa_user_sgpr_kernarg_segment_ptr 1
		.amdhsa_user_sgpr_dispatch_id 0
		.amdhsa_user_sgpr_private_segment_size 0
		.amdhsa_wavefront_size32 1
		.amdhsa_uses_dynamic_stack 0
		.amdhsa_enable_private_segment 0
		.amdhsa_system_sgpr_workgroup_id_x 1
		.amdhsa_system_sgpr_workgroup_id_y 0
		.amdhsa_system_sgpr_workgroup_id_z 0
		.amdhsa_system_sgpr_workgroup_info 0
		.amdhsa_system_vgpr_workitem_id 2
		.amdhsa_next_free_vgpr 70
		.amdhsa_next_free_sgpr 18
		.amdhsa_reserve_vcc 1
		.amdhsa_float_round_mode_32 0
		.amdhsa_float_round_mode_16_64 0
		.amdhsa_float_denorm_mode_32 3
		.amdhsa_float_denorm_mode_16_64 3
		.amdhsa_dx10_clamp 1
		.amdhsa_ieee_mode 1
		.amdhsa_fp16_overflow 0
		.amdhsa_workgroup_processor_mode 1
		.amdhsa_memory_ordered 1
		.amdhsa_forward_progress 0
		.amdhsa_shared_vgpr_count 0
		.amdhsa_exception_fp_ieee_invalid_op 0
		.amdhsa_exception_fp_denorm_src 0
		.amdhsa_exception_fp_ieee_div_zero 0
		.amdhsa_exception_fp_ieee_overflow 0
		.amdhsa_exception_fp_ieee_underflow 0
		.amdhsa_exception_fp_ieee_inexact 0
		.amdhsa_exception_int_div_zero 0
	.end_amdhsa_kernel
	.section	.text._ZN9rocsparseL19gebsrmvn_2xn_kernelILj128ELj13ELj8E21rocsparse_complex_numIdEEEvi20rocsparse_direction_NS_24const_host_device_scalarIT2_EEPKiS8_PKS5_SA_S6_PS5_21rocsparse_index_base_b,"axG",@progbits,_ZN9rocsparseL19gebsrmvn_2xn_kernelILj128ELj13ELj8E21rocsparse_complex_numIdEEEvi20rocsparse_direction_NS_24const_host_device_scalarIT2_EEPKiS8_PKS5_SA_S6_PS5_21rocsparse_index_base_b,comdat
.Lfunc_end284:
	.size	_ZN9rocsparseL19gebsrmvn_2xn_kernelILj128ELj13ELj8E21rocsparse_complex_numIdEEEvi20rocsparse_direction_NS_24const_host_device_scalarIT2_EEPKiS8_PKS5_SA_S6_PS5_21rocsparse_index_base_b, .Lfunc_end284-_ZN9rocsparseL19gebsrmvn_2xn_kernelILj128ELj13ELj8E21rocsparse_complex_numIdEEEvi20rocsparse_direction_NS_24const_host_device_scalarIT2_EEPKiS8_PKS5_SA_S6_PS5_21rocsparse_index_base_b
                                        ; -- End function
	.section	.AMDGPU.csdata,"",@progbits
; Kernel info:
; codeLenInByte = 3328
; NumSgprs: 20
; NumVgprs: 70
; ScratchSize: 0
; MemoryBound: 0
; FloatMode: 240
; IeeeMode: 1
; LDSByteSize: 2048 bytes/workgroup (compile time only)
; SGPRBlocks: 2
; VGPRBlocks: 8
; NumSGPRsForWavesPerEU: 20
; NumVGPRsForWavesPerEU: 70
; Occupancy: 16
; WaveLimiterHint : 1
; COMPUTE_PGM_RSRC2:SCRATCH_EN: 0
; COMPUTE_PGM_RSRC2:USER_SGPR: 15
; COMPUTE_PGM_RSRC2:TRAP_HANDLER: 0
; COMPUTE_PGM_RSRC2:TGID_X_EN: 1
; COMPUTE_PGM_RSRC2:TGID_Y_EN: 0
; COMPUTE_PGM_RSRC2:TGID_Z_EN: 0
; COMPUTE_PGM_RSRC2:TIDIG_COMP_CNT: 2
	.section	.text._ZN9rocsparseL19gebsrmvn_2xn_kernelILj128ELj13ELj16E21rocsparse_complex_numIdEEEvi20rocsparse_direction_NS_24const_host_device_scalarIT2_EEPKiS8_PKS5_SA_S6_PS5_21rocsparse_index_base_b,"axG",@progbits,_ZN9rocsparseL19gebsrmvn_2xn_kernelILj128ELj13ELj16E21rocsparse_complex_numIdEEEvi20rocsparse_direction_NS_24const_host_device_scalarIT2_EEPKiS8_PKS5_SA_S6_PS5_21rocsparse_index_base_b,comdat
	.globl	_ZN9rocsparseL19gebsrmvn_2xn_kernelILj128ELj13ELj16E21rocsparse_complex_numIdEEEvi20rocsparse_direction_NS_24const_host_device_scalarIT2_EEPKiS8_PKS5_SA_S6_PS5_21rocsparse_index_base_b ; -- Begin function _ZN9rocsparseL19gebsrmvn_2xn_kernelILj128ELj13ELj16E21rocsparse_complex_numIdEEEvi20rocsparse_direction_NS_24const_host_device_scalarIT2_EEPKiS8_PKS5_SA_S6_PS5_21rocsparse_index_base_b
	.p2align	8
	.type	_ZN9rocsparseL19gebsrmvn_2xn_kernelILj128ELj13ELj16E21rocsparse_complex_numIdEEEvi20rocsparse_direction_NS_24const_host_device_scalarIT2_EEPKiS8_PKS5_SA_S6_PS5_21rocsparse_index_base_b,@function
_ZN9rocsparseL19gebsrmvn_2xn_kernelILj128ELj13ELj16E21rocsparse_complex_numIdEEEvi20rocsparse_direction_NS_24const_host_device_scalarIT2_EEPKiS8_PKS5_SA_S6_PS5_21rocsparse_index_base_b: ; @_ZN9rocsparseL19gebsrmvn_2xn_kernelILj128ELj13ELj16E21rocsparse_complex_numIdEEEvi20rocsparse_direction_NS_24const_host_device_scalarIT2_EEPKiS8_PKS5_SA_S6_PS5_21rocsparse_index_base_b
; %bb.0:
	s_load_b64 s[12:13], s[2:3], 0x50
	s_load_b64 s[16:17], s[0:1], 0x4
	s_load_b128 s[8:11], s[2:3], 0x8
	v_bfe_u32 v1, v0, 10, 10
	s_mov_b64 s[0:1], src_shared_base
	s_load_b128 s[4:7], s[2:3], 0x38
	v_and_b32_e32 v12, 0x3ff, v0
	v_bfe_u32 v0, v0, 20, 10
	s_waitcnt lgkmcnt(0)
	s_bitcmp1_b32 s13, 0
	v_mul_u32_u24_e32 v1, s17, v1
	s_cselect_b32 s0, -1, 0
	s_delay_alu instid0(SALU_CYCLE_1)
	s_and_b32 vcc_lo, s0, exec_lo
	s_cselect_b32 s13, s1, s9
	s_lshr_b32 s14, s16, 16
	v_dual_mov_b32 v2, s4 :: v_dual_mov_b32 v3, s5
	s_mul_i32 s14, s14, s17
	v_mov_b32_e32 v6, s13
	v_mad_u32_u24 v1, s14, v12, v1
	s_delay_alu instid0(VALU_DEP_1) | instskip(SKIP_1) | instid1(VALU_DEP_2)
	v_add_lshl_u32 v4, v1, v0, 3
	v_dual_mov_b32 v0, s8 :: v_dual_mov_b32 v1, s9
	v_add_nc_u32_e32 v5, 0x400, v4
	ds_store_2addr_stride64_b64 v4, v[2:3], v[0:1] offset1:2
	v_dual_mov_b32 v2, s10 :: v_dual_mov_b32 v3, s11
	v_cndmask_b32_e64 v5, s8, v5, s0
	s_xor_b32 s10, s0, -1
	flat_load_b64 v[0:1], v[5:6]
	s_cbranch_vccnz .LBB285_2
; %bb.1:
	v_dual_mov_b32 v2, s8 :: v_dual_mov_b32 v3, s9
	flat_load_b64 v[2:3], v[2:3] offset:8
.LBB285_2:
	s_and_b32 s8, s0, exec_lo
	s_cselect_b32 s1, s1, s5
	v_cndmask_b32_e64 v4, s4, v4, s0
	v_dual_mov_b32 v5, s1 :: v_dual_mov_b32 v6, s6
	v_mov_b32_e32 v7, s7
	s_and_not1_b32 vcc_lo, exec_lo, s10
	flat_load_b64 v[4:5], v[4:5]
	s_cbranch_vccnz .LBB285_4
; %bb.3:
	v_dual_mov_b32 v7, s5 :: v_dual_mov_b32 v6, s4
	flat_load_b64 v[6:7], v[6:7] offset:8
.LBB285_4:
	s_waitcnt vmcnt(1) lgkmcnt(1)
	v_cmp_eq_f64_e32 vcc_lo, 0, v[0:1]
	v_cmp_eq_f64_e64 s0, 0, v[2:3]
	s_delay_alu instid0(VALU_DEP_1)
	s_and_b32 s4, vcc_lo, s0
	s_mov_b32 s0, -1
	s_and_saveexec_b32 s1, s4
	s_cbranch_execz .LBB285_6
; %bb.5:
	s_waitcnt vmcnt(0) lgkmcnt(0)
	v_cmp_neq_f64_e32 vcc_lo, 1.0, v[4:5]
	v_cmp_neq_f64_e64 s0, 0, v[6:7]
	s_delay_alu instid0(VALU_DEP_1) | instskip(NEXT) | instid1(SALU_CYCLE_1)
	s_or_b32 s0, vcc_lo, s0
	s_or_not1_b32 s0, s0, exec_lo
.LBB285_6:
	s_or_b32 exec_lo, exec_lo, s1
	s_and_saveexec_b32 s1, s0
	s_cbranch_execz .LBB285_33
; %bb.7:
	s_load_b64 s[0:1], s[2:3], 0x0
	v_lshrrev_b32_e32 v8, 4, v12
	s_delay_alu instid0(VALU_DEP_1) | instskip(SKIP_1) | instid1(VALU_DEP_1)
	v_lshl_or_b32 v8, s15, 3, v8
	s_waitcnt lgkmcnt(0)
	v_cmp_gt_i32_e32 vcc_lo, s0, v8
	s_and_b32 exec_lo, exec_lo, vcc_lo
	s_cbranch_execz .LBB285_33
; %bb.8:
	s_load_b256 s[4:11], s[2:3], 0x18
	v_ashrrev_i32_e32 v9, 31, v8
	v_and_b32_e32 v32, 15, v12
	s_cmp_lg_u32 s1, 0
	s_delay_alu instid0(VALU_DEP_2) | instskip(SKIP_1) | instid1(VALU_DEP_1)
	v_lshlrev_b64 v[9:10], 2, v[8:9]
	s_waitcnt lgkmcnt(0)
	v_add_co_u32 v9, vcc_lo, s4, v9
	s_delay_alu instid0(VALU_DEP_2) | instskip(SKIP_4) | instid1(VALU_DEP_2)
	v_add_co_ci_u32_e32 v10, vcc_lo, s5, v10, vcc_lo
	global_load_b64 v[10:11], v[9:10], off
	s_waitcnt vmcnt(0)
	v_subrev_nc_u32_e32 v9, s12, v10
	v_subrev_nc_u32_e32 v33, s12, v11
	v_add_nc_u32_e32 v9, v9, v32
	s_delay_alu instid0(VALU_DEP_1)
	v_cmp_lt_i32_e64 s0, v9, v33
	s_cbranch_scc0 .LBB285_16
; %bb.9:
	v_mov_b32_e32 v11, 0
	v_mov_b32_e32 v12, 0
	s_delay_alu instid0(VALU_DEP_1)
	v_dual_mov_b32 v14, v12 :: v_dual_mov_b32 v13, v11
	v_dual_mov_b32 v16, v12 :: v_dual_mov_b32 v15, v11
	;; [unrolled: 1-line block ×3, first 2 shown]
	s_and_saveexec_b32 s1, s0
	s_cbranch_execz .LBB285_18
; %bb.10:
	v_mul_lo_u32 v13, v10, 26
	v_dual_mov_b32 v11, 0 :: v_dual_mov_b32 v20, 0
	v_dual_mov_b32 v12, 0 :: v_dual_mov_b32 v21, v9
	v_mul_lo_u32 v34, v9, 26
	s_mul_i32 s4, s12, 26
	s_delay_alu instid0(VALU_DEP_2) | instskip(SKIP_2) | instid1(VALU_DEP_2)
	v_dual_mov_b32 v16, v12 :: v_dual_mov_b32 v15, v11
	v_mad_u32_u24 v17, v32, 26, v13
	v_dual_mov_b32 v14, v12 :: v_dual_mov_b32 v13, v11
	v_subrev_nc_u32_e32 v35, s4, v17
	v_dual_mov_b32 v18, v12 :: v_dual_mov_b32 v17, v11
	s_mov_b32 s4, 0
	s_branch .LBB285_12
.LBB285_11:                             ;   in Loop: Header=BB285_12 Depth=1
	v_add_nc_u32_e32 v21, 16, v21
	v_add_nc_u32_e32 v34, 0x1a0, v34
	;; [unrolled: 1-line block ×3, first 2 shown]
	s_delay_alu instid0(VALU_DEP_3) | instskip(SKIP_1) | instid1(SALU_CYCLE_1)
	v_cmp_ge_i32_e32 vcc_lo, v21, v33
	s_or_b32 s4, vcc_lo, s4
	s_and_not1_b32 exec_lo, exec_lo, s4
	s_cbranch_execz .LBB285_17
.LBB285_12:                             ; =>This Loop Header: Depth=1
                                        ;     Child Loop BB285_14 Depth 2
	v_ashrrev_i32_e32 v22, 31, v21
	v_dual_mov_b32 v29, v12 :: v_dual_mov_b32 v28, v11
	v_dual_mov_b32 v31, v14 :: v_dual_mov_b32 v30, v13
	s_delay_alu instid0(VALU_DEP_3) | instskip(SKIP_3) | instid1(VALU_DEP_3)
	v_lshlrev_b64 v[22:23], 2, v[21:22]
	v_dual_mov_b32 v27, v16 :: v_dual_mov_b32 v26, v15
	v_dual_mov_b32 v25, v18 :: v_dual_mov_b32 v24, v17
	s_mov_b32 s5, 0
	v_add_co_u32 v22, vcc_lo, s6, v22
	s_delay_alu instid0(VALU_DEP_4) | instskip(SKIP_3) | instid1(VALU_DEP_1)
	v_add_co_ci_u32_e32 v23, vcc_lo, s7, v23, vcc_lo
	global_load_b32 v19, v[22:23], off
	s_waitcnt vmcnt(0)
	v_subrev_nc_u32_e32 v19, s12, v19
	v_mul_lo_u32 v22, v19, 13
	s_branch .LBB285_14
.LBB285_13:                             ;   in Loop: Header=BB285_12 Depth=1
                                        ; implicit-def: $vgpr24_vgpr25
                                        ; implicit-def: $vgpr26_vgpr27
                                        ; implicit-def: $vgpr30_vgpr31
                                        ; implicit-def: $vgpr28_vgpr29
                                        ; implicit-def: $sgpr5
                                        ; implicit-def: $vgpr22
	s_branch .LBB285_11
.LBB285_14:                             ;   Parent Loop BB285_12 Depth=1
                                        ; =>  This Inner Loop Header: Depth=2
	v_add_nc_u32_e32 v19, s5, v35
	v_mov_b32_e32 v23, v20
	s_cmp_eq_u32 s5, 24
	s_delay_alu instid0(VALU_DEP_2) | instskip(NEXT) | instid1(VALU_DEP_2)
	v_lshlrev_b64 v[11:12], 4, v[19:20]
	v_lshlrev_b64 v[13:14], 4, v[22:23]
	s_delay_alu instid0(VALU_DEP_2) | instskip(NEXT) | instid1(VALU_DEP_3)
	v_add_co_u32 v36, vcc_lo, s8, v11
	v_add_co_ci_u32_e32 v37, vcc_lo, s9, v12, vcc_lo
	s_delay_alu instid0(VALU_DEP_3) | instskip(NEXT) | instid1(VALU_DEP_4)
	v_add_co_u32 v15, vcc_lo, s10, v13
	v_add_co_ci_u32_e32 v16, vcc_lo, s11, v14, vcc_lo
	global_load_b128 v[11:14], v[36:37], off
	global_load_b128 v[15:18], v[15:16], off
	global_load_b128 v[36:39], v[36:37], off offset:16
	s_waitcnt vmcnt(1)
	v_fma_f64 v[30:31], v[11:12], v[15:16], v[30:31]
	v_fma_f64 v[28:29], v[13:14], v[15:16], v[28:29]
	s_waitcnt vmcnt(0)
	v_fma_f64 v[26:27], v[36:37], v[15:16], v[26:27]
	v_fma_f64 v[23:24], v[38:39], v[15:16], v[24:25]
	s_delay_alu instid0(VALU_DEP_4) | instskip(NEXT) | instid1(VALU_DEP_4)
	v_fma_f64 v[13:14], -v[13:14], v[17:18], v[30:31]
	v_fma_f64 v[11:12], v[11:12], v[17:18], v[28:29]
	s_delay_alu instid0(VALU_DEP_4) | instskip(NEXT) | instid1(VALU_DEP_4)
	v_fma_f64 v[15:16], -v[38:39], v[17:18], v[26:27]
	v_fma_f64 v[17:18], v[36:37], v[17:18], v[23:24]
	s_cbranch_scc1 .LBB285_13
; %bb.15:                               ;   in Loop: Header=BB285_14 Depth=2
	v_add_nc_u32_e32 v31, s5, v34
	s_add_i32 s5, s5, 8
	s_delay_alu instid0(VALU_DEP_1) | instskip(NEXT) | instid1(VALU_DEP_1)
	v_add_nc_u32_e32 v19, 2, v31
	v_lshlrev_b64 v[23:24], 4, v[19:20]
	v_add_nc_u32_e32 v19, 1, v22
	s_delay_alu instid0(VALU_DEP_1) | instskip(NEXT) | instid1(VALU_DEP_3)
	v_lshlrev_b64 v[25:26], 4, v[19:20]
	v_add_co_u32 v36, vcc_lo, s8, v23
	s_delay_alu instid0(VALU_DEP_4) | instskip(SKIP_1) | instid1(VALU_DEP_4)
	v_add_co_ci_u32_e32 v37, vcc_lo, s9, v24, vcc_lo
	v_add_nc_u32_e32 v19, 4, v31
	v_add_co_u32 v27, vcc_lo, s10, v25
	v_add_co_ci_u32_e32 v28, vcc_lo, s11, v26, vcc_lo
	s_delay_alu instid0(VALU_DEP_3)
	v_lshlrev_b64 v[40:41], 4, v[19:20]
	global_load_b128 v[23:26], v[36:37], off
	global_load_b128 v[27:30], v[27:28], off
	global_load_b128 v[36:39], v[36:37], off offset:16
	v_add_nc_u32_e32 v19, 2, v22
	v_add_co_u32 v48, vcc_lo, s8, v40
	s_delay_alu instid0(VALU_DEP_2) | instskip(SKIP_2) | instid1(VALU_DEP_3)
	v_lshlrev_b64 v[42:43], 4, v[19:20]
	v_add_co_ci_u32_e32 v49, vcc_lo, s9, v41, vcc_lo
	v_add_nc_u32_e32 v19, 6, v31
	v_add_co_u32 v44, vcc_lo, s10, v42
	s_delay_alu instid0(VALU_DEP_4)
	v_add_co_ci_u32_e32 v45, vcc_lo, s11, v43, vcc_lo
	global_load_b128 v[40:43], v[48:49], off
	global_load_b128 v[44:47], v[44:45], off
	global_load_b128 v[48:51], v[48:49], off offset:16
	v_lshlrev_b64 v[52:53], 4, v[19:20]
	v_add_nc_u32_e32 v19, 3, v22
	v_add_nc_u32_e32 v22, 4, v22
	s_delay_alu instid0(VALU_DEP_2) | instskip(NEXT) | instid1(VALU_DEP_4)
	v_lshlrev_b64 v[54:55], 4, v[19:20]
	v_add_co_u32 v60, vcc_lo, s8, v52
	v_add_co_ci_u32_e32 v61, vcc_lo, s9, v53, vcc_lo
	s_delay_alu instid0(VALU_DEP_3) | instskip(NEXT) | instid1(VALU_DEP_4)
	v_add_co_u32 v56, vcc_lo, s10, v54
	v_add_co_ci_u32_e32 v57, vcc_lo, s11, v55, vcc_lo
	global_load_b128 v[52:55], v[60:61], off
	global_load_b128 v[56:59], v[56:57], off
	global_load_b128 v[60:63], v[60:61], off offset:16
	s_waitcnt vmcnt(7)
	v_fma_f64 v[64:65], v[23:24], v[27:28], v[13:14]
	v_fma_f64 v[66:67], v[25:26], v[27:28], v[11:12]
	s_waitcnt vmcnt(6)
	v_fma_f64 v[68:69], v[36:37], v[27:28], v[15:16]
	v_fma_f64 v[27:28], v[38:39], v[27:28], v[17:18]
	s_delay_alu instid0(VALU_DEP_4) | instskip(NEXT) | instid1(VALU_DEP_4)
	v_fma_f64 v[25:26], -v[25:26], v[29:30], v[64:65]
	v_fma_f64 v[23:24], v[23:24], v[29:30], v[66:67]
	s_delay_alu instid0(VALU_DEP_4) | instskip(NEXT) | instid1(VALU_DEP_4)
	v_fma_f64 v[38:39], -v[38:39], v[29:30], v[68:69]
	v_fma_f64 v[27:28], v[36:37], v[29:30], v[27:28]
	s_waitcnt vmcnt(4)
	s_delay_alu instid0(VALU_DEP_4) | instskip(NEXT) | instid1(VALU_DEP_4)
	v_fma_f64 v[25:26], v[40:41], v[44:45], v[25:26]
	v_fma_f64 v[23:24], v[42:43], v[44:45], v[23:24]
	s_waitcnt vmcnt(3)
	s_delay_alu instid0(VALU_DEP_4) | instskip(NEXT) | instid1(VALU_DEP_4)
	v_fma_f64 v[29:30], v[48:49], v[44:45], v[38:39]
	v_fma_f64 v[27:28], v[50:51], v[44:45], v[27:28]
	s_delay_alu instid0(VALU_DEP_4) | instskip(NEXT) | instid1(VALU_DEP_4)
	v_fma_f64 v[25:26], -v[42:43], v[46:47], v[25:26]
	v_fma_f64 v[23:24], v[40:41], v[46:47], v[23:24]
	s_delay_alu instid0(VALU_DEP_4) | instskip(NEXT) | instid1(VALU_DEP_4)
	v_fma_f64 v[29:30], -v[50:51], v[46:47], v[29:30]
	v_fma_f64 v[27:28], v[48:49], v[46:47], v[27:28]
	s_waitcnt vmcnt(1)
	s_delay_alu instid0(VALU_DEP_4) | instskip(NEXT) | instid1(VALU_DEP_4)
	v_fma_f64 v[25:26], v[52:53], v[56:57], v[25:26]
	v_fma_f64 v[23:24], v[54:55], v[56:57], v[23:24]
	s_waitcnt vmcnt(0)
	s_delay_alu instid0(VALU_DEP_4) | instskip(NEXT) | instid1(VALU_DEP_4)
	v_fma_f64 v[36:37], v[60:61], v[56:57], v[29:30]
	v_fma_f64 v[38:39], v[62:63], v[56:57], v[27:28]
	s_delay_alu instid0(VALU_DEP_4) | instskip(NEXT) | instid1(VALU_DEP_4)
	v_fma_f64 v[30:31], -v[54:55], v[58:59], v[25:26]
	v_fma_f64 v[28:29], v[52:53], v[58:59], v[23:24]
	s_delay_alu instid0(VALU_DEP_4) | instskip(NEXT) | instid1(VALU_DEP_4)
	v_fma_f64 v[26:27], -v[62:63], v[58:59], v[36:37]
	v_fma_f64 v[24:25], v[60:61], v[58:59], v[38:39]
	s_cbranch_execnz .LBB285_14
	s_branch .LBB285_11
.LBB285_16:
                                        ; implicit-def: $vgpr11_vgpr12
                                        ; implicit-def: $vgpr13_vgpr14
                                        ; implicit-def: $vgpr15_vgpr16
                                        ; implicit-def: $vgpr17_vgpr18
	s_branch .LBB285_19
.LBB285_17:
	s_or_b32 exec_lo, exec_lo, s4
.LBB285_18:
	s_delay_alu instid0(SALU_CYCLE_1)
	s_or_b32 exec_lo, exec_lo, s1
	s_cbranch_execnz .LBB285_28
.LBB285_19:
	v_mov_b32_e32 v11, 0
	v_mov_b32_e32 v12, 0
	s_delay_alu instid0(VALU_DEP_1)
	v_dual_mov_b32 v14, v12 :: v_dual_mov_b32 v13, v11
	v_dual_mov_b32 v16, v12 :: v_dual_mov_b32 v15, v11
	;; [unrolled: 1-line block ×3, first 2 shown]
	s_and_saveexec_b32 s1, s0
	s_cbranch_execz .LBB285_27
; %bb.20:
	v_mul_lo_u32 v10, v10, 26
	v_dual_mov_b32 v11, 0 :: v_dual_mov_b32 v20, 0
	v_mov_b32_e32 v12, 0
	v_mul_lo_u32 v29, v9, 26
	s_mul_i32 s0, s12, 26
	s_delay_alu instid0(VALU_DEP_2) | instskip(SKIP_3) | instid1(VALU_DEP_3)
	v_dual_mov_b32 v14, v12 :: v_dual_mov_b32 v13, v11
	v_mad_u32_u24 v10, v32, 26, v10
	v_dual_mov_b32 v16, v12 :: v_dual_mov_b32 v15, v11
	v_dual_mov_b32 v18, v12 :: v_dual_mov_b32 v17, v11
	v_subrev_nc_u32_e32 v30, s0, v10
	s_mov_b32 s0, 0
	s_branch .LBB285_22
.LBB285_21:                             ;   in Loop: Header=BB285_22 Depth=1
	v_add_nc_u32_e32 v9, 16, v9
	v_add_nc_u32_e32 v29, 0x1a0, v29
	;; [unrolled: 1-line block ×3, first 2 shown]
	s_delay_alu instid0(VALU_DEP_3) | instskip(SKIP_1) | instid1(SALU_CYCLE_1)
	v_cmp_ge_i32_e32 vcc_lo, v9, v33
	s_or_b32 s0, vcc_lo, s0
	s_and_not1_b32 exec_lo, exec_lo, s0
	s_cbranch_execz .LBB285_26
.LBB285_22:                             ; =>This Loop Header: Depth=1
                                        ;     Child Loop BB285_24 Depth 2
	v_ashrrev_i32_e32 v10, 31, v9
	v_dual_mov_b32 v26, v12 :: v_dual_mov_b32 v25, v11
	v_dual_mov_b32 v28, v14 :: v_dual_mov_b32 v27, v13
	s_delay_alu instid0(VALU_DEP_3) | instskip(SKIP_2) | instid1(VALU_DEP_2)
	v_lshlrev_b64 v[21:22], 2, v[9:10]
	v_dual_mov_b32 v24, v16 :: v_dual_mov_b32 v23, v15
	s_mov_b32 s4, 0
	v_add_co_u32 v21, vcc_lo, s6, v21
	s_delay_alu instid0(VALU_DEP_3) | instskip(SKIP_4) | instid1(VALU_DEP_1)
	v_add_co_ci_u32_e32 v22, vcc_lo, s7, v22, vcc_lo
	global_load_b32 v10, v[21:22], off
	v_dual_mov_b32 v22, v18 :: v_dual_mov_b32 v21, v17
	s_waitcnt vmcnt(0)
	v_subrev_nc_u32_e32 v10, s12, v10
	v_mul_lo_u32 v10, v10, 13
	s_branch .LBB285_24
.LBB285_23:                             ;   in Loop: Header=BB285_22 Depth=1
                                        ; implicit-def: $vgpr21_vgpr22
                                        ; implicit-def: $vgpr23_vgpr24
                                        ; implicit-def: $vgpr27_vgpr28
                                        ; implicit-def: $vgpr25_vgpr26
                                        ; implicit-def: $sgpr4
	s_branch .LBB285_21
.LBB285_24:                             ;   Parent Loop BB285_22 Depth=1
                                        ; =>  This Inner Loop Header: Depth=2
	v_dual_mov_b32 v12, v20 :: v_dual_add_nc_u32 v19, s4, v30
	v_add_nc_u32_e32 v31, s4, v29
	s_cmp_eq_u32 s4, 12
	s_delay_alu instid0(VALU_DEP_2) | instskip(NEXT) | instid1(VALU_DEP_4)
	v_lshlrev_b64 v[13:14], 4, v[19:20]
	v_add_nc_u32_e32 v19, s4, v10
	s_delay_alu instid0(VALU_DEP_3) | instskip(NEXT) | instid1(VALU_DEP_2)
	v_add_nc_u32_e32 v11, 13, v31
	v_lshlrev_b64 v[15:16], 4, v[19:20]
	s_delay_alu instid0(VALU_DEP_2) | instskip(SKIP_2) | instid1(VALU_DEP_4)
	v_lshlrev_b64 v[11:12], 4, v[11:12]
	v_add_co_u32 v13, vcc_lo, s8, v13
	v_add_co_ci_u32_e32 v14, vcc_lo, s9, v14, vcc_lo
	v_add_co_u32 v15, vcc_lo, s10, v15
	v_add_co_ci_u32_e32 v16, vcc_lo, s11, v16, vcc_lo
	;; [unrolled: 2-line block ×3, first 2 shown]
	global_load_b128 v[11:14], v[13:14], off
	global_load_b128 v[15:18], v[15:16], off
	;; [unrolled: 1-line block ×3, first 2 shown]
	s_waitcnt vmcnt(1)
	v_fma_f64 v[27:28], v[11:12], v[15:16], v[27:28]
	v_fma_f64 v[25:26], v[13:14], v[15:16], v[25:26]
	s_waitcnt vmcnt(0)
	v_fma_f64 v[23:24], v[34:35], v[15:16], v[23:24]
	v_fma_f64 v[21:22], v[36:37], v[15:16], v[21:22]
	s_delay_alu instid0(VALU_DEP_4) | instskip(NEXT) | instid1(VALU_DEP_4)
	v_fma_f64 v[13:14], -v[13:14], v[17:18], v[27:28]
	v_fma_f64 v[11:12], v[11:12], v[17:18], v[25:26]
	s_delay_alu instid0(VALU_DEP_4) | instskip(NEXT) | instid1(VALU_DEP_4)
	v_fma_f64 v[15:16], -v[36:37], v[17:18], v[23:24]
	v_fma_f64 v[17:18], v[34:35], v[17:18], v[21:22]
	s_cbranch_scc1 .LBB285_23
; %bb.25:                               ;   in Loop: Header=BB285_24 Depth=2
	v_dual_mov_b32 v22, v20 :: v_dual_add_nc_u32 v21, 1, v31
	v_dual_mov_b32 v24, v20 :: v_dual_add_nc_u32 v23, 1, v19
	;; [unrolled: 1-line block ×3, first 2 shown]
	s_delay_alu instid0(VALU_DEP_3) | instskip(SKIP_1) | instid1(VALU_DEP_4)
	v_lshlrev_b64 v[21:22], 4, v[21:22]
	v_dual_mov_b32 v39, v20 :: v_dual_add_nc_u32 v38, 2, v31
	v_lshlrev_b64 v[23:24], 4, v[23:24]
	s_delay_alu instid0(VALU_DEP_4)
	v_lshlrev_b64 v[25:26], 4, v[25:26]
	v_dual_mov_b32 v41, v20 :: v_dual_add_nc_u32 v40, 2, v19
	v_add_co_u32 v21, vcc_lo, s8, v21
	v_add_co_ci_u32_e32 v22, vcc_lo, s9, v22, vcc_lo
	v_add_co_u32 v27, vcc_lo, s10, v23
	v_add_co_ci_u32_e32 v28, vcc_lo, s11, v24, vcc_lo
	;; [unrolled: 2-line block ×3, first 2 shown]
	global_load_b128 v[21:24], v[21:22], off
	global_load_b128 v[25:28], v[27:28], off
	;; [unrolled: 1-line block ×3, first 2 shown]
	v_lshlrev_b64 v[38:39], 4, v[38:39]
	v_lshlrev_b64 v[40:41], 4, v[40:41]
	v_add_nc_u32_e32 v19, 3, v19
	s_add_i32 s4, s4, 4
	s_delay_alu instid0(VALU_DEP_3) | instskip(NEXT) | instid1(VALU_DEP_4)
	v_add_co_u32 v50, vcc_lo, s8, v38
	v_add_co_ci_u32_e32 v51, vcc_lo, s9, v39, vcc_lo
	s_delay_alu instid0(VALU_DEP_4)
	v_add_co_u32 v42, vcc_lo, s10, v40
	v_add_co_ci_u32_e32 v43, vcc_lo, s11, v41, vcc_lo
	global_load_b128 v[38:41], v[50:51], off
	global_load_b128 v[42:45], v[42:43], off
	global_load_b128 v[46:49], v[46:47], off offset:16
	v_lshlrev_b64 v[52:53], 4, v[19:20]
	v_add_nc_u32_e32 v19, 16, v31
	s_delay_alu instid0(VALU_DEP_1) | instskip(NEXT) | instid1(VALU_DEP_3)
	v_lshlrev_b64 v[54:55], 4, v[19:20]
	v_add_co_u32 v56, vcc_lo, s10, v52
	s_delay_alu instid0(VALU_DEP_4) | instskip(NEXT) | instid1(VALU_DEP_3)
	v_add_co_ci_u32_e32 v57, vcc_lo, s11, v53, vcc_lo
	v_add_co_u32 v58, vcc_lo, s8, v54
	s_delay_alu instid0(VALU_DEP_4)
	v_add_co_ci_u32_e32 v59, vcc_lo, s9, v55, vcc_lo
	global_load_b128 v[50:53], v[50:51], off offset:16
	global_load_b128 v[54:57], v[56:57], off
	global_load_b128 v[58:61], v[58:59], off
	s_waitcnt vmcnt(7)
	v_fma_f64 v[62:63], v[21:22], v[25:26], v[13:14]
	v_fma_f64 v[64:65], v[23:24], v[25:26], v[11:12]
	s_waitcnt vmcnt(6)
	v_fma_f64 v[66:67], v[34:35], v[25:26], v[15:16]
	v_fma_f64 v[25:26], v[36:37], v[25:26], v[17:18]
	s_delay_alu instid0(VALU_DEP_4) | instskip(NEXT) | instid1(VALU_DEP_4)
	v_fma_f64 v[23:24], -v[23:24], v[27:28], v[62:63]
	v_fma_f64 v[21:22], v[21:22], v[27:28], v[64:65]
	s_delay_alu instid0(VALU_DEP_4) | instskip(NEXT) | instid1(VALU_DEP_4)
	v_fma_f64 v[36:37], -v[36:37], v[27:28], v[66:67]
	v_fma_f64 v[25:26], v[34:35], v[27:28], v[25:26]
	s_waitcnt vmcnt(4)
	s_delay_alu instid0(VALU_DEP_4) | instskip(NEXT) | instid1(VALU_DEP_4)
	v_fma_f64 v[23:24], v[38:39], v[42:43], v[23:24]
	v_fma_f64 v[21:22], v[40:41], v[42:43], v[21:22]
	s_waitcnt vmcnt(3)
	s_delay_alu instid0(VALU_DEP_4) | instskip(NEXT) | instid1(VALU_DEP_4)
	v_fma_f64 v[27:28], v[46:47], v[42:43], v[36:37]
	v_fma_f64 v[25:26], v[48:49], v[42:43], v[25:26]
	s_delay_alu instid0(VALU_DEP_4) | instskip(NEXT) | instid1(VALU_DEP_4)
	v_fma_f64 v[23:24], -v[40:41], v[44:45], v[23:24]
	v_fma_f64 v[21:22], v[38:39], v[44:45], v[21:22]
	s_delay_alu instid0(VALU_DEP_4) | instskip(NEXT) | instid1(VALU_DEP_4)
	v_fma_f64 v[27:28], -v[48:49], v[44:45], v[27:28]
	v_fma_f64 v[25:26], v[46:47], v[44:45], v[25:26]
	s_waitcnt vmcnt(1)
	s_delay_alu instid0(VALU_DEP_4) | instskip(NEXT) | instid1(VALU_DEP_4)
	v_fma_f64 v[23:24], v[50:51], v[54:55], v[23:24]
	v_fma_f64 v[21:22], v[52:53], v[54:55], v[21:22]
	s_waitcnt vmcnt(0)
	s_delay_alu instid0(VALU_DEP_4) | instskip(NEXT) | instid1(VALU_DEP_4)
	v_fma_f64 v[34:35], v[58:59], v[54:55], v[27:28]
	v_fma_f64 v[36:37], v[60:61], v[54:55], v[25:26]
	s_delay_alu instid0(VALU_DEP_4) | instskip(NEXT) | instid1(VALU_DEP_4)
	v_fma_f64 v[27:28], -v[52:53], v[56:57], v[23:24]
	v_fma_f64 v[25:26], v[50:51], v[56:57], v[21:22]
	s_delay_alu instid0(VALU_DEP_4) | instskip(NEXT) | instid1(VALU_DEP_4)
	v_fma_f64 v[23:24], -v[60:61], v[56:57], v[34:35]
	v_fma_f64 v[21:22], v[58:59], v[56:57], v[36:37]
	s_cbranch_execnz .LBB285_24
	s_branch .LBB285_21
.LBB285_26:
	s_or_b32 exec_lo, exec_lo, s0
.LBB285_27:
	s_delay_alu instid0(SALU_CYCLE_1)
	s_or_b32 exec_lo, exec_lo, s1
.LBB285_28:
	v_mbcnt_lo_u32_b32 v25, -1, 0
	s_delay_alu instid0(VALU_DEP_1) | instskip(NEXT) | instid1(VALU_DEP_1)
	v_xor_b32_e32 v9, 8, v25
	v_cmp_gt_i32_e32 vcc_lo, 32, v9
	v_cndmask_b32_e32 v9, v25, v9, vcc_lo
	s_delay_alu instid0(VALU_DEP_1)
	v_lshlrev_b32_e32 v24, 2, v9
	ds_bpermute_b32 v9, v24, v13
	ds_bpermute_b32 v10, v24, v14
	;; [unrolled: 1-line block ×8, first 2 shown]
	s_waitcnt lgkmcnt(6)
	v_add_f64 v[9:10], v[13:14], v[9:10]
	s_waitcnt lgkmcnt(4)
	v_add_f64 v[11:12], v[11:12], v[19:20]
	;; [unrolled: 2-line block ×4, first 2 shown]
	v_xor_b32_e32 v17, 4, v25
	s_delay_alu instid0(VALU_DEP_1) | instskip(SKIP_1) | instid1(VALU_DEP_1)
	v_cmp_gt_i32_e32 vcc_lo, 32, v17
	v_cndmask_b32_e32 v17, v25, v17, vcc_lo
	v_lshlrev_b32_e32 v24, 2, v17
	ds_bpermute_b32 v17, v24, v9
	ds_bpermute_b32 v18, v24, v10
	;; [unrolled: 1-line block ×8, first 2 shown]
	s_waitcnt lgkmcnt(6)
	v_add_f64 v[9:10], v[9:10], v[17:18]
	s_waitcnt lgkmcnt(4)
	v_add_f64 v[11:12], v[11:12], v[19:20]
	;; [unrolled: 2-line block ×4, first 2 shown]
	v_xor_b32_e32 v15, 2, v25
	s_delay_alu instid0(VALU_DEP_1) | instskip(SKIP_1) | instid1(VALU_DEP_1)
	v_cmp_gt_i32_e32 vcc_lo, 32, v15
	v_cndmask_b32_e32 v15, v25, v15, vcc_lo
	v_lshlrev_b32_e32 v24, 2, v15
	ds_bpermute_b32 v15, v24, v9
	ds_bpermute_b32 v16, v24, v10
	;; [unrolled: 1-line block ×8, first 2 shown]
	s_waitcnt lgkmcnt(6)
	v_add_f64 v[9:10], v[9:10], v[15:16]
	s_waitcnt lgkmcnt(4)
	v_add_f64 v[15:16], v[11:12], v[19:20]
	;; [unrolled: 2-line block ×4, first 2 shown]
	v_xor_b32_e32 v17, 1, v25
	s_delay_alu instid0(VALU_DEP_1) | instskip(SKIP_2) | instid1(VALU_DEP_2)
	v_cmp_gt_i32_e32 vcc_lo, 32, v17
	v_cndmask_b32_e32 v17, v25, v17, vcc_lo
	v_cmp_eq_u32_e32 vcc_lo, 15, v32
	v_lshlrev_b32_e32 v20, 2, v17
	ds_bpermute_b32 v23, v20, v9
	ds_bpermute_b32 v24, v20, v10
	;; [unrolled: 1-line block ×8, first 2 shown]
	s_and_b32 exec_lo, exec_lo, vcc_lo
	s_cbranch_execz .LBB285_33
; %bb.29:
	v_cmp_eq_f64_e32 vcc_lo, 0, v[4:5]
	v_cmp_eq_f64_e64 s0, 0, v[6:7]
	s_waitcnt lgkmcnt(6)
	v_add_f64 v[9:10], v[9:10], v[23:24]
	s_waitcnt lgkmcnt(4)
	v_add_f64 v[15:16], v[15:16], v[21:22]
	;; [unrolled: 2-line block ×4, first 2 shown]
	s_load_b64 s[2:3], s[2:3], 0x48
	s_and_b32 s0, vcc_lo, s0
	s_delay_alu instid0(SALU_CYCLE_1) | instskip(NEXT) | instid1(SALU_CYCLE_1)
	s_and_saveexec_b32 s1, s0
	s_xor_b32 s0, exec_lo, s1
	s_cbranch_execz .LBB285_31
; %bb.30:
	s_delay_alu instid0(VALU_DEP_3) | instskip(SKIP_1) | instid1(VALU_DEP_3)
	v_mul_f64 v[4:5], v[15:16], -v[2:3]
	v_mul_f64 v[6:7], v[0:1], v[15:16]
	v_mul_f64 v[15:16], v[13:14], -v[2:3]
	v_mul_f64 v[13:14], v[0:1], v[13:14]
	v_lshlrev_b32_e32 v8, 1, v8
	v_fma_f64 v[4:5], v[0:1], v[9:10], v[4:5]
	v_fma_f64 v[6:7], v[2:3], v[9:10], v[6:7]
	;; [unrolled: 1-line block ×4, first 2 shown]
	v_ashrrev_i32_e32 v9, 31, v8
                                        ; implicit-def: $vgpr15_vgpr16
                                        ; implicit-def: $vgpr11_vgpr12
                                        ; implicit-def: $vgpr13_vgpr14
	s_delay_alu instid0(VALU_DEP_1) | instskip(SKIP_1) | instid1(VALU_DEP_1)
	v_lshlrev_b64 v[8:9], 4, v[8:9]
	s_waitcnt lgkmcnt(0)
	v_add_co_u32 v8, vcc_lo, s2, v8
	s_delay_alu instid0(VALU_DEP_2)
	v_add_co_ci_u32_e32 v9, vcc_lo, s3, v9, vcc_lo
	s_clause 0x1
	global_store_b128 v[8:9], v[4:7], off
	global_store_b128 v[8:9], v[0:3], off offset:16
                                        ; implicit-def: $vgpr0_vgpr1
                                        ; implicit-def: $vgpr2_vgpr3
                                        ; implicit-def: $vgpr4_vgpr5
                                        ; implicit-def: $vgpr6_vgpr7
                                        ; implicit-def: $vgpr8
                                        ; implicit-def: $vgpr9_vgpr10
.LBB285_31:
	s_and_not1_saveexec_b32 s0, s0
	s_cbranch_execz .LBB285_33
; %bb.32:
	v_lshlrev_b32_e32 v17, 1, v8
	s_delay_alu instid0(VALU_DEP_4) | instskip(SKIP_1) | instid1(VALU_DEP_4)
	v_mul_f64 v[27:28], v[15:16], -v[2:3]
	v_mul_f64 v[15:16], v[0:1], v[15:16]
	v_mul_f64 v[29:30], v[13:14], -v[2:3]
	v_mul_f64 v[13:14], v[0:1], v[13:14]
	v_ashrrev_i32_e32 v18, 31, v17
	s_delay_alu instid0(VALU_DEP_1) | instskip(SKIP_1) | instid1(VALU_DEP_1)
	v_lshlrev_b64 v[17:18], 4, v[17:18]
	s_waitcnt lgkmcnt(0)
	v_add_co_u32 v25, vcc_lo, s2, v17
	s_delay_alu instid0(VALU_DEP_2)
	v_add_co_ci_u32_e32 v26, vcc_lo, s3, v18, vcc_lo
	s_clause 0x1
	global_load_b128 v[17:20], v[25:26], off
	global_load_b128 v[21:24], v[25:26], off offset:16
	v_fma_f64 v[27:28], v[0:1], v[9:10], v[27:28]
	v_fma_f64 v[8:9], v[2:3], v[9:10], v[15:16]
	;; [unrolled: 1-line block ×4, first 2 shown]
	s_waitcnt vmcnt(1)
	s_delay_alu instid0(VALU_DEP_4) | instskip(NEXT) | instid1(VALU_DEP_4)
	v_fma_f64 v[10:11], v[4:5], v[17:18], v[27:28]
	v_fma_f64 v[8:9], v[6:7], v[17:18], v[8:9]
	s_waitcnt vmcnt(0)
	s_delay_alu instid0(VALU_DEP_4) | instskip(NEXT) | instid1(VALU_DEP_4)
	v_fma_f64 v[12:13], v[4:5], v[21:22], v[0:1]
	v_fma_f64 v[14:15], v[6:7], v[21:22], v[2:3]
	s_delay_alu instid0(VALU_DEP_4) | instskip(NEXT) | instid1(VALU_DEP_4)
	v_fma_f64 v[0:1], -v[6:7], v[19:20], v[10:11]
	v_fma_f64 v[2:3], v[4:5], v[19:20], v[8:9]
	s_delay_alu instid0(VALU_DEP_4) | instskip(NEXT) | instid1(VALU_DEP_4)
	v_fma_f64 v[6:7], -v[6:7], v[23:24], v[12:13]
	v_fma_f64 v[8:9], v[4:5], v[23:24], v[14:15]
	s_clause 0x1
	global_store_b128 v[25:26], v[0:3], off
	global_store_b128 v[25:26], v[6:9], off offset:16
.LBB285_33:
	s_nop 0
	s_sendmsg sendmsg(MSG_DEALLOC_VGPRS)
	s_endpgm
	.section	.rodata,"a",@progbits
	.p2align	6, 0x0
	.amdhsa_kernel _ZN9rocsparseL19gebsrmvn_2xn_kernelILj128ELj13ELj16E21rocsparse_complex_numIdEEEvi20rocsparse_direction_NS_24const_host_device_scalarIT2_EEPKiS8_PKS5_SA_S6_PS5_21rocsparse_index_base_b
		.amdhsa_group_segment_fixed_size 2048
		.amdhsa_private_segment_fixed_size 0
		.amdhsa_kernarg_size 88
		.amdhsa_user_sgpr_count 15
		.amdhsa_user_sgpr_dispatch_ptr 1
		.amdhsa_user_sgpr_queue_ptr 0
		.amdhsa_user_sgpr_kernarg_segment_ptr 1
		.amdhsa_user_sgpr_dispatch_id 0
		.amdhsa_user_sgpr_private_segment_size 0
		.amdhsa_wavefront_size32 1
		.amdhsa_uses_dynamic_stack 0
		.amdhsa_enable_private_segment 0
		.amdhsa_system_sgpr_workgroup_id_x 1
		.amdhsa_system_sgpr_workgroup_id_y 0
		.amdhsa_system_sgpr_workgroup_id_z 0
		.amdhsa_system_sgpr_workgroup_info 0
		.amdhsa_system_vgpr_workitem_id 2
		.amdhsa_next_free_vgpr 70
		.amdhsa_next_free_sgpr 18
		.amdhsa_reserve_vcc 1
		.amdhsa_float_round_mode_32 0
		.amdhsa_float_round_mode_16_64 0
		.amdhsa_float_denorm_mode_32 3
		.amdhsa_float_denorm_mode_16_64 3
		.amdhsa_dx10_clamp 1
		.amdhsa_ieee_mode 1
		.amdhsa_fp16_overflow 0
		.amdhsa_workgroup_processor_mode 1
		.amdhsa_memory_ordered 1
		.amdhsa_forward_progress 0
		.amdhsa_shared_vgpr_count 0
		.amdhsa_exception_fp_ieee_invalid_op 0
		.amdhsa_exception_fp_denorm_src 0
		.amdhsa_exception_fp_ieee_div_zero 0
		.amdhsa_exception_fp_ieee_overflow 0
		.amdhsa_exception_fp_ieee_underflow 0
		.amdhsa_exception_fp_ieee_inexact 0
		.amdhsa_exception_int_div_zero 0
	.end_amdhsa_kernel
	.section	.text._ZN9rocsparseL19gebsrmvn_2xn_kernelILj128ELj13ELj16E21rocsparse_complex_numIdEEEvi20rocsparse_direction_NS_24const_host_device_scalarIT2_EEPKiS8_PKS5_SA_S6_PS5_21rocsparse_index_base_b,"axG",@progbits,_ZN9rocsparseL19gebsrmvn_2xn_kernelILj128ELj13ELj16E21rocsparse_complex_numIdEEEvi20rocsparse_direction_NS_24const_host_device_scalarIT2_EEPKiS8_PKS5_SA_S6_PS5_21rocsparse_index_base_b,comdat
.Lfunc_end285:
	.size	_ZN9rocsparseL19gebsrmvn_2xn_kernelILj128ELj13ELj16E21rocsparse_complex_numIdEEEvi20rocsparse_direction_NS_24const_host_device_scalarIT2_EEPKiS8_PKS5_SA_S6_PS5_21rocsparse_index_base_b, .Lfunc_end285-_ZN9rocsparseL19gebsrmvn_2xn_kernelILj128ELj13ELj16E21rocsparse_complex_numIdEEEvi20rocsparse_direction_NS_24const_host_device_scalarIT2_EEPKiS8_PKS5_SA_S6_PS5_21rocsparse_index_base_b
                                        ; -- End function
	.section	.AMDGPU.csdata,"",@progbits
; Kernel info:
; codeLenInByte = 3464
; NumSgprs: 20
; NumVgprs: 70
; ScratchSize: 0
; MemoryBound: 0
; FloatMode: 240
; IeeeMode: 1
; LDSByteSize: 2048 bytes/workgroup (compile time only)
; SGPRBlocks: 2
; VGPRBlocks: 8
; NumSGPRsForWavesPerEU: 20
; NumVGPRsForWavesPerEU: 70
; Occupancy: 16
; WaveLimiterHint : 1
; COMPUTE_PGM_RSRC2:SCRATCH_EN: 0
; COMPUTE_PGM_RSRC2:USER_SGPR: 15
; COMPUTE_PGM_RSRC2:TRAP_HANDLER: 0
; COMPUTE_PGM_RSRC2:TGID_X_EN: 1
; COMPUTE_PGM_RSRC2:TGID_Y_EN: 0
; COMPUTE_PGM_RSRC2:TGID_Z_EN: 0
; COMPUTE_PGM_RSRC2:TIDIG_COMP_CNT: 2
	.section	.text._ZN9rocsparseL19gebsrmvn_2xn_kernelILj128ELj13ELj32E21rocsparse_complex_numIdEEEvi20rocsparse_direction_NS_24const_host_device_scalarIT2_EEPKiS8_PKS5_SA_S6_PS5_21rocsparse_index_base_b,"axG",@progbits,_ZN9rocsparseL19gebsrmvn_2xn_kernelILj128ELj13ELj32E21rocsparse_complex_numIdEEEvi20rocsparse_direction_NS_24const_host_device_scalarIT2_EEPKiS8_PKS5_SA_S6_PS5_21rocsparse_index_base_b,comdat
	.globl	_ZN9rocsparseL19gebsrmvn_2xn_kernelILj128ELj13ELj32E21rocsparse_complex_numIdEEEvi20rocsparse_direction_NS_24const_host_device_scalarIT2_EEPKiS8_PKS5_SA_S6_PS5_21rocsparse_index_base_b ; -- Begin function _ZN9rocsparseL19gebsrmvn_2xn_kernelILj128ELj13ELj32E21rocsparse_complex_numIdEEEvi20rocsparse_direction_NS_24const_host_device_scalarIT2_EEPKiS8_PKS5_SA_S6_PS5_21rocsparse_index_base_b
	.p2align	8
	.type	_ZN9rocsparseL19gebsrmvn_2xn_kernelILj128ELj13ELj32E21rocsparse_complex_numIdEEEvi20rocsparse_direction_NS_24const_host_device_scalarIT2_EEPKiS8_PKS5_SA_S6_PS5_21rocsparse_index_base_b,@function
_ZN9rocsparseL19gebsrmvn_2xn_kernelILj128ELj13ELj32E21rocsparse_complex_numIdEEEvi20rocsparse_direction_NS_24const_host_device_scalarIT2_EEPKiS8_PKS5_SA_S6_PS5_21rocsparse_index_base_b: ; @_ZN9rocsparseL19gebsrmvn_2xn_kernelILj128ELj13ELj32E21rocsparse_complex_numIdEEEvi20rocsparse_direction_NS_24const_host_device_scalarIT2_EEPKiS8_PKS5_SA_S6_PS5_21rocsparse_index_base_b
; %bb.0:
	s_load_b64 s[12:13], s[2:3], 0x50
	s_load_b64 s[16:17], s[0:1], 0x4
	s_load_b128 s[8:11], s[2:3], 0x8
	v_bfe_u32 v1, v0, 10, 10
	s_mov_b64 s[0:1], src_shared_base
	s_load_b128 s[4:7], s[2:3], 0x38
	v_and_b32_e32 v12, 0x3ff, v0
	v_bfe_u32 v0, v0, 20, 10
	s_waitcnt lgkmcnt(0)
	s_bitcmp1_b32 s13, 0
	v_mul_u32_u24_e32 v1, s17, v1
	s_cselect_b32 s0, -1, 0
	s_delay_alu instid0(SALU_CYCLE_1)
	s_and_b32 vcc_lo, s0, exec_lo
	s_cselect_b32 s13, s1, s9
	s_lshr_b32 s14, s16, 16
	v_dual_mov_b32 v2, s4 :: v_dual_mov_b32 v3, s5
	s_mul_i32 s14, s14, s17
	v_mov_b32_e32 v6, s13
	v_mad_u32_u24 v1, s14, v12, v1
	s_delay_alu instid0(VALU_DEP_1) | instskip(SKIP_1) | instid1(VALU_DEP_2)
	v_add_lshl_u32 v4, v1, v0, 3
	v_dual_mov_b32 v0, s8 :: v_dual_mov_b32 v1, s9
	v_add_nc_u32_e32 v5, 0x400, v4
	ds_store_2addr_stride64_b64 v4, v[2:3], v[0:1] offset1:2
	v_dual_mov_b32 v2, s10 :: v_dual_mov_b32 v3, s11
	v_cndmask_b32_e64 v5, s8, v5, s0
	s_xor_b32 s10, s0, -1
	flat_load_b64 v[0:1], v[5:6]
	s_cbranch_vccnz .LBB286_2
; %bb.1:
	v_dual_mov_b32 v2, s8 :: v_dual_mov_b32 v3, s9
	flat_load_b64 v[2:3], v[2:3] offset:8
.LBB286_2:
	s_and_b32 s8, s0, exec_lo
	s_cselect_b32 s1, s1, s5
	v_cndmask_b32_e64 v4, s4, v4, s0
	v_dual_mov_b32 v5, s1 :: v_dual_mov_b32 v6, s6
	v_mov_b32_e32 v7, s7
	s_and_not1_b32 vcc_lo, exec_lo, s10
	flat_load_b64 v[4:5], v[4:5]
	s_cbranch_vccnz .LBB286_4
; %bb.3:
	v_dual_mov_b32 v7, s5 :: v_dual_mov_b32 v6, s4
	flat_load_b64 v[6:7], v[6:7] offset:8
.LBB286_4:
	s_waitcnt vmcnt(1) lgkmcnt(1)
	v_cmp_eq_f64_e32 vcc_lo, 0, v[0:1]
	v_cmp_eq_f64_e64 s0, 0, v[2:3]
	s_delay_alu instid0(VALU_DEP_1)
	s_and_b32 s4, vcc_lo, s0
	s_mov_b32 s0, -1
	s_and_saveexec_b32 s1, s4
	s_cbranch_execz .LBB286_6
; %bb.5:
	s_waitcnt vmcnt(0) lgkmcnt(0)
	v_cmp_neq_f64_e32 vcc_lo, 1.0, v[4:5]
	v_cmp_neq_f64_e64 s0, 0, v[6:7]
	s_delay_alu instid0(VALU_DEP_1) | instskip(NEXT) | instid1(SALU_CYCLE_1)
	s_or_b32 s0, vcc_lo, s0
	s_or_not1_b32 s0, s0, exec_lo
.LBB286_6:
	s_or_b32 exec_lo, exec_lo, s1
	s_and_saveexec_b32 s1, s0
	s_cbranch_execz .LBB286_33
; %bb.7:
	s_load_b64 s[0:1], s[2:3], 0x0
	v_lshrrev_b32_e32 v8, 5, v12
	s_delay_alu instid0(VALU_DEP_1) | instskip(SKIP_1) | instid1(VALU_DEP_1)
	v_lshl_or_b32 v8, s15, 2, v8
	s_waitcnt lgkmcnt(0)
	v_cmp_gt_i32_e32 vcc_lo, s0, v8
	s_and_b32 exec_lo, exec_lo, vcc_lo
	s_cbranch_execz .LBB286_33
; %bb.8:
	s_load_b256 s[4:11], s[2:3], 0x18
	v_ashrrev_i32_e32 v9, 31, v8
	v_and_b32_e32 v32, 31, v12
	s_cmp_lg_u32 s1, 0
	s_delay_alu instid0(VALU_DEP_2) | instskip(SKIP_1) | instid1(VALU_DEP_1)
	v_lshlrev_b64 v[9:10], 2, v[8:9]
	s_waitcnt lgkmcnt(0)
	v_add_co_u32 v9, vcc_lo, s4, v9
	s_delay_alu instid0(VALU_DEP_2) | instskip(SKIP_4) | instid1(VALU_DEP_2)
	v_add_co_ci_u32_e32 v10, vcc_lo, s5, v10, vcc_lo
	global_load_b64 v[10:11], v[9:10], off
	s_waitcnt vmcnt(0)
	v_subrev_nc_u32_e32 v9, s12, v10
	v_subrev_nc_u32_e32 v33, s12, v11
	v_add_nc_u32_e32 v9, v9, v32
	s_delay_alu instid0(VALU_DEP_1)
	v_cmp_lt_i32_e64 s0, v9, v33
	s_cbranch_scc0 .LBB286_16
; %bb.9:
	v_mov_b32_e32 v11, 0
	v_mov_b32_e32 v12, 0
	s_delay_alu instid0(VALU_DEP_1)
	v_dual_mov_b32 v14, v12 :: v_dual_mov_b32 v13, v11
	v_dual_mov_b32 v16, v12 :: v_dual_mov_b32 v15, v11
	;; [unrolled: 1-line block ×3, first 2 shown]
	s_and_saveexec_b32 s1, s0
	s_cbranch_execz .LBB286_18
; %bb.10:
	v_mul_lo_u32 v13, v10, 26
	v_dual_mov_b32 v11, 0 :: v_dual_mov_b32 v20, 0
	v_dual_mov_b32 v12, 0 :: v_dual_mov_b32 v21, v9
	v_mul_lo_u32 v34, v9, 26
	s_mul_i32 s4, s12, 26
	s_delay_alu instid0(VALU_DEP_2) | instskip(SKIP_2) | instid1(VALU_DEP_2)
	v_dual_mov_b32 v16, v12 :: v_dual_mov_b32 v15, v11
	v_mad_u32_u24 v17, v32, 26, v13
	v_dual_mov_b32 v14, v12 :: v_dual_mov_b32 v13, v11
	v_subrev_nc_u32_e32 v35, s4, v17
	v_dual_mov_b32 v18, v12 :: v_dual_mov_b32 v17, v11
	s_mov_b32 s4, 0
	s_branch .LBB286_12
.LBB286_11:                             ;   in Loop: Header=BB286_12 Depth=1
	v_add_nc_u32_e32 v21, 32, v21
	v_add_nc_u32_e32 v34, 0x340, v34
	;; [unrolled: 1-line block ×3, first 2 shown]
	s_delay_alu instid0(VALU_DEP_3) | instskip(SKIP_1) | instid1(SALU_CYCLE_1)
	v_cmp_ge_i32_e32 vcc_lo, v21, v33
	s_or_b32 s4, vcc_lo, s4
	s_and_not1_b32 exec_lo, exec_lo, s4
	s_cbranch_execz .LBB286_17
.LBB286_12:                             ; =>This Loop Header: Depth=1
                                        ;     Child Loop BB286_14 Depth 2
	v_ashrrev_i32_e32 v22, 31, v21
	v_dual_mov_b32 v29, v12 :: v_dual_mov_b32 v28, v11
	v_dual_mov_b32 v31, v14 :: v_dual_mov_b32 v30, v13
	s_delay_alu instid0(VALU_DEP_3) | instskip(SKIP_3) | instid1(VALU_DEP_3)
	v_lshlrev_b64 v[22:23], 2, v[21:22]
	v_dual_mov_b32 v27, v16 :: v_dual_mov_b32 v26, v15
	v_dual_mov_b32 v25, v18 :: v_dual_mov_b32 v24, v17
	s_mov_b32 s5, 0
	v_add_co_u32 v22, vcc_lo, s6, v22
	s_delay_alu instid0(VALU_DEP_4) | instskip(SKIP_3) | instid1(VALU_DEP_1)
	v_add_co_ci_u32_e32 v23, vcc_lo, s7, v23, vcc_lo
	global_load_b32 v19, v[22:23], off
	s_waitcnt vmcnt(0)
	v_subrev_nc_u32_e32 v19, s12, v19
	v_mul_lo_u32 v22, v19, 13
	s_branch .LBB286_14
.LBB286_13:                             ;   in Loop: Header=BB286_12 Depth=1
                                        ; implicit-def: $vgpr24_vgpr25
                                        ; implicit-def: $vgpr26_vgpr27
                                        ; implicit-def: $vgpr30_vgpr31
                                        ; implicit-def: $vgpr28_vgpr29
                                        ; implicit-def: $sgpr5
                                        ; implicit-def: $vgpr22
	s_branch .LBB286_11
.LBB286_14:                             ;   Parent Loop BB286_12 Depth=1
                                        ; =>  This Inner Loop Header: Depth=2
	v_add_nc_u32_e32 v19, s5, v35
	v_mov_b32_e32 v23, v20
	s_cmp_eq_u32 s5, 24
	s_delay_alu instid0(VALU_DEP_2) | instskip(NEXT) | instid1(VALU_DEP_2)
	v_lshlrev_b64 v[11:12], 4, v[19:20]
	v_lshlrev_b64 v[13:14], 4, v[22:23]
	s_delay_alu instid0(VALU_DEP_2) | instskip(NEXT) | instid1(VALU_DEP_3)
	v_add_co_u32 v36, vcc_lo, s8, v11
	v_add_co_ci_u32_e32 v37, vcc_lo, s9, v12, vcc_lo
	s_delay_alu instid0(VALU_DEP_3) | instskip(NEXT) | instid1(VALU_DEP_4)
	v_add_co_u32 v15, vcc_lo, s10, v13
	v_add_co_ci_u32_e32 v16, vcc_lo, s11, v14, vcc_lo
	global_load_b128 v[11:14], v[36:37], off
	global_load_b128 v[15:18], v[15:16], off
	global_load_b128 v[36:39], v[36:37], off offset:16
	s_waitcnt vmcnt(1)
	v_fma_f64 v[30:31], v[11:12], v[15:16], v[30:31]
	v_fma_f64 v[28:29], v[13:14], v[15:16], v[28:29]
	s_waitcnt vmcnt(0)
	v_fma_f64 v[26:27], v[36:37], v[15:16], v[26:27]
	v_fma_f64 v[23:24], v[38:39], v[15:16], v[24:25]
	s_delay_alu instid0(VALU_DEP_4) | instskip(NEXT) | instid1(VALU_DEP_4)
	v_fma_f64 v[13:14], -v[13:14], v[17:18], v[30:31]
	v_fma_f64 v[11:12], v[11:12], v[17:18], v[28:29]
	s_delay_alu instid0(VALU_DEP_4) | instskip(NEXT) | instid1(VALU_DEP_4)
	v_fma_f64 v[15:16], -v[38:39], v[17:18], v[26:27]
	v_fma_f64 v[17:18], v[36:37], v[17:18], v[23:24]
	s_cbranch_scc1 .LBB286_13
; %bb.15:                               ;   in Loop: Header=BB286_14 Depth=2
	v_add_nc_u32_e32 v31, s5, v34
	s_add_i32 s5, s5, 8
	s_delay_alu instid0(VALU_DEP_1) | instskip(NEXT) | instid1(VALU_DEP_1)
	v_add_nc_u32_e32 v19, 2, v31
	v_lshlrev_b64 v[23:24], 4, v[19:20]
	v_add_nc_u32_e32 v19, 1, v22
	s_delay_alu instid0(VALU_DEP_1) | instskip(NEXT) | instid1(VALU_DEP_3)
	v_lshlrev_b64 v[25:26], 4, v[19:20]
	v_add_co_u32 v36, vcc_lo, s8, v23
	s_delay_alu instid0(VALU_DEP_4) | instskip(SKIP_1) | instid1(VALU_DEP_4)
	v_add_co_ci_u32_e32 v37, vcc_lo, s9, v24, vcc_lo
	v_add_nc_u32_e32 v19, 4, v31
	v_add_co_u32 v27, vcc_lo, s10, v25
	v_add_co_ci_u32_e32 v28, vcc_lo, s11, v26, vcc_lo
	s_delay_alu instid0(VALU_DEP_3)
	v_lshlrev_b64 v[40:41], 4, v[19:20]
	global_load_b128 v[23:26], v[36:37], off
	global_load_b128 v[27:30], v[27:28], off
	global_load_b128 v[36:39], v[36:37], off offset:16
	v_add_nc_u32_e32 v19, 2, v22
	v_add_co_u32 v48, vcc_lo, s8, v40
	s_delay_alu instid0(VALU_DEP_2) | instskip(SKIP_2) | instid1(VALU_DEP_3)
	v_lshlrev_b64 v[42:43], 4, v[19:20]
	v_add_co_ci_u32_e32 v49, vcc_lo, s9, v41, vcc_lo
	v_add_nc_u32_e32 v19, 6, v31
	v_add_co_u32 v44, vcc_lo, s10, v42
	s_delay_alu instid0(VALU_DEP_4)
	v_add_co_ci_u32_e32 v45, vcc_lo, s11, v43, vcc_lo
	global_load_b128 v[40:43], v[48:49], off
	global_load_b128 v[44:47], v[44:45], off
	global_load_b128 v[48:51], v[48:49], off offset:16
	v_lshlrev_b64 v[52:53], 4, v[19:20]
	v_add_nc_u32_e32 v19, 3, v22
	v_add_nc_u32_e32 v22, 4, v22
	s_delay_alu instid0(VALU_DEP_2) | instskip(NEXT) | instid1(VALU_DEP_4)
	v_lshlrev_b64 v[54:55], 4, v[19:20]
	v_add_co_u32 v60, vcc_lo, s8, v52
	v_add_co_ci_u32_e32 v61, vcc_lo, s9, v53, vcc_lo
	s_delay_alu instid0(VALU_DEP_3) | instskip(NEXT) | instid1(VALU_DEP_4)
	v_add_co_u32 v56, vcc_lo, s10, v54
	v_add_co_ci_u32_e32 v57, vcc_lo, s11, v55, vcc_lo
	global_load_b128 v[52:55], v[60:61], off
	global_load_b128 v[56:59], v[56:57], off
	global_load_b128 v[60:63], v[60:61], off offset:16
	s_waitcnt vmcnt(7)
	v_fma_f64 v[64:65], v[23:24], v[27:28], v[13:14]
	v_fma_f64 v[66:67], v[25:26], v[27:28], v[11:12]
	s_waitcnt vmcnt(6)
	v_fma_f64 v[68:69], v[36:37], v[27:28], v[15:16]
	v_fma_f64 v[27:28], v[38:39], v[27:28], v[17:18]
	s_delay_alu instid0(VALU_DEP_4) | instskip(NEXT) | instid1(VALU_DEP_4)
	v_fma_f64 v[25:26], -v[25:26], v[29:30], v[64:65]
	v_fma_f64 v[23:24], v[23:24], v[29:30], v[66:67]
	s_delay_alu instid0(VALU_DEP_4) | instskip(NEXT) | instid1(VALU_DEP_4)
	v_fma_f64 v[38:39], -v[38:39], v[29:30], v[68:69]
	v_fma_f64 v[27:28], v[36:37], v[29:30], v[27:28]
	s_waitcnt vmcnt(4)
	s_delay_alu instid0(VALU_DEP_4) | instskip(NEXT) | instid1(VALU_DEP_4)
	v_fma_f64 v[25:26], v[40:41], v[44:45], v[25:26]
	v_fma_f64 v[23:24], v[42:43], v[44:45], v[23:24]
	s_waitcnt vmcnt(3)
	s_delay_alu instid0(VALU_DEP_4) | instskip(NEXT) | instid1(VALU_DEP_4)
	v_fma_f64 v[29:30], v[48:49], v[44:45], v[38:39]
	v_fma_f64 v[27:28], v[50:51], v[44:45], v[27:28]
	s_delay_alu instid0(VALU_DEP_4) | instskip(NEXT) | instid1(VALU_DEP_4)
	v_fma_f64 v[25:26], -v[42:43], v[46:47], v[25:26]
	v_fma_f64 v[23:24], v[40:41], v[46:47], v[23:24]
	s_delay_alu instid0(VALU_DEP_4) | instskip(NEXT) | instid1(VALU_DEP_4)
	v_fma_f64 v[29:30], -v[50:51], v[46:47], v[29:30]
	v_fma_f64 v[27:28], v[48:49], v[46:47], v[27:28]
	s_waitcnt vmcnt(1)
	s_delay_alu instid0(VALU_DEP_4) | instskip(NEXT) | instid1(VALU_DEP_4)
	v_fma_f64 v[25:26], v[52:53], v[56:57], v[25:26]
	v_fma_f64 v[23:24], v[54:55], v[56:57], v[23:24]
	s_waitcnt vmcnt(0)
	s_delay_alu instid0(VALU_DEP_4) | instskip(NEXT) | instid1(VALU_DEP_4)
	v_fma_f64 v[36:37], v[60:61], v[56:57], v[29:30]
	v_fma_f64 v[38:39], v[62:63], v[56:57], v[27:28]
	s_delay_alu instid0(VALU_DEP_4) | instskip(NEXT) | instid1(VALU_DEP_4)
	v_fma_f64 v[30:31], -v[54:55], v[58:59], v[25:26]
	v_fma_f64 v[28:29], v[52:53], v[58:59], v[23:24]
	s_delay_alu instid0(VALU_DEP_4) | instskip(NEXT) | instid1(VALU_DEP_4)
	v_fma_f64 v[26:27], -v[62:63], v[58:59], v[36:37]
	v_fma_f64 v[24:25], v[60:61], v[58:59], v[38:39]
	s_cbranch_execnz .LBB286_14
	s_branch .LBB286_11
.LBB286_16:
                                        ; implicit-def: $vgpr11_vgpr12
                                        ; implicit-def: $vgpr13_vgpr14
                                        ; implicit-def: $vgpr15_vgpr16
                                        ; implicit-def: $vgpr17_vgpr18
	s_branch .LBB286_19
.LBB286_17:
	s_or_b32 exec_lo, exec_lo, s4
.LBB286_18:
	s_delay_alu instid0(SALU_CYCLE_1)
	s_or_b32 exec_lo, exec_lo, s1
	s_cbranch_execnz .LBB286_28
.LBB286_19:
	v_mov_b32_e32 v11, 0
	v_mov_b32_e32 v12, 0
	s_delay_alu instid0(VALU_DEP_1)
	v_dual_mov_b32 v14, v12 :: v_dual_mov_b32 v13, v11
	v_dual_mov_b32 v16, v12 :: v_dual_mov_b32 v15, v11
	;; [unrolled: 1-line block ×3, first 2 shown]
	s_and_saveexec_b32 s1, s0
	s_cbranch_execz .LBB286_27
; %bb.20:
	v_mul_lo_u32 v10, v10, 26
	v_dual_mov_b32 v11, 0 :: v_dual_mov_b32 v20, 0
	v_mov_b32_e32 v12, 0
	v_mul_lo_u32 v29, v9, 26
	s_mul_i32 s0, s12, 26
	s_delay_alu instid0(VALU_DEP_2) | instskip(SKIP_3) | instid1(VALU_DEP_3)
	v_dual_mov_b32 v14, v12 :: v_dual_mov_b32 v13, v11
	v_mad_u32_u24 v10, v32, 26, v10
	v_dual_mov_b32 v16, v12 :: v_dual_mov_b32 v15, v11
	v_dual_mov_b32 v18, v12 :: v_dual_mov_b32 v17, v11
	v_subrev_nc_u32_e32 v30, s0, v10
	s_mov_b32 s0, 0
	s_branch .LBB286_22
.LBB286_21:                             ;   in Loop: Header=BB286_22 Depth=1
	v_add_nc_u32_e32 v9, 32, v9
	v_add_nc_u32_e32 v29, 0x340, v29
	;; [unrolled: 1-line block ×3, first 2 shown]
	s_delay_alu instid0(VALU_DEP_3) | instskip(SKIP_1) | instid1(SALU_CYCLE_1)
	v_cmp_ge_i32_e32 vcc_lo, v9, v33
	s_or_b32 s0, vcc_lo, s0
	s_and_not1_b32 exec_lo, exec_lo, s0
	s_cbranch_execz .LBB286_26
.LBB286_22:                             ; =>This Loop Header: Depth=1
                                        ;     Child Loop BB286_24 Depth 2
	v_ashrrev_i32_e32 v10, 31, v9
	v_dual_mov_b32 v26, v12 :: v_dual_mov_b32 v25, v11
	v_dual_mov_b32 v28, v14 :: v_dual_mov_b32 v27, v13
	s_delay_alu instid0(VALU_DEP_3) | instskip(SKIP_2) | instid1(VALU_DEP_2)
	v_lshlrev_b64 v[21:22], 2, v[9:10]
	v_dual_mov_b32 v24, v16 :: v_dual_mov_b32 v23, v15
	s_mov_b32 s4, 0
	v_add_co_u32 v21, vcc_lo, s6, v21
	s_delay_alu instid0(VALU_DEP_3) | instskip(SKIP_4) | instid1(VALU_DEP_1)
	v_add_co_ci_u32_e32 v22, vcc_lo, s7, v22, vcc_lo
	global_load_b32 v10, v[21:22], off
	v_dual_mov_b32 v22, v18 :: v_dual_mov_b32 v21, v17
	s_waitcnt vmcnt(0)
	v_subrev_nc_u32_e32 v10, s12, v10
	v_mul_lo_u32 v10, v10, 13
	s_branch .LBB286_24
.LBB286_23:                             ;   in Loop: Header=BB286_22 Depth=1
                                        ; implicit-def: $vgpr21_vgpr22
                                        ; implicit-def: $vgpr23_vgpr24
                                        ; implicit-def: $vgpr27_vgpr28
                                        ; implicit-def: $vgpr25_vgpr26
                                        ; implicit-def: $sgpr4
	s_branch .LBB286_21
.LBB286_24:                             ;   Parent Loop BB286_22 Depth=1
                                        ; =>  This Inner Loop Header: Depth=2
	v_dual_mov_b32 v12, v20 :: v_dual_add_nc_u32 v19, s4, v30
	v_add_nc_u32_e32 v31, s4, v29
	s_cmp_eq_u32 s4, 12
	s_delay_alu instid0(VALU_DEP_2) | instskip(NEXT) | instid1(VALU_DEP_4)
	v_lshlrev_b64 v[13:14], 4, v[19:20]
	v_add_nc_u32_e32 v19, s4, v10
	s_delay_alu instid0(VALU_DEP_3) | instskip(NEXT) | instid1(VALU_DEP_2)
	v_add_nc_u32_e32 v11, 13, v31
	v_lshlrev_b64 v[15:16], 4, v[19:20]
	s_delay_alu instid0(VALU_DEP_2) | instskip(SKIP_2) | instid1(VALU_DEP_4)
	v_lshlrev_b64 v[11:12], 4, v[11:12]
	v_add_co_u32 v13, vcc_lo, s8, v13
	v_add_co_ci_u32_e32 v14, vcc_lo, s9, v14, vcc_lo
	v_add_co_u32 v15, vcc_lo, s10, v15
	v_add_co_ci_u32_e32 v16, vcc_lo, s11, v16, vcc_lo
	;; [unrolled: 2-line block ×3, first 2 shown]
	global_load_b128 v[11:14], v[13:14], off
	global_load_b128 v[15:18], v[15:16], off
	;; [unrolled: 1-line block ×3, first 2 shown]
	s_waitcnt vmcnt(1)
	v_fma_f64 v[27:28], v[11:12], v[15:16], v[27:28]
	v_fma_f64 v[25:26], v[13:14], v[15:16], v[25:26]
	s_waitcnt vmcnt(0)
	v_fma_f64 v[23:24], v[34:35], v[15:16], v[23:24]
	v_fma_f64 v[21:22], v[36:37], v[15:16], v[21:22]
	s_delay_alu instid0(VALU_DEP_4) | instskip(NEXT) | instid1(VALU_DEP_4)
	v_fma_f64 v[13:14], -v[13:14], v[17:18], v[27:28]
	v_fma_f64 v[11:12], v[11:12], v[17:18], v[25:26]
	s_delay_alu instid0(VALU_DEP_4) | instskip(NEXT) | instid1(VALU_DEP_4)
	v_fma_f64 v[15:16], -v[36:37], v[17:18], v[23:24]
	v_fma_f64 v[17:18], v[34:35], v[17:18], v[21:22]
	s_cbranch_scc1 .LBB286_23
; %bb.25:                               ;   in Loop: Header=BB286_24 Depth=2
	v_dual_mov_b32 v22, v20 :: v_dual_add_nc_u32 v21, 1, v31
	v_dual_mov_b32 v24, v20 :: v_dual_add_nc_u32 v23, 1, v19
	;; [unrolled: 1-line block ×3, first 2 shown]
	s_delay_alu instid0(VALU_DEP_3) | instskip(SKIP_1) | instid1(VALU_DEP_4)
	v_lshlrev_b64 v[21:22], 4, v[21:22]
	v_dual_mov_b32 v39, v20 :: v_dual_add_nc_u32 v38, 2, v31
	v_lshlrev_b64 v[23:24], 4, v[23:24]
	s_delay_alu instid0(VALU_DEP_4)
	v_lshlrev_b64 v[25:26], 4, v[25:26]
	v_dual_mov_b32 v41, v20 :: v_dual_add_nc_u32 v40, 2, v19
	v_add_co_u32 v21, vcc_lo, s8, v21
	v_add_co_ci_u32_e32 v22, vcc_lo, s9, v22, vcc_lo
	v_add_co_u32 v27, vcc_lo, s10, v23
	v_add_co_ci_u32_e32 v28, vcc_lo, s11, v24, vcc_lo
	;; [unrolled: 2-line block ×3, first 2 shown]
	global_load_b128 v[21:24], v[21:22], off
	global_load_b128 v[25:28], v[27:28], off
	;; [unrolled: 1-line block ×3, first 2 shown]
	v_lshlrev_b64 v[38:39], 4, v[38:39]
	v_lshlrev_b64 v[40:41], 4, v[40:41]
	v_add_nc_u32_e32 v19, 3, v19
	s_add_i32 s4, s4, 4
	s_delay_alu instid0(VALU_DEP_3) | instskip(NEXT) | instid1(VALU_DEP_4)
	v_add_co_u32 v50, vcc_lo, s8, v38
	v_add_co_ci_u32_e32 v51, vcc_lo, s9, v39, vcc_lo
	s_delay_alu instid0(VALU_DEP_4)
	v_add_co_u32 v42, vcc_lo, s10, v40
	v_add_co_ci_u32_e32 v43, vcc_lo, s11, v41, vcc_lo
	global_load_b128 v[38:41], v[50:51], off
	global_load_b128 v[42:45], v[42:43], off
	global_load_b128 v[46:49], v[46:47], off offset:16
	v_lshlrev_b64 v[52:53], 4, v[19:20]
	v_add_nc_u32_e32 v19, 16, v31
	s_delay_alu instid0(VALU_DEP_1) | instskip(NEXT) | instid1(VALU_DEP_3)
	v_lshlrev_b64 v[54:55], 4, v[19:20]
	v_add_co_u32 v56, vcc_lo, s10, v52
	s_delay_alu instid0(VALU_DEP_4) | instskip(NEXT) | instid1(VALU_DEP_3)
	v_add_co_ci_u32_e32 v57, vcc_lo, s11, v53, vcc_lo
	v_add_co_u32 v58, vcc_lo, s8, v54
	s_delay_alu instid0(VALU_DEP_4)
	v_add_co_ci_u32_e32 v59, vcc_lo, s9, v55, vcc_lo
	global_load_b128 v[50:53], v[50:51], off offset:16
	global_load_b128 v[54:57], v[56:57], off
	global_load_b128 v[58:61], v[58:59], off
	s_waitcnt vmcnt(7)
	v_fma_f64 v[62:63], v[21:22], v[25:26], v[13:14]
	v_fma_f64 v[64:65], v[23:24], v[25:26], v[11:12]
	s_waitcnt vmcnt(6)
	v_fma_f64 v[66:67], v[34:35], v[25:26], v[15:16]
	v_fma_f64 v[25:26], v[36:37], v[25:26], v[17:18]
	s_delay_alu instid0(VALU_DEP_4) | instskip(NEXT) | instid1(VALU_DEP_4)
	v_fma_f64 v[23:24], -v[23:24], v[27:28], v[62:63]
	v_fma_f64 v[21:22], v[21:22], v[27:28], v[64:65]
	s_delay_alu instid0(VALU_DEP_4) | instskip(NEXT) | instid1(VALU_DEP_4)
	v_fma_f64 v[36:37], -v[36:37], v[27:28], v[66:67]
	v_fma_f64 v[25:26], v[34:35], v[27:28], v[25:26]
	s_waitcnt vmcnt(4)
	s_delay_alu instid0(VALU_DEP_4) | instskip(NEXT) | instid1(VALU_DEP_4)
	v_fma_f64 v[23:24], v[38:39], v[42:43], v[23:24]
	v_fma_f64 v[21:22], v[40:41], v[42:43], v[21:22]
	s_waitcnt vmcnt(3)
	s_delay_alu instid0(VALU_DEP_4) | instskip(NEXT) | instid1(VALU_DEP_4)
	v_fma_f64 v[27:28], v[46:47], v[42:43], v[36:37]
	v_fma_f64 v[25:26], v[48:49], v[42:43], v[25:26]
	s_delay_alu instid0(VALU_DEP_4) | instskip(NEXT) | instid1(VALU_DEP_4)
	v_fma_f64 v[23:24], -v[40:41], v[44:45], v[23:24]
	v_fma_f64 v[21:22], v[38:39], v[44:45], v[21:22]
	s_delay_alu instid0(VALU_DEP_4) | instskip(NEXT) | instid1(VALU_DEP_4)
	v_fma_f64 v[27:28], -v[48:49], v[44:45], v[27:28]
	v_fma_f64 v[25:26], v[46:47], v[44:45], v[25:26]
	s_waitcnt vmcnt(1)
	s_delay_alu instid0(VALU_DEP_4) | instskip(NEXT) | instid1(VALU_DEP_4)
	v_fma_f64 v[23:24], v[50:51], v[54:55], v[23:24]
	v_fma_f64 v[21:22], v[52:53], v[54:55], v[21:22]
	s_waitcnt vmcnt(0)
	s_delay_alu instid0(VALU_DEP_4) | instskip(NEXT) | instid1(VALU_DEP_4)
	v_fma_f64 v[34:35], v[58:59], v[54:55], v[27:28]
	v_fma_f64 v[36:37], v[60:61], v[54:55], v[25:26]
	s_delay_alu instid0(VALU_DEP_4) | instskip(NEXT) | instid1(VALU_DEP_4)
	v_fma_f64 v[27:28], -v[52:53], v[56:57], v[23:24]
	v_fma_f64 v[25:26], v[50:51], v[56:57], v[21:22]
	s_delay_alu instid0(VALU_DEP_4) | instskip(NEXT) | instid1(VALU_DEP_4)
	v_fma_f64 v[23:24], -v[60:61], v[56:57], v[34:35]
	v_fma_f64 v[21:22], v[58:59], v[56:57], v[36:37]
	s_cbranch_execnz .LBB286_24
	s_branch .LBB286_21
.LBB286_26:
	s_or_b32 exec_lo, exec_lo, s0
.LBB286_27:
	s_delay_alu instid0(SALU_CYCLE_1)
	s_or_b32 exec_lo, exec_lo, s1
.LBB286_28:
	v_mbcnt_lo_u32_b32 v25, -1, 0
	s_delay_alu instid0(VALU_DEP_1) | instskip(NEXT) | instid1(VALU_DEP_1)
	v_xor_b32_e32 v9, 16, v25
	v_cmp_gt_i32_e32 vcc_lo, 32, v9
	v_cndmask_b32_e32 v9, v25, v9, vcc_lo
	s_delay_alu instid0(VALU_DEP_1)
	v_lshlrev_b32_e32 v24, 2, v9
	ds_bpermute_b32 v9, v24, v13
	ds_bpermute_b32 v10, v24, v14
	;; [unrolled: 1-line block ×8, first 2 shown]
	s_waitcnt lgkmcnt(6)
	v_add_f64 v[9:10], v[13:14], v[9:10]
	s_waitcnt lgkmcnt(4)
	v_add_f64 v[11:12], v[11:12], v[19:20]
	;; [unrolled: 2-line block ×4, first 2 shown]
	v_xor_b32_e32 v17, 8, v25
	s_delay_alu instid0(VALU_DEP_1) | instskip(SKIP_1) | instid1(VALU_DEP_1)
	v_cmp_gt_i32_e32 vcc_lo, 32, v17
	v_cndmask_b32_e32 v17, v25, v17, vcc_lo
	v_lshlrev_b32_e32 v24, 2, v17
	ds_bpermute_b32 v17, v24, v9
	ds_bpermute_b32 v18, v24, v10
	;; [unrolled: 1-line block ×8, first 2 shown]
	s_waitcnt lgkmcnt(6)
	v_add_f64 v[9:10], v[9:10], v[17:18]
	v_xor_b32_e32 v17, 4, v25
	s_waitcnt lgkmcnt(4)
	v_add_f64 v[11:12], v[11:12], v[19:20]
	s_waitcnt lgkmcnt(2)
	v_add_f64 v[13:14], v[13:14], v[21:22]
	;; [unrolled: 2-line block ×3, first 2 shown]
	v_cmp_gt_i32_e32 vcc_lo, 32, v17
	v_cndmask_b32_e32 v17, v25, v17, vcc_lo
	s_delay_alu instid0(VALU_DEP_1)
	v_lshlrev_b32_e32 v24, 2, v17
	ds_bpermute_b32 v17, v24, v9
	ds_bpermute_b32 v18, v24, v10
	;; [unrolled: 1-line block ×8, first 2 shown]
	s_waitcnt lgkmcnt(6)
	v_add_f64 v[9:10], v[9:10], v[17:18]
	s_waitcnt lgkmcnt(4)
	v_add_f64 v[11:12], v[11:12], v[19:20]
	;; [unrolled: 2-line block ×4, first 2 shown]
	v_xor_b32_e32 v15, 2, v25
	s_delay_alu instid0(VALU_DEP_1) | instskip(SKIP_1) | instid1(VALU_DEP_1)
	v_cmp_gt_i32_e32 vcc_lo, 32, v15
	v_cndmask_b32_e32 v15, v25, v15, vcc_lo
	v_lshlrev_b32_e32 v24, 2, v15
	ds_bpermute_b32 v15, v24, v9
	ds_bpermute_b32 v16, v24, v10
	;; [unrolled: 1-line block ×8, first 2 shown]
	s_waitcnt lgkmcnt(6)
	v_add_f64 v[9:10], v[9:10], v[15:16]
	s_waitcnt lgkmcnt(4)
	v_add_f64 v[15:16], v[11:12], v[19:20]
	;; [unrolled: 2-line block ×4, first 2 shown]
	v_xor_b32_e32 v17, 1, v25
	s_delay_alu instid0(VALU_DEP_1) | instskip(SKIP_2) | instid1(VALU_DEP_2)
	v_cmp_gt_i32_e32 vcc_lo, 32, v17
	v_cndmask_b32_e32 v17, v25, v17, vcc_lo
	v_cmp_eq_u32_e32 vcc_lo, 31, v32
	v_lshlrev_b32_e32 v20, 2, v17
	ds_bpermute_b32 v23, v20, v9
	ds_bpermute_b32 v24, v20, v10
	;; [unrolled: 1-line block ×8, first 2 shown]
	s_and_b32 exec_lo, exec_lo, vcc_lo
	s_cbranch_execz .LBB286_33
; %bb.29:
	v_cmp_eq_f64_e32 vcc_lo, 0, v[4:5]
	v_cmp_eq_f64_e64 s0, 0, v[6:7]
	s_waitcnt lgkmcnt(6)
	v_add_f64 v[9:10], v[9:10], v[23:24]
	s_waitcnt lgkmcnt(4)
	v_add_f64 v[15:16], v[15:16], v[21:22]
	;; [unrolled: 2-line block ×4, first 2 shown]
	s_load_b64 s[2:3], s[2:3], 0x48
	s_and_b32 s0, vcc_lo, s0
	s_delay_alu instid0(SALU_CYCLE_1) | instskip(NEXT) | instid1(SALU_CYCLE_1)
	s_and_saveexec_b32 s1, s0
	s_xor_b32 s0, exec_lo, s1
	s_cbranch_execz .LBB286_31
; %bb.30:
	s_delay_alu instid0(VALU_DEP_3) | instskip(SKIP_1) | instid1(VALU_DEP_3)
	v_mul_f64 v[4:5], v[15:16], -v[2:3]
	v_mul_f64 v[6:7], v[0:1], v[15:16]
	v_mul_f64 v[15:16], v[13:14], -v[2:3]
	v_mul_f64 v[13:14], v[0:1], v[13:14]
	v_lshlrev_b32_e32 v8, 1, v8
	v_fma_f64 v[4:5], v[0:1], v[9:10], v[4:5]
	v_fma_f64 v[6:7], v[2:3], v[9:10], v[6:7]
	;; [unrolled: 1-line block ×4, first 2 shown]
	v_ashrrev_i32_e32 v9, 31, v8
                                        ; implicit-def: $vgpr15_vgpr16
                                        ; implicit-def: $vgpr11_vgpr12
                                        ; implicit-def: $vgpr13_vgpr14
	s_delay_alu instid0(VALU_DEP_1) | instskip(SKIP_1) | instid1(VALU_DEP_1)
	v_lshlrev_b64 v[8:9], 4, v[8:9]
	s_waitcnt lgkmcnt(0)
	v_add_co_u32 v8, vcc_lo, s2, v8
	s_delay_alu instid0(VALU_DEP_2)
	v_add_co_ci_u32_e32 v9, vcc_lo, s3, v9, vcc_lo
	s_clause 0x1
	global_store_b128 v[8:9], v[4:7], off
	global_store_b128 v[8:9], v[0:3], off offset:16
                                        ; implicit-def: $vgpr0_vgpr1
                                        ; implicit-def: $vgpr2_vgpr3
                                        ; implicit-def: $vgpr4_vgpr5
                                        ; implicit-def: $vgpr6_vgpr7
                                        ; implicit-def: $vgpr8
                                        ; implicit-def: $vgpr9_vgpr10
.LBB286_31:
	s_and_not1_saveexec_b32 s0, s0
	s_cbranch_execz .LBB286_33
; %bb.32:
	v_lshlrev_b32_e32 v17, 1, v8
	s_delay_alu instid0(VALU_DEP_4) | instskip(SKIP_1) | instid1(VALU_DEP_4)
	v_mul_f64 v[27:28], v[15:16], -v[2:3]
	v_mul_f64 v[15:16], v[0:1], v[15:16]
	v_mul_f64 v[29:30], v[13:14], -v[2:3]
	v_mul_f64 v[13:14], v[0:1], v[13:14]
	v_ashrrev_i32_e32 v18, 31, v17
	s_delay_alu instid0(VALU_DEP_1) | instskip(SKIP_1) | instid1(VALU_DEP_1)
	v_lshlrev_b64 v[17:18], 4, v[17:18]
	s_waitcnt lgkmcnt(0)
	v_add_co_u32 v25, vcc_lo, s2, v17
	s_delay_alu instid0(VALU_DEP_2)
	v_add_co_ci_u32_e32 v26, vcc_lo, s3, v18, vcc_lo
	s_clause 0x1
	global_load_b128 v[17:20], v[25:26], off
	global_load_b128 v[21:24], v[25:26], off offset:16
	v_fma_f64 v[27:28], v[0:1], v[9:10], v[27:28]
	v_fma_f64 v[8:9], v[2:3], v[9:10], v[15:16]
	;; [unrolled: 1-line block ×4, first 2 shown]
	s_waitcnt vmcnt(1)
	s_delay_alu instid0(VALU_DEP_4) | instskip(NEXT) | instid1(VALU_DEP_4)
	v_fma_f64 v[10:11], v[4:5], v[17:18], v[27:28]
	v_fma_f64 v[8:9], v[6:7], v[17:18], v[8:9]
	s_waitcnt vmcnt(0)
	s_delay_alu instid0(VALU_DEP_4) | instskip(NEXT) | instid1(VALU_DEP_4)
	v_fma_f64 v[12:13], v[4:5], v[21:22], v[0:1]
	v_fma_f64 v[14:15], v[6:7], v[21:22], v[2:3]
	s_delay_alu instid0(VALU_DEP_4) | instskip(NEXT) | instid1(VALU_DEP_4)
	v_fma_f64 v[0:1], -v[6:7], v[19:20], v[10:11]
	v_fma_f64 v[2:3], v[4:5], v[19:20], v[8:9]
	s_delay_alu instid0(VALU_DEP_4) | instskip(NEXT) | instid1(VALU_DEP_4)
	v_fma_f64 v[6:7], -v[6:7], v[23:24], v[12:13]
	v_fma_f64 v[8:9], v[4:5], v[23:24], v[14:15]
	s_clause 0x1
	global_store_b128 v[25:26], v[0:3], off
	global_store_b128 v[25:26], v[6:9], off offset:16
.LBB286_33:
	s_nop 0
	s_sendmsg sendmsg(MSG_DEALLOC_VGPRS)
	s_endpgm
	.section	.rodata,"a",@progbits
	.p2align	6, 0x0
	.amdhsa_kernel _ZN9rocsparseL19gebsrmvn_2xn_kernelILj128ELj13ELj32E21rocsparse_complex_numIdEEEvi20rocsparse_direction_NS_24const_host_device_scalarIT2_EEPKiS8_PKS5_SA_S6_PS5_21rocsparse_index_base_b
		.amdhsa_group_segment_fixed_size 2048
		.amdhsa_private_segment_fixed_size 0
		.amdhsa_kernarg_size 88
		.amdhsa_user_sgpr_count 15
		.amdhsa_user_sgpr_dispatch_ptr 1
		.amdhsa_user_sgpr_queue_ptr 0
		.amdhsa_user_sgpr_kernarg_segment_ptr 1
		.amdhsa_user_sgpr_dispatch_id 0
		.amdhsa_user_sgpr_private_segment_size 0
		.amdhsa_wavefront_size32 1
		.amdhsa_uses_dynamic_stack 0
		.amdhsa_enable_private_segment 0
		.amdhsa_system_sgpr_workgroup_id_x 1
		.amdhsa_system_sgpr_workgroup_id_y 0
		.amdhsa_system_sgpr_workgroup_id_z 0
		.amdhsa_system_sgpr_workgroup_info 0
		.amdhsa_system_vgpr_workitem_id 2
		.amdhsa_next_free_vgpr 70
		.amdhsa_next_free_sgpr 18
		.amdhsa_reserve_vcc 1
		.amdhsa_float_round_mode_32 0
		.amdhsa_float_round_mode_16_64 0
		.amdhsa_float_denorm_mode_32 3
		.amdhsa_float_denorm_mode_16_64 3
		.amdhsa_dx10_clamp 1
		.amdhsa_ieee_mode 1
		.amdhsa_fp16_overflow 0
		.amdhsa_workgroup_processor_mode 1
		.amdhsa_memory_ordered 1
		.amdhsa_forward_progress 0
		.amdhsa_shared_vgpr_count 0
		.amdhsa_exception_fp_ieee_invalid_op 0
		.amdhsa_exception_fp_denorm_src 0
		.amdhsa_exception_fp_ieee_div_zero 0
		.amdhsa_exception_fp_ieee_overflow 0
		.amdhsa_exception_fp_ieee_underflow 0
		.amdhsa_exception_fp_ieee_inexact 0
		.amdhsa_exception_int_div_zero 0
	.end_amdhsa_kernel
	.section	.text._ZN9rocsparseL19gebsrmvn_2xn_kernelILj128ELj13ELj32E21rocsparse_complex_numIdEEEvi20rocsparse_direction_NS_24const_host_device_scalarIT2_EEPKiS8_PKS5_SA_S6_PS5_21rocsparse_index_base_b,"axG",@progbits,_ZN9rocsparseL19gebsrmvn_2xn_kernelILj128ELj13ELj32E21rocsparse_complex_numIdEEEvi20rocsparse_direction_NS_24const_host_device_scalarIT2_EEPKiS8_PKS5_SA_S6_PS5_21rocsparse_index_base_b,comdat
.Lfunc_end286:
	.size	_ZN9rocsparseL19gebsrmvn_2xn_kernelILj128ELj13ELj32E21rocsparse_complex_numIdEEEvi20rocsparse_direction_NS_24const_host_device_scalarIT2_EEPKiS8_PKS5_SA_S6_PS5_21rocsparse_index_base_b, .Lfunc_end286-_ZN9rocsparseL19gebsrmvn_2xn_kernelILj128ELj13ELj32E21rocsparse_complex_numIdEEEvi20rocsparse_direction_NS_24const_host_device_scalarIT2_EEPKiS8_PKS5_SA_S6_PS5_21rocsparse_index_base_b
                                        ; -- End function
	.section	.AMDGPU.csdata,"",@progbits
; Kernel info:
; codeLenInByte = 3596
; NumSgprs: 20
; NumVgprs: 70
; ScratchSize: 0
; MemoryBound: 0
; FloatMode: 240
; IeeeMode: 1
; LDSByteSize: 2048 bytes/workgroup (compile time only)
; SGPRBlocks: 2
; VGPRBlocks: 8
; NumSGPRsForWavesPerEU: 20
; NumVGPRsForWavesPerEU: 70
; Occupancy: 16
; WaveLimiterHint : 1
; COMPUTE_PGM_RSRC2:SCRATCH_EN: 0
; COMPUTE_PGM_RSRC2:USER_SGPR: 15
; COMPUTE_PGM_RSRC2:TRAP_HANDLER: 0
; COMPUTE_PGM_RSRC2:TGID_X_EN: 1
; COMPUTE_PGM_RSRC2:TGID_Y_EN: 0
; COMPUTE_PGM_RSRC2:TGID_Z_EN: 0
; COMPUTE_PGM_RSRC2:TIDIG_COMP_CNT: 2
	.section	.text._ZN9rocsparseL19gebsrmvn_2xn_kernelILj128ELj13ELj64E21rocsparse_complex_numIdEEEvi20rocsparse_direction_NS_24const_host_device_scalarIT2_EEPKiS8_PKS5_SA_S6_PS5_21rocsparse_index_base_b,"axG",@progbits,_ZN9rocsparseL19gebsrmvn_2xn_kernelILj128ELj13ELj64E21rocsparse_complex_numIdEEEvi20rocsparse_direction_NS_24const_host_device_scalarIT2_EEPKiS8_PKS5_SA_S6_PS5_21rocsparse_index_base_b,comdat
	.globl	_ZN9rocsparseL19gebsrmvn_2xn_kernelILj128ELj13ELj64E21rocsparse_complex_numIdEEEvi20rocsparse_direction_NS_24const_host_device_scalarIT2_EEPKiS8_PKS5_SA_S6_PS5_21rocsparse_index_base_b ; -- Begin function _ZN9rocsparseL19gebsrmvn_2xn_kernelILj128ELj13ELj64E21rocsparse_complex_numIdEEEvi20rocsparse_direction_NS_24const_host_device_scalarIT2_EEPKiS8_PKS5_SA_S6_PS5_21rocsparse_index_base_b
	.p2align	8
	.type	_ZN9rocsparseL19gebsrmvn_2xn_kernelILj128ELj13ELj64E21rocsparse_complex_numIdEEEvi20rocsparse_direction_NS_24const_host_device_scalarIT2_EEPKiS8_PKS5_SA_S6_PS5_21rocsparse_index_base_b,@function
_ZN9rocsparseL19gebsrmvn_2xn_kernelILj128ELj13ELj64E21rocsparse_complex_numIdEEEvi20rocsparse_direction_NS_24const_host_device_scalarIT2_EEPKiS8_PKS5_SA_S6_PS5_21rocsparse_index_base_b: ; @_ZN9rocsparseL19gebsrmvn_2xn_kernelILj128ELj13ELj64E21rocsparse_complex_numIdEEEvi20rocsparse_direction_NS_24const_host_device_scalarIT2_EEPKiS8_PKS5_SA_S6_PS5_21rocsparse_index_base_b
; %bb.0:
	s_load_b64 s[12:13], s[2:3], 0x50
	s_load_b64 s[16:17], s[0:1], 0x4
	s_load_b128 s[8:11], s[2:3], 0x8
	v_bfe_u32 v1, v0, 10, 10
	s_mov_b64 s[0:1], src_shared_base
	s_load_b128 s[4:7], s[2:3], 0x38
	v_and_b32_e32 v12, 0x3ff, v0
	v_bfe_u32 v0, v0, 20, 10
	s_waitcnt lgkmcnt(0)
	s_bitcmp1_b32 s13, 0
	v_mul_u32_u24_e32 v1, s17, v1
	s_cselect_b32 s0, -1, 0
	s_delay_alu instid0(SALU_CYCLE_1)
	s_and_b32 vcc_lo, s0, exec_lo
	s_cselect_b32 s13, s1, s9
	s_lshr_b32 s14, s16, 16
	v_dual_mov_b32 v2, s4 :: v_dual_mov_b32 v3, s5
	s_mul_i32 s14, s14, s17
	v_mov_b32_e32 v6, s13
	v_mad_u32_u24 v1, s14, v12, v1
	s_delay_alu instid0(VALU_DEP_1) | instskip(SKIP_1) | instid1(VALU_DEP_2)
	v_add_lshl_u32 v4, v1, v0, 3
	v_dual_mov_b32 v0, s8 :: v_dual_mov_b32 v1, s9
	v_add_nc_u32_e32 v5, 0x400, v4
	ds_store_2addr_stride64_b64 v4, v[2:3], v[0:1] offset1:2
	v_dual_mov_b32 v2, s10 :: v_dual_mov_b32 v3, s11
	v_cndmask_b32_e64 v5, s8, v5, s0
	s_xor_b32 s10, s0, -1
	flat_load_b64 v[0:1], v[5:6]
	s_cbranch_vccnz .LBB287_2
; %bb.1:
	v_dual_mov_b32 v2, s8 :: v_dual_mov_b32 v3, s9
	flat_load_b64 v[2:3], v[2:3] offset:8
.LBB287_2:
	s_and_b32 s8, s0, exec_lo
	s_cselect_b32 s1, s1, s5
	v_cndmask_b32_e64 v4, s4, v4, s0
	v_dual_mov_b32 v5, s1 :: v_dual_mov_b32 v6, s6
	v_mov_b32_e32 v7, s7
	s_and_not1_b32 vcc_lo, exec_lo, s10
	flat_load_b64 v[4:5], v[4:5]
	s_cbranch_vccnz .LBB287_4
; %bb.3:
	v_dual_mov_b32 v7, s5 :: v_dual_mov_b32 v6, s4
	flat_load_b64 v[6:7], v[6:7] offset:8
.LBB287_4:
	s_waitcnt vmcnt(1) lgkmcnt(1)
	v_cmp_eq_f64_e32 vcc_lo, 0, v[0:1]
	v_cmp_eq_f64_e64 s0, 0, v[2:3]
	s_delay_alu instid0(VALU_DEP_1)
	s_and_b32 s4, vcc_lo, s0
	s_mov_b32 s0, -1
	s_and_saveexec_b32 s1, s4
	s_cbranch_execz .LBB287_6
; %bb.5:
	s_waitcnt vmcnt(0) lgkmcnt(0)
	v_cmp_neq_f64_e32 vcc_lo, 1.0, v[4:5]
	v_cmp_neq_f64_e64 s0, 0, v[6:7]
	s_delay_alu instid0(VALU_DEP_1) | instskip(NEXT) | instid1(SALU_CYCLE_1)
	s_or_b32 s0, vcc_lo, s0
	s_or_not1_b32 s0, s0, exec_lo
.LBB287_6:
	s_or_b32 exec_lo, exec_lo, s1
	s_and_saveexec_b32 s1, s0
	s_cbranch_execz .LBB287_33
; %bb.7:
	s_load_b64 s[0:1], s[2:3], 0x0
	v_lshrrev_b32_e32 v8, 6, v12
	s_delay_alu instid0(VALU_DEP_1) | instskip(SKIP_1) | instid1(VALU_DEP_1)
	v_lshl_or_b32 v8, s15, 1, v8
	s_waitcnt lgkmcnt(0)
	v_cmp_gt_i32_e32 vcc_lo, s0, v8
	s_and_b32 exec_lo, exec_lo, vcc_lo
	s_cbranch_execz .LBB287_33
; %bb.8:
	s_load_b256 s[4:11], s[2:3], 0x18
	v_ashrrev_i32_e32 v9, 31, v8
	v_and_b32_e32 v32, 63, v12
	s_cmp_lg_u32 s1, 0
	s_delay_alu instid0(VALU_DEP_2) | instskip(SKIP_1) | instid1(VALU_DEP_1)
	v_lshlrev_b64 v[9:10], 2, v[8:9]
	s_waitcnt lgkmcnt(0)
	v_add_co_u32 v9, vcc_lo, s4, v9
	s_delay_alu instid0(VALU_DEP_2) | instskip(SKIP_4) | instid1(VALU_DEP_2)
	v_add_co_ci_u32_e32 v10, vcc_lo, s5, v10, vcc_lo
	global_load_b64 v[10:11], v[9:10], off
	s_waitcnt vmcnt(0)
	v_subrev_nc_u32_e32 v9, s12, v10
	v_subrev_nc_u32_e32 v33, s12, v11
	v_add_nc_u32_e32 v9, v9, v32
	s_delay_alu instid0(VALU_DEP_1)
	v_cmp_lt_i32_e64 s0, v9, v33
	s_cbranch_scc0 .LBB287_16
; %bb.9:
	v_mov_b32_e32 v11, 0
	v_mov_b32_e32 v12, 0
	s_delay_alu instid0(VALU_DEP_1)
	v_dual_mov_b32 v14, v12 :: v_dual_mov_b32 v13, v11
	v_dual_mov_b32 v16, v12 :: v_dual_mov_b32 v15, v11
	v_dual_mov_b32 v18, v12 :: v_dual_mov_b32 v17, v11
	s_and_saveexec_b32 s1, s0
	s_cbranch_execz .LBB287_18
; %bb.10:
	v_mul_lo_u32 v13, v10, 26
	v_dual_mov_b32 v11, 0 :: v_dual_mov_b32 v20, 0
	v_dual_mov_b32 v12, 0 :: v_dual_mov_b32 v21, v9
	v_mul_lo_u32 v34, v9, 26
	s_mul_i32 s4, s12, 26
	s_delay_alu instid0(VALU_DEP_2) | instskip(SKIP_2) | instid1(VALU_DEP_2)
	v_dual_mov_b32 v16, v12 :: v_dual_mov_b32 v15, v11
	v_mad_u32_u24 v17, v32, 26, v13
	v_dual_mov_b32 v14, v12 :: v_dual_mov_b32 v13, v11
	v_subrev_nc_u32_e32 v35, s4, v17
	v_dual_mov_b32 v18, v12 :: v_dual_mov_b32 v17, v11
	s_mov_b32 s4, 0
	s_branch .LBB287_12
.LBB287_11:                             ;   in Loop: Header=BB287_12 Depth=1
	v_add_nc_u32_e32 v21, 64, v21
	v_add_nc_u32_e32 v34, 0x680, v34
	;; [unrolled: 1-line block ×3, first 2 shown]
	s_delay_alu instid0(VALU_DEP_3) | instskip(SKIP_1) | instid1(SALU_CYCLE_1)
	v_cmp_ge_i32_e32 vcc_lo, v21, v33
	s_or_b32 s4, vcc_lo, s4
	s_and_not1_b32 exec_lo, exec_lo, s4
	s_cbranch_execz .LBB287_17
.LBB287_12:                             ; =>This Loop Header: Depth=1
                                        ;     Child Loop BB287_14 Depth 2
	v_ashrrev_i32_e32 v22, 31, v21
	v_dual_mov_b32 v29, v12 :: v_dual_mov_b32 v28, v11
	v_dual_mov_b32 v31, v14 :: v_dual_mov_b32 v30, v13
	s_delay_alu instid0(VALU_DEP_3) | instskip(SKIP_3) | instid1(VALU_DEP_3)
	v_lshlrev_b64 v[22:23], 2, v[21:22]
	v_dual_mov_b32 v27, v16 :: v_dual_mov_b32 v26, v15
	v_dual_mov_b32 v25, v18 :: v_dual_mov_b32 v24, v17
	s_mov_b32 s5, 0
	v_add_co_u32 v22, vcc_lo, s6, v22
	s_delay_alu instid0(VALU_DEP_4) | instskip(SKIP_3) | instid1(VALU_DEP_1)
	v_add_co_ci_u32_e32 v23, vcc_lo, s7, v23, vcc_lo
	global_load_b32 v19, v[22:23], off
	s_waitcnt vmcnt(0)
	v_subrev_nc_u32_e32 v19, s12, v19
	v_mul_lo_u32 v22, v19, 13
	s_branch .LBB287_14
.LBB287_13:                             ;   in Loop: Header=BB287_12 Depth=1
                                        ; implicit-def: $vgpr24_vgpr25
                                        ; implicit-def: $vgpr26_vgpr27
                                        ; implicit-def: $vgpr30_vgpr31
                                        ; implicit-def: $vgpr28_vgpr29
                                        ; implicit-def: $sgpr5
                                        ; implicit-def: $vgpr22
	s_branch .LBB287_11
.LBB287_14:                             ;   Parent Loop BB287_12 Depth=1
                                        ; =>  This Inner Loop Header: Depth=2
	v_add_nc_u32_e32 v19, s5, v35
	v_mov_b32_e32 v23, v20
	s_cmp_eq_u32 s5, 24
	s_delay_alu instid0(VALU_DEP_2) | instskip(NEXT) | instid1(VALU_DEP_2)
	v_lshlrev_b64 v[11:12], 4, v[19:20]
	v_lshlrev_b64 v[13:14], 4, v[22:23]
	s_delay_alu instid0(VALU_DEP_2) | instskip(NEXT) | instid1(VALU_DEP_3)
	v_add_co_u32 v36, vcc_lo, s8, v11
	v_add_co_ci_u32_e32 v37, vcc_lo, s9, v12, vcc_lo
	s_delay_alu instid0(VALU_DEP_3) | instskip(NEXT) | instid1(VALU_DEP_4)
	v_add_co_u32 v15, vcc_lo, s10, v13
	v_add_co_ci_u32_e32 v16, vcc_lo, s11, v14, vcc_lo
	global_load_b128 v[11:14], v[36:37], off
	global_load_b128 v[15:18], v[15:16], off
	global_load_b128 v[36:39], v[36:37], off offset:16
	s_waitcnt vmcnt(1)
	v_fma_f64 v[30:31], v[11:12], v[15:16], v[30:31]
	v_fma_f64 v[28:29], v[13:14], v[15:16], v[28:29]
	s_waitcnt vmcnt(0)
	v_fma_f64 v[26:27], v[36:37], v[15:16], v[26:27]
	v_fma_f64 v[23:24], v[38:39], v[15:16], v[24:25]
	s_delay_alu instid0(VALU_DEP_4) | instskip(NEXT) | instid1(VALU_DEP_4)
	v_fma_f64 v[13:14], -v[13:14], v[17:18], v[30:31]
	v_fma_f64 v[11:12], v[11:12], v[17:18], v[28:29]
	s_delay_alu instid0(VALU_DEP_4) | instskip(NEXT) | instid1(VALU_DEP_4)
	v_fma_f64 v[15:16], -v[38:39], v[17:18], v[26:27]
	v_fma_f64 v[17:18], v[36:37], v[17:18], v[23:24]
	s_cbranch_scc1 .LBB287_13
; %bb.15:                               ;   in Loop: Header=BB287_14 Depth=2
	v_add_nc_u32_e32 v31, s5, v34
	s_add_i32 s5, s5, 8
	s_delay_alu instid0(VALU_DEP_1) | instskip(NEXT) | instid1(VALU_DEP_1)
	v_add_nc_u32_e32 v19, 2, v31
	v_lshlrev_b64 v[23:24], 4, v[19:20]
	v_add_nc_u32_e32 v19, 1, v22
	s_delay_alu instid0(VALU_DEP_1) | instskip(NEXT) | instid1(VALU_DEP_3)
	v_lshlrev_b64 v[25:26], 4, v[19:20]
	v_add_co_u32 v36, vcc_lo, s8, v23
	s_delay_alu instid0(VALU_DEP_4) | instskip(SKIP_1) | instid1(VALU_DEP_4)
	v_add_co_ci_u32_e32 v37, vcc_lo, s9, v24, vcc_lo
	v_add_nc_u32_e32 v19, 4, v31
	v_add_co_u32 v27, vcc_lo, s10, v25
	v_add_co_ci_u32_e32 v28, vcc_lo, s11, v26, vcc_lo
	s_delay_alu instid0(VALU_DEP_3)
	v_lshlrev_b64 v[40:41], 4, v[19:20]
	global_load_b128 v[23:26], v[36:37], off
	global_load_b128 v[27:30], v[27:28], off
	global_load_b128 v[36:39], v[36:37], off offset:16
	v_add_nc_u32_e32 v19, 2, v22
	v_add_co_u32 v48, vcc_lo, s8, v40
	s_delay_alu instid0(VALU_DEP_2) | instskip(SKIP_2) | instid1(VALU_DEP_3)
	v_lshlrev_b64 v[42:43], 4, v[19:20]
	v_add_co_ci_u32_e32 v49, vcc_lo, s9, v41, vcc_lo
	v_add_nc_u32_e32 v19, 6, v31
	v_add_co_u32 v44, vcc_lo, s10, v42
	s_delay_alu instid0(VALU_DEP_4)
	v_add_co_ci_u32_e32 v45, vcc_lo, s11, v43, vcc_lo
	global_load_b128 v[40:43], v[48:49], off
	global_load_b128 v[44:47], v[44:45], off
	global_load_b128 v[48:51], v[48:49], off offset:16
	v_lshlrev_b64 v[52:53], 4, v[19:20]
	v_add_nc_u32_e32 v19, 3, v22
	v_add_nc_u32_e32 v22, 4, v22
	s_delay_alu instid0(VALU_DEP_2) | instskip(NEXT) | instid1(VALU_DEP_4)
	v_lshlrev_b64 v[54:55], 4, v[19:20]
	v_add_co_u32 v60, vcc_lo, s8, v52
	v_add_co_ci_u32_e32 v61, vcc_lo, s9, v53, vcc_lo
	s_delay_alu instid0(VALU_DEP_3) | instskip(NEXT) | instid1(VALU_DEP_4)
	v_add_co_u32 v56, vcc_lo, s10, v54
	v_add_co_ci_u32_e32 v57, vcc_lo, s11, v55, vcc_lo
	global_load_b128 v[52:55], v[60:61], off
	global_load_b128 v[56:59], v[56:57], off
	global_load_b128 v[60:63], v[60:61], off offset:16
	s_waitcnt vmcnt(7)
	v_fma_f64 v[64:65], v[23:24], v[27:28], v[13:14]
	v_fma_f64 v[66:67], v[25:26], v[27:28], v[11:12]
	s_waitcnt vmcnt(6)
	v_fma_f64 v[68:69], v[36:37], v[27:28], v[15:16]
	v_fma_f64 v[27:28], v[38:39], v[27:28], v[17:18]
	s_delay_alu instid0(VALU_DEP_4) | instskip(NEXT) | instid1(VALU_DEP_4)
	v_fma_f64 v[25:26], -v[25:26], v[29:30], v[64:65]
	v_fma_f64 v[23:24], v[23:24], v[29:30], v[66:67]
	s_delay_alu instid0(VALU_DEP_4) | instskip(NEXT) | instid1(VALU_DEP_4)
	v_fma_f64 v[38:39], -v[38:39], v[29:30], v[68:69]
	v_fma_f64 v[27:28], v[36:37], v[29:30], v[27:28]
	s_waitcnt vmcnt(4)
	s_delay_alu instid0(VALU_DEP_4) | instskip(NEXT) | instid1(VALU_DEP_4)
	v_fma_f64 v[25:26], v[40:41], v[44:45], v[25:26]
	v_fma_f64 v[23:24], v[42:43], v[44:45], v[23:24]
	s_waitcnt vmcnt(3)
	s_delay_alu instid0(VALU_DEP_4) | instskip(NEXT) | instid1(VALU_DEP_4)
	v_fma_f64 v[29:30], v[48:49], v[44:45], v[38:39]
	v_fma_f64 v[27:28], v[50:51], v[44:45], v[27:28]
	s_delay_alu instid0(VALU_DEP_4) | instskip(NEXT) | instid1(VALU_DEP_4)
	v_fma_f64 v[25:26], -v[42:43], v[46:47], v[25:26]
	v_fma_f64 v[23:24], v[40:41], v[46:47], v[23:24]
	s_delay_alu instid0(VALU_DEP_4) | instskip(NEXT) | instid1(VALU_DEP_4)
	v_fma_f64 v[29:30], -v[50:51], v[46:47], v[29:30]
	v_fma_f64 v[27:28], v[48:49], v[46:47], v[27:28]
	s_waitcnt vmcnt(1)
	s_delay_alu instid0(VALU_DEP_4) | instskip(NEXT) | instid1(VALU_DEP_4)
	v_fma_f64 v[25:26], v[52:53], v[56:57], v[25:26]
	v_fma_f64 v[23:24], v[54:55], v[56:57], v[23:24]
	s_waitcnt vmcnt(0)
	s_delay_alu instid0(VALU_DEP_4) | instskip(NEXT) | instid1(VALU_DEP_4)
	v_fma_f64 v[36:37], v[60:61], v[56:57], v[29:30]
	v_fma_f64 v[38:39], v[62:63], v[56:57], v[27:28]
	s_delay_alu instid0(VALU_DEP_4) | instskip(NEXT) | instid1(VALU_DEP_4)
	v_fma_f64 v[30:31], -v[54:55], v[58:59], v[25:26]
	v_fma_f64 v[28:29], v[52:53], v[58:59], v[23:24]
	s_delay_alu instid0(VALU_DEP_4) | instskip(NEXT) | instid1(VALU_DEP_4)
	v_fma_f64 v[26:27], -v[62:63], v[58:59], v[36:37]
	v_fma_f64 v[24:25], v[60:61], v[58:59], v[38:39]
	s_cbranch_execnz .LBB287_14
	s_branch .LBB287_11
.LBB287_16:
                                        ; implicit-def: $vgpr11_vgpr12
                                        ; implicit-def: $vgpr13_vgpr14
                                        ; implicit-def: $vgpr15_vgpr16
                                        ; implicit-def: $vgpr17_vgpr18
	s_branch .LBB287_19
.LBB287_17:
	s_or_b32 exec_lo, exec_lo, s4
.LBB287_18:
	s_delay_alu instid0(SALU_CYCLE_1)
	s_or_b32 exec_lo, exec_lo, s1
	s_cbranch_execnz .LBB287_28
.LBB287_19:
	v_mov_b32_e32 v11, 0
	v_mov_b32_e32 v12, 0
	s_delay_alu instid0(VALU_DEP_1)
	v_dual_mov_b32 v14, v12 :: v_dual_mov_b32 v13, v11
	v_dual_mov_b32 v16, v12 :: v_dual_mov_b32 v15, v11
	;; [unrolled: 1-line block ×3, first 2 shown]
	s_and_saveexec_b32 s1, s0
	s_cbranch_execz .LBB287_27
; %bb.20:
	v_mul_lo_u32 v10, v10, 26
	v_dual_mov_b32 v11, 0 :: v_dual_mov_b32 v20, 0
	v_mov_b32_e32 v12, 0
	v_mul_lo_u32 v29, v9, 26
	s_mul_i32 s0, s12, 26
	s_delay_alu instid0(VALU_DEP_2) | instskip(SKIP_3) | instid1(VALU_DEP_3)
	v_dual_mov_b32 v14, v12 :: v_dual_mov_b32 v13, v11
	v_mad_u32_u24 v10, v32, 26, v10
	v_dual_mov_b32 v16, v12 :: v_dual_mov_b32 v15, v11
	v_dual_mov_b32 v18, v12 :: v_dual_mov_b32 v17, v11
	v_subrev_nc_u32_e32 v30, s0, v10
	s_mov_b32 s0, 0
	s_branch .LBB287_22
.LBB287_21:                             ;   in Loop: Header=BB287_22 Depth=1
	v_add_nc_u32_e32 v9, 64, v9
	v_add_nc_u32_e32 v29, 0x680, v29
	;; [unrolled: 1-line block ×3, first 2 shown]
	s_delay_alu instid0(VALU_DEP_3) | instskip(SKIP_1) | instid1(SALU_CYCLE_1)
	v_cmp_ge_i32_e32 vcc_lo, v9, v33
	s_or_b32 s0, vcc_lo, s0
	s_and_not1_b32 exec_lo, exec_lo, s0
	s_cbranch_execz .LBB287_26
.LBB287_22:                             ; =>This Loop Header: Depth=1
                                        ;     Child Loop BB287_24 Depth 2
	v_ashrrev_i32_e32 v10, 31, v9
	v_dual_mov_b32 v26, v12 :: v_dual_mov_b32 v25, v11
	v_dual_mov_b32 v28, v14 :: v_dual_mov_b32 v27, v13
	s_delay_alu instid0(VALU_DEP_3) | instskip(SKIP_2) | instid1(VALU_DEP_2)
	v_lshlrev_b64 v[21:22], 2, v[9:10]
	v_dual_mov_b32 v24, v16 :: v_dual_mov_b32 v23, v15
	s_mov_b32 s4, 0
	v_add_co_u32 v21, vcc_lo, s6, v21
	s_delay_alu instid0(VALU_DEP_3) | instskip(SKIP_4) | instid1(VALU_DEP_1)
	v_add_co_ci_u32_e32 v22, vcc_lo, s7, v22, vcc_lo
	global_load_b32 v10, v[21:22], off
	v_dual_mov_b32 v22, v18 :: v_dual_mov_b32 v21, v17
	s_waitcnt vmcnt(0)
	v_subrev_nc_u32_e32 v10, s12, v10
	v_mul_lo_u32 v10, v10, 13
	s_branch .LBB287_24
.LBB287_23:                             ;   in Loop: Header=BB287_22 Depth=1
                                        ; implicit-def: $vgpr21_vgpr22
                                        ; implicit-def: $vgpr23_vgpr24
                                        ; implicit-def: $vgpr27_vgpr28
                                        ; implicit-def: $vgpr25_vgpr26
                                        ; implicit-def: $sgpr4
	s_branch .LBB287_21
.LBB287_24:                             ;   Parent Loop BB287_22 Depth=1
                                        ; =>  This Inner Loop Header: Depth=2
	v_dual_mov_b32 v12, v20 :: v_dual_add_nc_u32 v19, s4, v30
	v_add_nc_u32_e32 v31, s4, v29
	s_cmp_eq_u32 s4, 12
	s_delay_alu instid0(VALU_DEP_2) | instskip(NEXT) | instid1(VALU_DEP_4)
	v_lshlrev_b64 v[13:14], 4, v[19:20]
	v_add_nc_u32_e32 v19, s4, v10
	s_delay_alu instid0(VALU_DEP_3) | instskip(NEXT) | instid1(VALU_DEP_2)
	v_add_nc_u32_e32 v11, 13, v31
	v_lshlrev_b64 v[15:16], 4, v[19:20]
	s_delay_alu instid0(VALU_DEP_2) | instskip(SKIP_2) | instid1(VALU_DEP_4)
	v_lshlrev_b64 v[11:12], 4, v[11:12]
	v_add_co_u32 v13, vcc_lo, s8, v13
	v_add_co_ci_u32_e32 v14, vcc_lo, s9, v14, vcc_lo
	v_add_co_u32 v15, vcc_lo, s10, v15
	v_add_co_ci_u32_e32 v16, vcc_lo, s11, v16, vcc_lo
	;; [unrolled: 2-line block ×3, first 2 shown]
	global_load_b128 v[11:14], v[13:14], off
	global_load_b128 v[15:18], v[15:16], off
	;; [unrolled: 1-line block ×3, first 2 shown]
	s_waitcnt vmcnt(1)
	v_fma_f64 v[27:28], v[11:12], v[15:16], v[27:28]
	v_fma_f64 v[25:26], v[13:14], v[15:16], v[25:26]
	s_waitcnt vmcnt(0)
	v_fma_f64 v[23:24], v[34:35], v[15:16], v[23:24]
	v_fma_f64 v[21:22], v[36:37], v[15:16], v[21:22]
	s_delay_alu instid0(VALU_DEP_4) | instskip(NEXT) | instid1(VALU_DEP_4)
	v_fma_f64 v[13:14], -v[13:14], v[17:18], v[27:28]
	v_fma_f64 v[11:12], v[11:12], v[17:18], v[25:26]
	s_delay_alu instid0(VALU_DEP_4) | instskip(NEXT) | instid1(VALU_DEP_4)
	v_fma_f64 v[15:16], -v[36:37], v[17:18], v[23:24]
	v_fma_f64 v[17:18], v[34:35], v[17:18], v[21:22]
	s_cbranch_scc1 .LBB287_23
; %bb.25:                               ;   in Loop: Header=BB287_24 Depth=2
	v_dual_mov_b32 v22, v20 :: v_dual_add_nc_u32 v21, 1, v31
	v_dual_mov_b32 v24, v20 :: v_dual_add_nc_u32 v23, 1, v19
	;; [unrolled: 1-line block ×3, first 2 shown]
	s_delay_alu instid0(VALU_DEP_3) | instskip(SKIP_1) | instid1(VALU_DEP_4)
	v_lshlrev_b64 v[21:22], 4, v[21:22]
	v_dual_mov_b32 v39, v20 :: v_dual_add_nc_u32 v38, 2, v31
	v_lshlrev_b64 v[23:24], 4, v[23:24]
	s_delay_alu instid0(VALU_DEP_4)
	v_lshlrev_b64 v[25:26], 4, v[25:26]
	v_dual_mov_b32 v41, v20 :: v_dual_add_nc_u32 v40, 2, v19
	v_add_co_u32 v21, vcc_lo, s8, v21
	v_add_co_ci_u32_e32 v22, vcc_lo, s9, v22, vcc_lo
	v_add_co_u32 v27, vcc_lo, s10, v23
	v_add_co_ci_u32_e32 v28, vcc_lo, s11, v24, vcc_lo
	v_add_co_u32 v46, vcc_lo, s8, v25
	v_add_co_ci_u32_e32 v47, vcc_lo, s9, v26, vcc_lo
	global_load_b128 v[21:24], v[21:22], off
	global_load_b128 v[25:28], v[27:28], off
	global_load_b128 v[34:37], v[46:47], off
	v_lshlrev_b64 v[38:39], 4, v[38:39]
	v_lshlrev_b64 v[40:41], 4, v[40:41]
	v_add_nc_u32_e32 v19, 3, v19
	s_add_i32 s4, s4, 4
	s_delay_alu instid0(VALU_DEP_3) | instskip(NEXT) | instid1(VALU_DEP_4)
	v_add_co_u32 v50, vcc_lo, s8, v38
	v_add_co_ci_u32_e32 v51, vcc_lo, s9, v39, vcc_lo
	s_delay_alu instid0(VALU_DEP_4)
	v_add_co_u32 v42, vcc_lo, s10, v40
	v_add_co_ci_u32_e32 v43, vcc_lo, s11, v41, vcc_lo
	global_load_b128 v[38:41], v[50:51], off
	global_load_b128 v[42:45], v[42:43], off
	global_load_b128 v[46:49], v[46:47], off offset:16
	v_lshlrev_b64 v[52:53], 4, v[19:20]
	v_add_nc_u32_e32 v19, 16, v31
	s_delay_alu instid0(VALU_DEP_1) | instskip(NEXT) | instid1(VALU_DEP_3)
	v_lshlrev_b64 v[54:55], 4, v[19:20]
	v_add_co_u32 v56, vcc_lo, s10, v52
	s_delay_alu instid0(VALU_DEP_4) | instskip(NEXT) | instid1(VALU_DEP_3)
	v_add_co_ci_u32_e32 v57, vcc_lo, s11, v53, vcc_lo
	v_add_co_u32 v58, vcc_lo, s8, v54
	s_delay_alu instid0(VALU_DEP_4)
	v_add_co_ci_u32_e32 v59, vcc_lo, s9, v55, vcc_lo
	global_load_b128 v[50:53], v[50:51], off offset:16
	global_load_b128 v[54:57], v[56:57], off
	global_load_b128 v[58:61], v[58:59], off
	s_waitcnt vmcnt(7)
	v_fma_f64 v[62:63], v[21:22], v[25:26], v[13:14]
	v_fma_f64 v[64:65], v[23:24], v[25:26], v[11:12]
	s_waitcnt vmcnt(6)
	v_fma_f64 v[66:67], v[34:35], v[25:26], v[15:16]
	v_fma_f64 v[25:26], v[36:37], v[25:26], v[17:18]
	s_delay_alu instid0(VALU_DEP_4) | instskip(NEXT) | instid1(VALU_DEP_4)
	v_fma_f64 v[23:24], -v[23:24], v[27:28], v[62:63]
	v_fma_f64 v[21:22], v[21:22], v[27:28], v[64:65]
	s_delay_alu instid0(VALU_DEP_4) | instskip(NEXT) | instid1(VALU_DEP_4)
	v_fma_f64 v[36:37], -v[36:37], v[27:28], v[66:67]
	v_fma_f64 v[25:26], v[34:35], v[27:28], v[25:26]
	s_waitcnt vmcnt(4)
	s_delay_alu instid0(VALU_DEP_4) | instskip(NEXT) | instid1(VALU_DEP_4)
	v_fma_f64 v[23:24], v[38:39], v[42:43], v[23:24]
	v_fma_f64 v[21:22], v[40:41], v[42:43], v[21:22]
	s_waitcnt vmcnt(3)
	s_delay_alu instid0(VALU_DEP_4) | instskip(NEXT) | instid1(VALU_DEP_4)
	v_fma_f64 v[27:28], v[46:47], v[42:43], v[36:37]
	v_fma_f64 v[25:26], v[48:49], v[42:43], v[25:26]
	s_delay_alu instid0(VALU_DEP_4) | instskip(NEXT) | instid1(VALU_DEP_4)
	v_fma_f64 v[23:24], -v[40:41], v[44:45], v[23:24]
	v_fma_f64 v[21:22], v[38:39], v[44:45], v[21:22]
	s_delay_alu instid0(VALU_DEP_4) | instskip(NEXT) | instid1(VALU_DEP_4)
	v_fma_f64 v[27:28], -v[48:49], v[44:45], v[27:28]
	v_fma_f64 v[25:26], v[46:47], v[44:45], v[25:26]
	s_waitcnt vmcnt(1)
	s_delay_alu instid0(VALU_DEP_4) | instskip(NEXT) | instid1(VALU_DEP_4)
	v_fma_f64 v[23:24], v[50:51], v[54:55], v[23:24]
	v_fma_f64 v[21:22], v[52:53], v[54:55], v[21:22]
	s_waitcnt vmcnt(0)
	s_delay_alu instid0(VALU_DEP_4) | instskip(NEXT) | instid1(VALU_DEP_4)
	v_fma_f64 v[34:35], v[58:59], v[54:55], v[27:28]
	v_fma_f64 v[36:37], v[60:61], v[54:55], v[25:26]
	s_delay_alu instid0(VALU_DEP_4) | instskip(NEXT) | instid1(VALU_DEP_4)
	v_fma_f64 v[27:28], -v[52:53], v[56:57], v[23:24]
	v_fma_f64 v[25:26], v[50:51], v[56:57], v[21:22]
	s_delay_alu instid0(VALU_DEP_4) | instskip(NEXT) | instid1(VALU_DEP_4)
	v_fma_f64 v[23:24], -v[60:61], v[56:57], v[34:35]
	v_fma_f64 v[21:22], v[58:59], v[56:57], v[36:37]
	s_cbranch_execnz .LBB287_24
	s_branch .LBB287_21
.LBB287_26:
	s_or_b32 exec_lo, exec_lo, s0
.LBB287_27:
	s_delay_alu instid0(SALU_CYCLE_1)
	s_or_b32 exec_lo, exec_lo, s1
.LBB287_28:
	v_mbcnt_lo_u32_b32 v25, -1, 0
	s_delay_alu instid0(VALU_DEP_1) | instskip(NEXT) | instid1(VALU_DEP_1)
	v_or_b32_e32 v9, 32, v25
	v_cmp_gt_i32_e32 vcc_lo, 32, v9
	v_cndmask_b32_e32 v9, v25, v9, vcc_lo
	s_delay_alu instid0(VALU_DEP_1)
	v_lshlrev_b32_e32 v24, 2, v9
	ds_bpermute_b32 v9, v24, v13
	ds_bpermute_b32 v10, v24, v14
	;; [unrolled: 1-line block ×8, first 2 shown]
	s_waitcnt lgkmcnt(6)
	v_add_f64 v[9:10], v[13:14], v[9:10]
	s_waitcnt lgkmcnt(4)
	v_add_f64 v[11:12], v[11:12], v[19:20]
	;; [unrolled: 2-line block ×4, first 2 shown]
	v_xor_b32_e32 v17, 16, v25
	s_delay_alu instid0(VALU_DEP_1) | instskip(SKIP_1) | instid1(VALU_DEP_1)
	v_cmp_gt_i32_e32 vcc_lo, 32, v17
	v_cndmask_b32_e32 v17, v25, v17, vcc_lo
	v_lshlrev_b32_e32 v24, 2, v17
	ds_bpermute_b32 v17, v24, v9
	ds_bpermute_b32 v18, v24, v10
	ds_bpermute_b32 v19, v24, v11
	ds_bpermute_b32 v20, v24, v12
	ds_bpermute_b32 v21, v24, v13
	ds_bpermute_b32 v22, v24, v14
	ds_bpermute_b32 v23, v24, v15
	ds_bpermute_b32 v24, v24, v16
	s_waitcnt lgkmcnt(6)
	v_add_f64 v[9:10], v[9:10], v[17:18]
	v_xor_b32_e32 v17, 8, v25
	s_waitcnt lgkmcnt(4)
	v_add_f64 v[11:12], v[11:12], v[19:20]
	s_waitcnt lgkmcnt(2)
	v_add_f64 v[13:14], v[13:14], v[21:22]
	;; [unrolled: 2-line block ×3, first 2 shown]
	v_cmp_gt_i32_e32 vcc_lo, 32, v17
	v_cndmask_b32_e32 v17, v25, v17, vcc_lo
	s_delay_alu instid0(VALU_DEP_1)
	v_lshlrev_b32_e32 v24, 2, v17
	ds_bpermute_b32 v17, v24, v9
	ds_bpermute_b32 v18, v24, v10
	;; [unrolled: 1-line block ×8, first 2 shown]
	s_waitcnt lgkmcnt(6)
	v_add_f64 v[9:10], v[9:10], v[17:18]
	v_xor_b32_e32 v17, 4, v25
	s_waitcnt lgkmcnt(4)
	v_add_f64 v[11:12], v[11:12], v[19:20]
	s_waitcnt lgkmcnt(2)
	v_add_f64 v[13:14], v[13:14], v[21:22]
	;; [unrolled: 2-line block ×3, first 2 shown]
	v_cmp_gt_i32_e32 vcc_lo, 32, v17
	v_cndmask_b32_e32 v17, v25, v17, vcc_lo
	s_delay_alu instid0(VALU_DEP_1)
	v_lshlrev_b32_e32 v24, 2, v17
	ds_bpermute_b32 v17, v24, v9
	ds_bpermute_b32 v18, v24, v10
	;; [unrolled: 1-line block ×8, first 2 shown]
	s_waitcnt lgkmcnt(6)
	v_add_f64 v[9:10], v[9:10], v[17:18]
	s_waitcnt lgkmcnt(4)
	v_add_f64 v[11:12], v[11:12], v[19:20]
	;; [unrolled: 2-line block ×4, first 2 shown]
	v_xor_b32_e32 v15, 2, v25
	s_delay_alu instid0(VALU_DEP_1) | instskip(SKIP_1) | instid1(VALU_DEP_1)
	v_cmp_gt_i32_e32 vcc_lo, 32, v15
	v_cndmask_b32_e32 v15, v25, v15, vcc_lo
	v_lshlrev_b32_e32 v24, 2, v15
	ds_bpermute_b32 v15, v24, v9
	ds_bpermute_b32 v16, v24, v10
	;; [unrolled: 1-line block ×8, first 2 shown]
	s_waitcnt lgkmcnt(6)
	v_add_f64 v[9:10], v[9:10], v[15:16]
	s_waitcnt lgkmcnt(4)
	v_add_f64 v[15:16], v[11:12], v[19:20]
	;; [unrolled: 2-line block ×4, first 2 shown]
	v_xor_b32_e32 v17, 1, v25
	s_delay_alu instid0(VALU_DEP_1) | instskip(SKIP_2) | instid1(VALU_DEP_2)
	v_cmp_gt_i32_e32 vcc_lo, 32, v17
	v_cndmask_b32_e32 v17, v25, v17, vcc_lo
	v_cmp_eq_u32_e32 vcc_lo, 63, v32
	v_lshlrev_b32_e32 v20, 2, v17
	ds_bpermute_b32 v23, v20, v9
	ds_bpermute_b32 v24, v20, v10
	;; [unrolled: 1-line block ×8, first 2 shown]
	s_and_b32 exec_lo, exec_lo, vcc_lo
	s_cbranch_execz .LBB287_33
; %bb.29:
	v_cmp_eq_f64_e32 vcc_lo, 0, v[4:5]
	v_cmp_eq_f64_e64 s0, 0, v[6:7]
	s_waitcnt lgkmcnt(6)
	v_add_f64 v[9:10], v[9:10], v[23:24]
	s_waitcnt lgkmcnt(4)
	v_add_f64 v[15:16], v[15:16], v[21:22]
	s_waitcnt lgkmcnt(2)
	v_add_f64 v[11:12], v[11:12], v[17:18]
	s_waitcnt lgkmcnt(0)
	v_add_f64 v[13:14], v[13:14], v[19:20]
	s_load_b64 s[2:3], s[2:3], 0x48
	s_and_b32 s0, vcc_lo, s0
	s_delay_alu instid0(SALU_CYCLE_1) | instskip(NEXT) | instid1(SALU_CYCLE_1)
	s_and_saveexec_b32 s1, s0
	s_xor_b32 s0, exec_lo, s1
	s_cbranch_execz .LBB287_31
; %bb.30:
	s_delay_alu instid0(VALU_DEP_3) | instskip(SKIP_1) | instid1(VALU_DEP_3)
	v_mul_f64 v[4:5], v[15:16], -v[2:3]
	v_mul_f64 v[6:7], v[0:1], v[15:16]
	v_mul_f64 v[15:16], v[13:14], -v[2:3]
	v_mul_f64 v[13:14], v[0:1], v[13:14]
	v_lshlrev_b32_e32 v8, 1, v8
	v_fma_f64 v[4:5], v[0:1], v[9:10], v[4:5]
	v_fma_f64 v[6:7], v[2:3], v[9:10], v[6:7]
	v_fma_f64 v[0:1], v[0:1], v[11:12], v[15:16]
	v_fma_f64 v[2:3], v[2:3], v[11:12], v[13:14]
	v_ashrrev_i32_e32 v9, 31, v8
                                        ; implicit-def: $vgpr15_vgpr16
                                        ; implicit-def: $vgpr11_vgpr12
                                        ; implicit-def: $vgpr13_vgpr14
	s_delay_alu instid0(VALU_DEP_1) | instskip(SKIP_1) | instid1(VALU_DEP_1)
	v_lshlrev_b64 v[8:9], 4, v[8:9]
	s_waitcnt lgkmcnt(0)
	v_add_co_u32 v8, vcc_lo, s2, v8
	s_delay_alu instid0(VALU_DEP_2)
	v_add_co_ci_u32_e32 v9, vcc_lo, s3, v9, vcc_lo
	s_clause 0x1
	global_store_b128 v[8:9], v[4:7], off
	global_store_b128 v[8:9], v[0:3], off offset:16
                                        ; implicit-def: $vgpr0_vgpr1
                                        ; implicit-def: $vgpr2_vgpr3
                                        ; implicit-def: $vgpr4_vgpr5
                                        ; implicit-def: $vgpr6_vgpr7
                                        ; implicit-def: $vgpr8
                                        ; implicit-def: $vgpr9_vgpr10
.LBB287_31:
	s_and_not1_saveexec_b32 s0, s0
	s_cbranch_execz .LBB287_33
; %bb.32:
	v_lshlrev_b32_e32 v17, 1, v8
	s_delay_alu instid0(VALU_DEP_4) | instskip(SKIP_1) | instid1(VALU_DEP_4)
	v_mul_f64 v[27:28], v[15:16], -v[2:3]
	v_mul_f64 v[15:16], v[0:1], v[15:16]
	v_mul_f64 v[29:30], v[13:14], -v[2:3]
	v_mul_f64 v[13:14], v[0:1], v[13:14]
	v_ashrrev_i32_e32 v18, 31, v17
	s_delay_alu instid0(VALU_DEP_1) | instskip(SKIP_1) | instid1(VALU_DEP_1)
	v_lshlrev_b64 v[17:18], 4, v[17:18]
	s_waitcnt lgkmcnt(0)
	v_add_co_u32 v25, vcc_lo, s2, v17
	s_delay_alu instid0(VALU_DEP_2)
	v_add_co_ci_u32_e32 v26, vcc_lo, s3, v18, vcc_lo
	s_clause 0x1
	global_load_b128 v[17:20], v[25:26], off
	global_load_b128 v[21:24], v[25:26], off offset:16
	v_fma_f64 v[27:28], v[0:1], v[9:10], v[27:28]
	v_fma_f64 v[8:9], v[2:3], v[9:10], v[15:16]
	;; [unrolled: 1-line block ×4, first 2 shown]
	s_waitcnt vmcnt(1)
	s_delay_alu instid0(VALU_DEP_4) | instskip(NEXT) | instid1(VALU_DEP_4)
	v_fma_f64 v[10:11], v[4:5], v[17:18], v[27:28]
	v_fma_f64 v[8:9], v[6:7], v[17:18], v[8:9]
	s_waitcnt vmcnt(0)
	s_delay_alu instid0(VALU_DEP_4) | instskip(NEXT) | instid1(VALU_DEP_4)
	v_fma_f64 v[12:13], v[4:5], v[21:22], v[0:1]
	v_fma_f64 v[14:15], v[6:7], v[21:22], v[2:3]
	s_delay_alu instid0(VALU_DEP_4) | instskip(NEXT) | instid1(VALU_DEP_4)
	v_fma_f64 v[0:1], -v[6:7], v[19:20], v[10:11]
	v_fma_f64 v[2:3], v[4:5], v[19:20], v[8:9]
	s_delay_alu instid0(VALU_DEP_4) | instskip(NEXT) | instid1(VALU_DEP_4)
	v_fma_f64 v[6:7], -v[6:7], v[23:24], v[12:13]
	v_fma_f64 v[8:9], v[4:5], v[23:24], v[14:15]
	s_clause 0x1
	global_store_b128 v[25:26], v[0:3], off
	global_store_b128 v[25:26], v[6:9], off offset:16
.LBB287_33:
	s_nop 0
	s_sendmsg sendmsg(MSG_DEALLOC_VGPRS)
	s_endpgm
	.section	.rodata,"a",@progbits
	.p2align	6, 0x0
	.amdhsa_kernel _ZN9rocsparseL19gebsrmvn_2xn_kernelILj128ELj13ELj64E21rocsparse_complex_numIdEEEvi20rocsparse_direction_NS_24const_host_device_scalarIT2_EEPKiS8_PKS5_SA_S6_PS5_21rocsparse_index_base_b
		.amdhsa_group_segment_fixed_size 2048
		.amdhsa_private_segment_fixed_size 0
		.amdhsa_kernarg_size 88
		.amdhsa_user_sgpr_count 15
		.amdhsa_user_sgpr_dispatch_ptr 1
		.amdhsa_user_sgpr_queue_ptr 0
		.amdhsa_user_sgpr_kernarg_segment_ptr 1
		.amdhsa_user_sgpr_dispatch_id 0
		.amdhsa_user_sgpr_private_segment_size 0
		.amdhsa_wavefront_size32 1
		.amdhsa_uses_dynamic_stack 0
		.amdhsa_enable_private_segment 0
		.amdhsa_system_sgpr_workgroup_id_x 1
		.amdhsa_system_sgpr_workgroup_id_y 0
		.amdhsa_system_sgpr_workgroup_id_z 0
		.amdhsa_system_sgpr_workgroup_info 0
		.amdhsa_system_vgpr_workitem_id 2
		.amdhsa_next_free_vgpr 70
		.amdhsa_next_free_sgpr 18
		.amdhsa_reserve_vcc 1
		.amdhsa_float_round_mode_32 0
		.amdhsa_float_round_mode_16_64 0
		.amdhsa_float_denorm_mode_32 3
		.amdhsa_float_denorm_mode_16_64 3
		.amdhsa_dx10_clamp 1
		.amdhsa_ieee_mode 1
		.amdhsa_fp16_overflow 0
		.amdhsa_workgroup_processor_mode 1
		.amdhsa_memory_ordered 1
		.amdhsa_forward_progress 0
		.amdhsa_shared_vgpr_count 0
		.amdhsa_exception_fp_ieee_invalid_op 0
		.amdhsa_exception_fp_denorm_src 0
		.amdhsa_exception_fp_ieee_div_zero 0
		.amdhsa_exception_fp_ieee_overflow 0
		.amdhsa_exception_fp_ieee_underflow 0
		.amdhsa_exception_fp_ieee_inexact 0
		.amdhsa_exception_int_div_zero 0
	.end_amdhsa_kernel
	.section	.text._ZN9rocsparseL19gebsrmvn_2xn_kernelILj128ELj13ELj64E21rocsparse_complex_numIdEEEvi20rocsparse_direction_NS_24const_host_device_scalarIT2_EEPKiS8_PKS5_SA_S6_PS5_21rocsparse_index_base_b,"axG",@progbits,_ZN9rocsparseL19gebsrmvn_2xn_kernelILj128ELj13ELj64E21rocsparse_complex_numIdEEEvi20rocsparse_direction_NS_24const_host_device_scalarIT2_EEPKiS8_PKS5_SA_S6_PS5_21rocsparse_index_base_b,comdat
.Lfunc_end287:
	.size	_ZN9rocsparseL19gebsrmvn_2xn_kernelILj128ELj13ELj64E21rocsparse_complex_numIdEEEvi20rocsparse_direction_NS_24const_host_device_scalarIT2_EEPKiS8_PKS5_SA_S6_PS5_21rocsparse_index_base_b, .Lfunc_end287-_ZN9rocsparseL19gebsrmvn_2xn_kernelILj128ELj13ELj64E21rocsparse_complex_numIdEEEvi20rocsparse_direction_NS_24const_host_device_scalarIT2_EEPKiS8_PKS5_SA_S6_PS5_21rocsparse_index_base_b
                                        ; -- End function
	.section	.AMDGPU.csdata,"",@progbits
; Kernel info:
; codeLenInByte = 3728
; NumSgprs: 20
; NumVgprs: 70
; ScratchSize: 0
; MemoryBound: 0
; FloatMode: 240
; IeeeMode: 1
; LDSByteSize: 2048 bytes/workgroup (compile time only)
; SGPRBlocks: 2
; VGPRBlocks: 8
; NumSGPRsForWavesPerEU: 20
; NumVGPRsForWavesPerEU: 70
; Occupancy: 16
; WaveLimiterHint : 1
; COMPUTE_PGM_RSRC2:SCRATCH_EN: 0
; COMPUTE_PGM_RSRC2:USER_SGPR: 15
; COMPUTE_PGM_RSRC2:TRAP_HANDLER: 0
; COMPUTE_PGM_RSRC2:TGID_X_EN: 1
; COMPUTE_PGM_RSRC2:TGID_Y_EN: 0
; COMPUTE_PGM_RSRC2:TGID_Z_EN: 0
; COMPUTE_PGM_RSRC2:TIDIG_COMP_CNT: 2
	.section	.text._ZN9rocsparseL19gebsrmvn_2xn_kernelILj128ELj14ELj4E21rocsparse_complex_numIdEEEvi20rocsparse_direction_NS_24const_host_device_scalarIT2_EEPKiS8_PKS5_SA_S6_PS5_21rocsparse_index_base_b,"axG",@progbits,_ZN9rocsparseL19gebsrmvn_2xn_kernelILj128ELj14ELj4E21rocsparse_complex_numIdEEEvi20rocsparse_direction_NS_24const_host_device_scalarIT2_EEPKiS8_PKS5_SA_S6_PS5_21rocsparse_index_base_b,comdat
	.globl	_ZN9rocsparseL19gebsrmvn_2xn_kernelILj128ELj14ELj4E21rocsparse_complex_numIdEEEvi20rocsparse_direction_NS_24const_host_device_scalarIT2_EEPKiS8_PKS5_SA_S6_PS5_21rocsparse_index_base_b ; -- Begin function _ZN9rocsparseL19gebsrmvn_2xn_kernelILj128ELj14ELj4E21rocsparse_complex_numIdEEEvi20rocsparse_direction_NS_24const_host_device_scalarIT2_EEPKiS8_PKS5_SA_S6_PS5_21rocsparse_index_base_b
	.p2align	8
	.type	_ZN9rocsparseL19gebsrmvn_2xn_kernelILj128ELj14ELj4E21rocsparse_complex_numIdEEEvi20rocsparse_direction_NS_24const_host_device_scalarIT2_EEPKiS8_PKS5_SA_S6_PS5_21rocsparse_index_base_b,@function
_ZN9rocsparseL19gebsrmvn_2xn_kernelILj128ELj14ELj4E21rocsparse_complex_numIdEEEvi20rocsparse_direction_NS_24const_host_device_scalarIT2_EEPKiS8_PKS5_SA_S6_PS5_21rocsparse_index_base_b: ; @_ZN9rocsparseL19gebsrmvn_2xn_kernelILj128ELj14ELj4E21rocsparse_complex_numIdEEEvi20rocsparse_direction_NS_24const_host_device_scalarIT2_EEPKiS8_PKS5_SA_S6_PS5_21rocsparse_index_base_b
; %bb.0:
	s_load_b64 s[12:13], s[2:3], 0x50
	s_load_b64 s[16:17], s[0:1], 0x4
	s_load_b128 s[8:11], s[2:3], 0x8
	v_bfe_u32 v1, v0, 10, 10
	s_mov_b64 s[0:1], src_shared_base
	s_load_b128 s[4:7], s[2:3], 0x38
	v_and_b32_e32 v12, 0x3ff, v0
	v_bfe_u32 v0, v0, 20, 10
	s_waitcnt lgkmcnt(0)
	s_bitcmp1_b32 s13, 0
	v_mul_u32_u24_e32 v1, s17, v1
	s_cselect_b32 s0, -1, 0
	s_delay_alu instid0(SALU_CYCLE_1)
	s_and_b32 vcc_lo, s0, exec_lo
	s_cselect_b32 s13, s1, s9
	s_lshr_b32 s14, s16, 16
	v_dual_mov_b32 v2, s4 :: v_dual_mov_b32 v3, s5
	s_mul_i32 s14, s14, s17
	v_mov_b32_e32 v6, s13
	v_mad_u32_u24 v1, s14, v12, v1
	s_delay_alu instid0(VALU_DEP_1) | instskip(SKIP_1) | instid1(VALU_DEP_2)
	v_add_lshl_u32 v4, v1, v0, 3
	v_dual_mov_b32 v0, s8 :: v_dual_mov_b32 v1, s9
	v_add_nc_u32_e32 v5, 0x400, v4
	ds_store_2addr_stride64_b64 v4, v[2:3], v[0:1] offset1:2
	v_dual_mov_b32 v2, s10 :: v_dual_mov_b32 v3, s11
	v_cndmask_b32_e64 v5, s8, v5, s0
	s_xor_b32 s10, s0, -1
	flat_load_b64 v[0:1], v[5:6]
	s_cbranch_vccnz .LBB288_2
; %bb.1:
	v_dual_mov_b32 v2, s8 :: v_dual_mov_b32 v3, s9
	flat_load_b64 v[2:3], v[2:3] offset:8
.LBB288_2:
	s_and_b32 s8, s0, exec_lo
	s_cselect_b32 s1, s1, s5
	v_cndmask_b32_e64 v4, s4, v4, s0
	v_dual_mov_b32 v5, s1 :: v_dual_mov_b32 v6, s6
	v_mov_b32_e32 v7, s7
	s_and_not1_b32 vcc_lo, exec_lo, s10
	flat_load_b64 v[4:5], v[4:5]
	s_cbranch_vccnz .LBB288_4
; %bb.3:
	v_dual_mov_b32 v7, s5 :: v_dual_mov_b32 v6, s4
	flat_load_b64 v[6:7], v[6:7] offset:8
.LBB288_4:
	s_waitcnt vmcnt(1) lgkmcnt(1)
	v_cmp_eq_f64_e32 vcc_lo, 0, v[0:1]
	v_cmp_eq_f64_e64 s0, 0, v[2:3]
	s_delay_alu instid0(VALU_DEP_1)
	s_and_b32 s4, vcc_lo, s0
	s_mov_b32 s0, -1
	s_and_saveexec_b32 s1, s4
	s_cbranch_execz .LBB288_6
; %bb.5:
	s_waitcnt vmcnt(0) lgkmcnt(0)
	v_cmp_neq_f64_e32 vcc_lo, 1.0, v[4:5]
	v_cmp_neq_f64_e64 s0, 0, v[6:7]
	s_delay_alu instid0(VALU_DEP_1) | instskip(NEXT) | instid1(SALU_CYCLE_1)
	s_or_b32 s0, vcc_lo, s0
	s_or_not1_b32 s0, s0, exec_lo
.LBB288_6:
	s_or_b32 exec_lo, exec_lo, s1
	s_and_saveexec_b32 s1, s0
	s_cbranch_execz .LBB288_29
; %bb.7:
	s_load_b64 s[0:1], s[2:3], 0x0
	v_lshrrev_b32_e32 v8, 2, v12
	s_delay_alu instid0(VALU_DEP_1) | instskip(SKIP_1) | instid1(VALU_DEP_1)
	v_lshl_or_b32 v8, s15, 5, v8
	s_waitcnt lgkmcnt(0)
	v_cmp_gt_i32_e32 vcc_lo, s0, v8
	s_and_b32 exec_lo, exec_lo, vcc_lo
	s_cbranch_execz .LBB288_29
; %bb.8:
	s_load_b256 s[4:11], s[2:3], 0x18
	v_ashrrev_i32_e32 v9, 31, v8
	v_and_b32_e32 v25, 3, v12
	s_cmp_lg_u32 s1, 0
	s_delay_alu instid0(VALU_DEP_2) | instskip(SKIP_1) | instid1(VALU_DEP_1)
	v_lshlrev_b64 v[9:10], 2, v[8:9]
	s_waitcnt lgkmcnt(0)
	v_add_co_u32 v9, vcc_lo, s4, v9
	s_delay_alu instid0(VALU_DEP_2) | instskip(SKIP_4) | instid1(VALU_DEP_2)
	v_add_co_ci_u32_e32 v10, vcc_lo, s5, v10, vcc_lo
	global_load_b64 v[10:11], v[9:10], off
	s_waitcnt vmcnt(0)
	v_subrev_nc_u32_e32 v9, s12, v10
	v_subrev_nc_u32_e32 v23, s12, v11
	v_add_nc_u32_e32 v9, v9, v25
	s_delay_alu instid0(VALU_DEP_1)
	v_cmp_lt_i32_e64 s0, v9, v23
	s_cbranch_scc0 .LBB288_16
; %bb.9:
	v_mov_b32_e32 v11, 0
	v_mov_b32_e32 v12, 0
	s_delay_alu instid0(VALU_DEP_1)
	v_dual_mov_b32 v18, v12 :: v_dual_mov_b32 v17, v11
	v_dual_mov_b32 v16, v12 :: v_dual_mov_b32 v15, v11
	;; [unrolled: 1-line block ×3, first 2 shown]
	s_and_saveexec_b32 s1, s0
	s_cbranch_execz .LBB288_15
; %bb.10:
	v_dual_mov_b32 v11, 0 :: v_dual_mov_b32 v20, 0
	v_dual_mov_b32 v12, 0 :: v_dual_mov_b32 v21, v9
	v_mul_lo_u32 v24, v9, 28
	s_mov_b32 s4, 0
	s_delay_alu instid0(VALU_DEP_2)
	v_dual_mov_b32 v18, v12 :: v_dual_mov_b32 v17, v11
	v_dual_mov_b32 v16, v12 :: v_dual_mov_b32 v15, v11
	;; [unrolled: 1-line block ×3, first 2 shown]
.LBB288_11:                             ; =>This Loop Header: Depth=1
                                        ;     Child Loop BB288_12 Depth 2
	v_ashrrev_i32_e32 v22, 31, v21
	s_mov_b32 s5, 0
	s_delay_alu instid0(VALU_DEP_1) | instskip(NEXT) | instid1(VALU_DEP_1)
	v_lshlrev_b64 v[26:27], 2, v[21:22]
	v_add_co_u32 v26, vcc_lo, s6, v26
	s_delay_alu instid0(VALU_DEP_2) | instskip(SKIP_3) | instid1(VALU_DEP_1)
	v_add_co_ci_u32_e32 v27, vcc_lo, s7, v27, vcc_lo
	global_load_b32 v19, v[26:27], off
	s_waitcnt vmcnt(0)
	v_subrev_nc_u32_e32 v19, s12, v19
	v_mul_lo_u32 v22, v19, 14
	v_mov_b32_e32 v19, v24
.LBB288_12:                             ;   Parent Loop BB288_11 Depth=1
                                        ; =>  This Inner Loop Header: Depth=2
	s_delay_alu instid0(VALU_DEP_2) | instskip(NEXT) | instid1(VALU_DEP_2)
	v_dual_mov_b32 v27, v20 :: v_dual_add_nc_u32 v26, s5, v22
	v_lshlrev_b64 v[28:29], 4, v[19:20]
	v_add_nc_u32_e32 v19, 4, v19
	s_add_i32 s5, s5, 2
	s_delay_alu instid0(VALU_DEP_3) | instskip(SKIP_1) | instid1(VALU_DEP_3)
	v_lshlrev_b64 v[26:27], 4, v[26:27]
	s_cmp_eq_u32 s5, 14
	v_add_co_u32 v46, vcc_lo, s8, v28
	v_add_co_ci_u32_e32 v47, vcc_lo, s9, v29, vcc_lo
	s_delay_alu instid0(VALU_DEP_3) | instskip(NEXT) | instid1(VALU_DEP_4)
	v_add_co_u32 v38, vcc_lo, s10, v26
	v_add_co_ci_u32_e32 v39, vcc_lo, s11, v27, vcc_lo
	s_clause 0x1
	global_load_b128 v[26:29], v[46:47], off offset:16
	global_load_b128 v[30:33], v[46:47], off
	s_clause 0x1
	global_load_b128 v[34:37], v[38:39], off
	global_load_b128 v[38:41], v[38:39], off offset:16
	s_clause 0x1
	global_load_b128 v[42:45], v[46:47], off offset:32
	global_load_b128 v[46:49], v[46:47], off offset:48
	s_waitcnt vmcnt(3)
	v_fma_f64 v[17:18], v[30:31], v[34:35], v[17:18]
	v_fma_f64 v[11:12], v[32:33], v[34:35], v[11:12]
	;; [unrolled: 1-line block ×4, first 2 shown]
	s_delay_alu instid0(VALU_DEP_4) | instskip(NEXT) | instid1(VALU_DEP_4)
	v_fma_f64 v[17:18], -v[32:33], v[36:37], v[17:18]
	v_fma_f64 v[11:12], v[30:31], v[36:37], v[11:12]
	s_delay_alu instid0(VALU_DEP_4) | instskip(NEXT) | instid1(VALU_DEP_4)
	v_fma_f64 v[15:16], -v[28:29], v[36:37], v[15:16]
	v_fma_f64 v[13:14], v[26:27], v[36:37], v[13:14]
	s_waitcnt vmcnt(1)
	s_delay_alu instid0(VALU_DEP_4) | instskip(NEXT) | instid1(VALU_DEP_4)
	v_fma_f64 v[17:18], v[42:43], v[38:39], v[17:18]
	v_fma_f64 v[11:12], v[44:45], v[38:39], v[11:12]
	s_waitcnt vmcnt(0)
	s_delay_alu instid0(VALU_DEP_4) | instskip(NEXT) | instid1(VALU_DEP_4)
	v_fma_f64 v[15:16], v[46:47], v[38:39], v[15:16]
	v_fma_f64 v[13:14], v[48:49], v[38:39], v[13:14]
	s_delay_alu instid0(VALU_DEP_4) | instskip(NEXT) | instid1(VALU_DEP_4)
	v_fma_f64 v[17:18], -v[44:45], v[40:41], v[17:18]
	v_fma_f64 v[11:12], v[42:43], v[40:41], v[11:12]
	s_delay_alu instid0(VALU_DEP_4) | instskip(NEXT) | instid1(VALU_DEP_4)
	v_fma_f64 v[15:16], -v[48:49], v[40:41], v[15:16]
	v_fma_f64 v[13:14], v[46:47], v[40:41], v[13:14]
	s_cbranch_scc0 .LBB288_12
; %bb.13:                               ;   in Loop: Header=BB288_11 Depth=1
	v_add_nc_u32_e32 v21, 4, v21
	v_add_nc_u32_e32 v24, 0x70, v24
	s_delay_alu instid0(VALU_DEP_2) | instskip(SKIP_1) | instid1(SALU_CYCLE_1)
	v_cmp_ge_i32_e32 vcc_lo, v21, v23
	s_or_b32 s4, vcc_lo, s4
	s_and_not1_b32 exec_lo, exec_lo, s4
	s_cbranch_execnz .LBB288_11
; %bb.14:
	s_or_b32 exec_lo, exec_lo, s4
.LBB288_15:
	s_delay_alu instid0(SALU_CYCLE_1)
	s_or_b32 exec_lo, exec_lo, s1
	s_cbranch_execz .LBB288_17
	s_branch .LBB288_24
.LBB288_16:
                                        ; implicit-def: $vgpr11_vgpr12
                                        ; implicit-def: $vgpr17_vgpr18
                                        ; implicit-def: $vgpr15_vgpr16
                                        ; implicit-def: $vgpr13_vgpr14
.LBB288_17:
	v_mov_b32_e32 v11, 0
	v_mov_b32_e32 v12, 0
	s_delay_alu instid0(VALU_DEP_1)
	v_dual_mov_b32 v18, v12 :: v_dual_mov_b32 v17, v11
	v_dual_mov_b32 v16, v12 :: v_dual_mov_b32 v15, v11
	;; [unrolled: 1-line block ×3, first 2 shown]
	s_and_saveexec_b32 s1, s0
	s_cbranch_execz .LBB288_23
; %bb.18:
	v_mul_lo_u32 v10, v10, 28
	v_dual_mov_b32 v11, 0 :: v_dual_mov_b32 v20, 0
	v_mov_b32_e32 v12, 0
	v_mul_lo_u32 v21, v9, 28
	s_mul_i32 s0, s12, 28
	s_delay_alu instid0(VALU_DEP_2) | instskip(SKIP_3) | instid1(VALU_DEP_3)
	v_dual_mov_b32 v18, v12 :: v_dual_mov_b32 v17, v11
	v_mad_u32_u24 v10, v25, 28, v10
	v_dual_mov_b32 v16, v12 :: v_dual_mov_b32 v15, v11
	v_dual_mov_b32 v14, v12 :: v_dual_mov_b32 v13, v11
	v_subrev_nc_u32_e32 v22, s0, v10
	s_mov_b32 s0, 0
.LBB288_19:                             ; =>This Loop Header: Depth=1
                                        ;     Child Loop BB288_20 Depth 2
	v_ashrrev_i32_e32 v10, 31, v9
	s_mov_b32 s4, 0
	s_delay_alu instid0(VALU_DEP_1) | instskip(NEXT) | instid1(VALU_DEP_1)
	v_lshlrev_b64 v[26:27], 2, v[9:10]
	v_add_co_u32 v26, vcc_lo, s6, v26
	s_delay_alu instid0(VALU_DEP_2) | instskip(SKIP_3) | instid1(VALU_DEP_1)
	v_add_co_ci_u32_e32 v27, vcc_lo, s7, v27, vcc_lo
	global_load_b32 v10, v[26:27], off
	s_waitcnt vmcnt(0)
	v_subrev_nc_u32_e32 v10, s12, v10
	v_mul_lo_u32 v10, v10, 14
.LBB288_20:                             ;   Parent Loop BB288_19 Depth=1
                                        ; =>  This Inner Loop Header: Depth=2
	v_add_nc_u32_e32 v19, s4, v22
	s_delay_alu instid0(VALU_DEP_1) | instskip(NEXT) | instid1(VALU_DEP_3)
	v_lshlrev_b64 v[26:27], 4, v[19:20]
	v_add_nc_u32_e32 v19, s4, v10
	s_delay_alu instid0(VALU_DEP_1) | instskip(SKIP_1) | instid1(VALU_DEP_4)
	v_lshlrev_b64 v[30:31], 4, v[19:20]
	v_add3_u32 v19, v21, s4, 14
	v_add_co_u32 v32, vcc_lo, s8, v26
	v_add_co_ci_u32_e32 v33, vcc_lo, s9, v27, vcc_lo
	s_delay_alu instid0(VALU_DEP_3)
	v_lshlrev_b64 v[34:35], 4, v[19:20]
	v_add_co_u32 v38, vcc_lo, s10, v30
	v_add_co_ci_u32_e32 v39, vcc_lo, s11, v31, vcc_lo
	global_load_b128 v[26:29], v[32:33], off offset:16
	v_add_co_u32 v46, vcc_lo, s8, v34
	v_add_co_ci_u32_e32 v47, vcc_lo, s9, v35, vcc_lo
	global_load_b128 v[30:33], v[32:33], off
	s_clause 0x1
	global_load_b128 v[34:37], v[38:39], off
	global_load_b128 v[38:41], v[38:39], off offset:16
	s_clause 0x1
	global_load_b128 v[42:45], v[46:47], off
	global_load_b128 v[46:49], v[46:47], off offset:16
	s_add_i32 s4, s4, 2
	s_delay_alu instid0(SALU_CYCLE_1)
	s_cmp_eq_u32 s4, 14
	s_waitcnt vmcnt(3)
	v_fma_f64 v[17:18], v[30:31], v[34:35], v[17:18]
	v_fma_f64 v[11:12], v[32:33], v[34:35], v[11:12]
	s_waitcnt vmcnt(1)
	v_fma_f64 v[15:16], v[42:43], v[34:35], v[15:16]
	v_fma_f64 v[13:14], v[44:45], v[34:35], v[13:14]
	s_delay_alu instid0(VALU_DEP_4) | instskip(NEXT) | instid1(VALU_DEP_4)
	v_fma_f64 v[17:18], -v[32:33], v[36:37], v[17:18]
	v_fma_f64 v[11:12], v[30:31], v[36:37], v[11:12]
	s_delay_alu instid0(VALU_DEP_4) | instskip(NEXT) | instid1(VALU_DEP_4)
	v_fma_f64 v[15:16], -v[44:45], v[36:37], v[15:16]
	v_fma_f64 v[13:14], v[42:43], v[36:37], v[13:14]
	s_delay_alu instid0(VALU_DEP_4) | instskip(NEXT) | instid1(VALU_DEP_4)
	v_fma_f64 v[17:18], v[26:27], v[38:39], v[17:18]
	v_fma_f64 v[11:12], v[28:29], v[38:39], v[11:12]
	s_waitcnt vmcnt(0)
	s_delay_alu instid0(VALU_DEP_4) | instskip(NEXT) | instid1(VALU_DEP_4)
	v_fma_f64 v[15:16], v[46:47], v[38:39], v[15:16]
	v_fma_f64 v[13:14], v[48:49], v[38:39], v[13:14]
	s_delay_alu instid0(VALU_DEP_4) | instskip(NEXT) | instid1(VALU_DEP_4)
	v_fma_f64 v[17:18], -v[28:29], v[40:41], v[17:18]
	v_fma_f64 v[11:12], v[26:27], v[40:41], v[11:12]
	s_delay_alu instid0(VALU_DEP_4) | instskip(NEXT) | instid1(VALU_DEP_4)
	v_fma_f64 v[15:16], -v[48:49], v[40:41], v[15:16]
	v_fma_f64 v[13:14], v[46:47], v[40:41], v[13:14]
	s_cbranch_scc0 .LBB288_20
; %bb.21:                               ;   in Loop: Header=BB288_19 Depth=1
	v_add_nc_u32_e32 v9, 4, v9
	v_add_nc_u32_e32 v21, 0x70, v21
	;; [unrolled: 1-line block ×3, first 2 shown]
	s_delay_alu instid0(VALU_DEP_3) | instskip(SKIP_1) | instid1(SALU_CYCLE_1)
	v_cmp_ge_i32_e32 vcc_lo, v9, v23
	s_or_b32 s0, vcc_lo, s0
	s_and_not1_b32 exec_lo, exec_lo, s0
	s_cbranch_execnz .LBB288_19
; %bb.22:
	s_or_b32 exec_lo, exec_lo, s0
.LBB288_23:
	s_delay_alu instid0(SALU_CYCLE_1)
	s_or_b32 exec_lo, exec_lo, s1
.LBB288_24:
	v_mbcnt_lo_u32_b32 v26, -1, 0
	s_delay_alu instid0(VALU_DEP_1) | instskip(NEXT) | instid1(VALU_DEP_1)
	v_xor_b32_e32 v9, 2, v26
	v_cmp_gt_i32_e32 vcc_lo, 32, v9
	v_cndmask_b32_e32 v9, v26, v9, vcc_lo
	s_delay_alu instid0(VALU_DEP_1)
	v_lshlrev_b32_e32 v24, 2, v9
	ds_bpermute_b32 v9, v24, v17
	ds_bpermute_b32 v10, v24, v18
	;; [unrolled: 1-line block ×6, first 2 shown]
	s_waitcnt lgkmcnt(4)
	v_add_f64 v[9:10], v[17:18], v[9:10]
	s_waitcnt lgkmcnt(2)
	v_add_f64 v[17:18], v[11:12], v[19:20]
	;; [unrolled: 2-line block ×3, first 2 shown]
	v_xor_b32_e32 v15, 1, v26
	s_delay_alu instid0(VALU_DEP_1)
	v_cmp_gt_i32_e32 vcc_lo, 32, v15
	v_cndmask_b32_e32 v15, v26, v15, vcc_lo
	ds_bpermute_b32 v23, v24, v13
	ds_bpermute_b32 v24, v24, v14
	v_cmp_eq_u32_e32 vcc_lo, 3, v25
	v_lshlrev_b32_e32 v22, 2, v15
	s_waitcnt lgkmcnt(0)
	v_add_f64 v[13:14], v[13:14], v[23:24]
	ds_bpermute_b32 v23, v22, v9
	ds_bpermute_b32 v24, v22, v10
	;; [unrolled: 1-line block ×8, first 2 shown]
	s_and_b32 exec_lo, exec_lo, vcc_lo
	s_cbranch_execz .LBB288_29
; %bb.25:
	v_cmp_eq_f64_e32 vcc_lo, 0, v[4:5]
	v_cmp_eq_f64_e64 s0, 0, v[6:7]
	s_waitcnt lgkmcnt(6)
	v_add_f64 v[9:10], v[9:10], v[23:24]
	s_waitcnt lgkmcnt(4)
	v_add_f64 v[15:16], v[17:18], v[15:16]
	;; [unrolled: 2-line block ×4, first 2 shown]
	s_load_b64 s[2:3], s[2:3], 0x48
	s_and_b32 s0, vcc_lo, s0
	s_delay_alu instid0(SALU_CYCLE_1) | instskip(NEXT) | instid1(SALU_CYCLE_1)
	s_and_saveexec_b32 s1, s0
	s_xor_b32 s0, exec_lo, s1
	s_cbranch_execz .LBB288_27
; %bb.26:
	s_delay_alu instid0(VALU_DEP_3) | instskip(SKIP_1) | instid1(VALU_DEP_3)
	v_mul_f64 v[4:5], v[15:16], -v[2:3]
	v_mul_f64 v[6:7], v[0:1], v[15:16]
	v_mul_f64 v[15:16], v[13:14], -v[2:3]
	v_mul_f64 v[13:14], v[0:1], v[13:14]
	v_lshlrev_b32_e32 v8, 1, v8
	v_fma_f64 v[4:5], v[0:1], v[9:10], v[4:5]
	v_fma_f64 v[6:7], v[2:3], v[9:10], v[6:7]
	;; [unrolled: 1-line block ×4, first 2 shown]
	v_ashrrev_i32_e32 v9, 31, v8
                                        ; implicit-def: $vgpr15_vgpr16
                                        ; implicit-def: $vgpr11_vgpr12
                                        ; implicit-def: $vgpr13_vgpr14
	s_delay_alu instid0(VALU_DEP_1) | instskip(SKIP_1) | instid1(VALU_DEP_1)
	v_lshlrev_b64 v[8:9], 4, v[8:9]
	s_waitcnt lgkmcnt(0)
	v_add_co_u32 v8, vcc_lo, s2, v8
	s_delay_alu instid0(VALU_DEP_2)
	v_add_co_ci_u32_e32 v9, vcc_lo, s3, v9, vcc_lo
	s_clause 0x1
	global_store_b128 v[8:9], v[4:7], off
	global_store_b128 v[8:9], v[0:3], off offset:16
                                        ; implicit-def: $vgpr0_vgpr1
                                        ; implicit-def: $vgpr2_vgpr3
                                        ; implicit-def: $vgpr4_vgpr5
                                        ; implicit-def: $vgpr6_vgpr7
                                        ; implicit-def: $vgpr8
                                        ; implicit-def: $vgpr9_vgpr10
.LBB288_27:
	s_and_not1_saveexec_b32 s0, s0
	s_cbranch_execz .LBB288_29
; %bb.28:
	v_lshlrev_b32_e32 v17, 1, v8
	s_delay_alu instid0(VALU_DEP_4) | instskip(SKIP_1) | instid1(VALU_DEP_4)
	v_mul_f64 v[27:28], v[15:16], -v[2:3]
	v_mul_f64 v[15:16], v[0:1], v[15:16]
	v_mul_f64 v[29:30], v[13:14], -v[2:3]
	v_mul_f64 v[13:14], v[0:1], v[13:14]
	v_ashrrev_i32_e32 v18, 31, v17
	s_delay_alu instid0(VALU_DEP_1) | instskip(SKIP_1) | instid1(VALU_DEP_1)
	v_lshlrev_b64 v[17:18], 4, v[17:18]
	s_waitcnt lgkmcnt(0)
	v_add_co_u32 v25, vcc_lo, s2, v17
	s_delay_alu instid0(VALU_DEP_2)
	v_add_co_ci_u32_e32 v26, vcc_lo, s3, v18, vcc_lo
	s_clause 0x1
	global_load_b128 v[17:20], v[25:26], off
	global_load_b128 v[21:24], v[25:26], off offset:16
	v_fma_f64 v[27:28], v[0:1], v[9:10], v[27:28]
	v_fma_f64 v[8:9], v[2:3], v[9:10], v[15:16]
	;; [unrolled: 1-line block ×4, first 2 shown]
	s_waitcnt vmcnt(1)
	s_delay_alu instid0(VALU_DEP_4) | instskip(NEXT) | instid1(VALU_DEP_4)
	v_fma_f64 v[10:11], v[4:5], v[17:18], v[27:28]
	v_fma_f64 v[8:9], v[6:7], v[17:18], v[8:9]
	s_waitcnt vmcnt(0)
	s_delay_alu instid0(VALU_DEP_4) | instskip(NEXT) | instid1(VALU_DEP_4)
	v_fma_f64 v[12:13], v[4:5], v[21:22], v[0:1]
	v_fma_f64 v[14:15], v[6:7], v[21:22], v[2:3]
	s_delay_alu instid0(VALU_DEP_4) | instskip(NEXT) | instid1(VALU_DEP_4)
	v_fma_f64 v[0:1], -v[6:7], v[19:20], v[10:11]
	v_fma_f64 v[2:3], v[4:5], v[19:20], v[8:9]
	s_delay_alu instid0(VALU_DEP_4) | instskip(NEXT) | instid1(VALU_DEP_4)
	v_fma_f64 v[6:7], -v[6:7], v[23:24], v[12:13]
	v_fma_f64 v[8:9], v[4:5], v[23:24], v[14:15]
	s_clause 0x1
	global_store_b128 v[25:26], v[0:3], off
	global_store_b128 v[25:26], v[6:9], off offset:16
.LBB288_29:
	s_nop 0
	s_sendmsg sendmsg(MSG_DEALLOC_VGPRS)
	s_endpgm
	.section	.rodata,"a",@progbits
	.p2align	6, 0x0
	.amdhsa_kernel _ZN9rocsparseL19gebsrmvn_2xn_kernelILj128ELj14ELj4E21rocsparse_complex_numIdEEEvi20rocsparse_direction_NS_24const_host_device_scalarIT2_EEPKiS8_PKS5_SA_S6_PS5_21rocsparse_index_base_b
		.amdhsa_group_segment_fixed_size 2048
		.amdhsa_private_segment_fixed_size 0
		.amdhsa_kernarg_size 88
		.amdhsa_user_sgpr_count 15
		.amdhsa_user_sgpr_dispatch_ptr 1
		.amdhsa_user_sgpr_queue_ptr 0
		.amdhsa_user_sgpr_kernarg_segment_ptr 1
		.amdhsa_user_sgpr_dispatch_id 0
		.amdhsa_user_sgpr_private_segment_size 0
		.amdhsa_wavefront_size32 1
		.amdhsa_uses_dynamic_stack 0
		.amdhsa_enable_private_segment 0
		.amdhsa_system_sgpr_workgroup_id_x 1
		.amdhsa_system_sgpr_workgroup_id_y 0
		.amdhsa_system_sgpr_workgroup_id_z 0
		.amdhsa_system_sgpr_workgroup_info 0
		.amdhsa_system_vgpr_workitem_id 2
		.amdhsa_next_free_vgpr 50
		.amdhsa_next_free_sgpr 18
		.amdhsa_reserve_vcc 1
		.amdhsa_float_round_mode_32 0
		.amdhsa_float_round_mode_16_64 0
		.amdhsa_float_denorm_mode_32 3
		.amdhsa_float_denorm_mode_16_64 3
		.amdhsa_dx10_clamp 1
		.amdhsa_ieee_mode 1
		.amdhsa_fp16_overflow 0
		.amdhsa_workgroup_processor_mode 1
		.amdhsa_memory_ordered 1
		.amdhsa_forward_progress 0
		.amdhsa_shared_vgpr_count 0
		.amdhsa_exception_fp_ieee_invalid_op 0
		.amdhsa_exception_fp_denorm_src 0
		.amdhsa_exception_fp_ieee_div_zero 0
		.amdhsa_exception_fp_ieee_overflow 0
		.amdhsa_exception_fp_ieee_underflow 0
		.amdhsa_exception_fp_ieee_inexact 0
		.amdhsa_exception_int_div_zero 0
	.end_amdhsa_kernel
	.section	.text._ZN9rocsparseL19gebsrmvn_2xn_kernelILj128ELj14ELj4E21rocsparse_complex_numIdEEEvi20rocsparse_direction_NS_24const_host_device_scalarIT2_EEPKiS8_PKS5_SA_S6_PS5_21rocsparse_index_base_b,"axG",@progbits,_ZN9rocsparseL19gebsrmvn_2xn_kernelILj128ELj14ELj4E21rocsparse_complex_numIdEEEvi20rocsparse_direction_NS_24const_host_device_scalarIT2_EEPKiS8_PKS5_SA_S6_PS5_21rocsparse_index_base_b,comdat
.Lfunc_end288:
	.size	_ZN9rocsparseL19gebsrmvn_2xn_kernelILj128ELj14ELj4E21rocsparse_complex_numIdEEEvi20rocsparse_direction_NS_24const_host_device_scalarIT2_EEPKiS8_PKS5_SA_S6_PS5_21rocsparse_index_base_b, .Lfunc_end288-_ZN9rocsparseL19gebsrmvn_2xn_kernelILj128ELj14ELj4E21rocsparse_complex_numIdEEEvi20rocsparse_direction_NS_24const_host_device_scalarIT2_EEPKiS8_PKS5_SA_S6_PS5_21rocsparse_index_base_b
                                        ; -- End function
	.section	.AMDGPU.csdata,"",@progbits
; Kernel info:
; codeLenInByte = 2252
; NumSgprs: 20
; NumVgprs: 50
; ScratchSize: 0
; MemoryBound: 0
; FloatMode: 240
; IeeeMode: 1
; LDSByteSize: 2048 bytes/workgroup (compile time only)
; SGPRBlocks: 2
; VGPRBlocks: 6
; NumSGPRsForWavesPerEU: 20
; NumVGPRsForWavesPerEU: 50
; Occupancy: 16
; WaveLimiterHint : 1
; COMPUTE_PGM_RSRC2:SCRATCH_EN: 0
; COMPUTE_PGM_RSRC2:USER_SGPR: 15
; COMPUTE_PGM_RSRC2:TRAP_HANDLER: 0
; COMPUTE_PGM_RSRC2:TGID_X_EN: 1
; COMPUTE_PGM_RSRC2:TGID_Y_EN: 0
; COMPUTE_PGM_RSRC2:TGID_Z_EN: 0
; COMPUTE_PGM_RSRC2:TIDIG_COMP_CNT: 2
	.section	.text._ZN9rocsparseL19gebsrmvn_2xn_kernelILj128ELj14ELj8E21rocsparse_complex_numIdEEEvi20rocsparse_direction_NS_24const_host_device_scalarIT2_EEPKiS8_PKS5_SA_S6_PS5_21rocsparse_index_base_b,"axG",@progbits,_ZN9rocsparseL19gebsrmvn_2xn_kernelILj128ELj14ELj8E21rocsparse_complex_numIdEEEvi20rocsparse_direction_NS_24const_host_device_scalarIT2_EEPKiS8_PKS5_SA_S6_PS5_21rocsparse_index_base_b,comdat
	.globl	_ZN9rocsparseL19gebsrmvn_2xn_kernelILj128ELj14ELj8E21rocsparse_complex_numIdEEEvi20rocsparse_direction_NS_24const_host_device_scalarIT2_EEPKiS8_PKS5_SA_S6_PS5_21rocsparse_index_base_b ; -- Begin function _ZN9rocsparseL19gebsrmvn_2xn_kernelILj128ELj14ELj8E21rocsparse_complex_numIdEEEvi20rocsparse_direction_NS_24const_host_device_scalarIT2_EEPKiS8_PKS5_SA_S6_PS5_21rocsparse_index_base_b
	.p2align	8
	.type	_ZN9rocsparseL19gebsrmvn_2xn_kernelILj128ELj14ELj8E21rocsparse_complex_numIdEEEvi20rocsparse_direction_NS_24const_host_device_scalarIT2_EEPKiS8_PKS5_SA_S6_PS5_21rocsparse_index_base_b,@function
_ZN9rocsparseL19gebsrmvn_2xn_kernelILj128ELj14ELj8E21rocsparse_complex_numIdEEEvi20rocsparse_direction_NS_24const_host_device_scalarIT2_EEPKiS8_PKS5_SA_S6_PS5_21rocsparse_index_base_b: ; @_ZN9rocsparseL19gebsrmvn_2xn_kernelILj128ELj14ELj8E21rocsparse_complex_numIdEEEvi20rocsparse_direction_NS_24const_host_device_scalarIT2_EEPKiS8_PKS5_SA_S6_PS5_21rocsparse_index_base_b
; %bb.0:
	s_load_b64 s[12:13], s[2:3], 0x50
	s_load_b64 s[16:17], s[0:1], 0x4
	s_load_b128 s[8:11], s[2:3], 0x8
	v_bfe_u32 v1, v0, 10, 10
	s_mov_b64 s[0:1], src_shared_base
	s_load_b128 s[4:7], s[2:3], 0x38
	v_and_b32_e32 v10, 0x3ff, v0
	v_bfe_u32 v0, v0, 20, 10
	s_waitcnt lgkmcnt(0)
	s_bitcmp1_b32 s13, 0
	v_mul_u32_u24_e32 v1, s17, v1
	s_cselect_b32 s0, -1, 0
	s_delay_alu instid0(SALU_CYCLE_1)
	s_and_b32 vcc_lo, s0, exec_lo
	s_cselect_b32 s13, s1, s9
	s_lshr_b32 s14, s16, 16
	v_dual_mov_b32 v2, s4 :: v_dual_mov_b32 v3, s5
	s_mul_i32 s14, s14, s17
	v_mov_b32_e32 v6, s13
	v_mad_u32_u24 v1, s14, v10, v1
	s_delay_alu instid0(VALU_DEP_1) | instskip(SKIP_1) | instid1(VALU_DEP_2)
	v_add_lshl_u32 v4, v1, v0, 3
	v_dual_mov_b32 v0, s8 :: v_dual_mov_b32 v1, s9
	v_add_nc_u32_e32 v5, 0x400, v4
	ds_store_2addr_stride64_b64 v4, v[2:3], v[0:1] offset1:2
	v_dual_mov_b32 v2, s10 :: v_dual_mov_b32 v3, s11
	v_cndmask_b32_e64 v5, s8, v5, s0
	s_xor_b32 s10, s0, -1
	flat_load_b64 v[0:1], v[5:6]
	s_cbranch_vccnz .LBB289_2
; %bb.1:
	v_dual_mov_b32 v2, s8 :: v_dual_mov_b32 v3, s9
	flat_load_b64 v[2:3], v[2:3] offset:8
.LBB289_2:
	s_and_b32 s8, s0, exec_lo
	s_cselect_b32 s1, s1, s5
	v_cndmask_b32_e64 v4, s4, v4, s0
	v_dual_mov_b32 v5, s1 :: v_dual_mov_b32 v6, s6
	v_mov_b32_e32 v7, s7
	s_and_not1_b32 vcc_lo, exec_lo, s10
	flat_load_b64 v[4:5], v[4:5]
	s_cbranch_vccnz .LBB289_4
; %bb.3:
	v_dual_mov_b32 v7, s5 :: v_dual_mov_b32 v6, s4
	flat_load_b64 v[6:7], v[6:7] offset:8
.LBB289_4:
	s_waitcnt vmcnt(1) lgkmcnt(1)
	v_cmp_eq_f64_e32 vcc_lo, 0, v[0:1]
	v_cmp_eq_f64_e64 s0, 0, v[2:3]
	s_delay_alu instid0(VALU_DEP_1)
	s_and_b32 s4, vcc_lo, s0
	s_mov_b32 s0, -1
	s_and_saveexec_b32 s1, s4
	s_cbranch_execz .LBB289_6
; %bb.5:
	s_waitcnt vmcnt(0) lgkmcnt(0)
	v_cmp_neq_f64_e32 vcc_lo, 1.0, v[4:5]
	v_cmp_neq_f64_e64 s0, 0, v[6:7]
	s_delay_alu instid0(VALU_DEP_1) | instskip(NEXT) | instid1(SALU_CYCLE_1)
	s_or_b32 s0, vcc_lo, s0
	s_or_not1_b32 s0, s0, exec_lo
.LBB289_6:
	s_or_b32 exec_lo, exec_lo, s1
	s_and_saveexec_b32 s1, s0
	s_cbranch_execz .LBB289_29
; %bb.7:
	s_load_b64 s[0:1], s[2:3], 0x0
	v_lshrrev_b32_e32 v8, 3, v10
	s_delay_alu instid0(VALU_DEP_1) | instskip(SKIP_1) | instid1(VALU_DEP_1)
	v_lshl_or_b32 v8, s15, 4, v8
	s_waitcnt lgkmcnt(0)
	v_cmp_gt_i32_e32 vcc_lo, s0, v8
	s_and_b32 exec_lo, exec_lo, vcc_lo
	s_cbranch_execz .LBB289_29
; %bb.8:
	s_load_b256 s[4:11], s[2:3], 0x18
	v_ashrrev_i32_e32 v9, 31, v8
	v_and_b32_e32 v25, 7, v10
	s_cmp_lg_u32 s1, 0
	s_delay_alu instid0(VALU_DEP_2) | instskip(SKIP_1) | instid1(VALU_DEP_1)
	v_lshlrev_b64 v[11:12], 2, v[8:9]
	s_waitcnt lgkmcnt(0)
	v_add_co_u32 v11, vcc_lo, s4, v11
	s_delay_alu instid0(VALU_DEP_2) | instskip(SKIP_4) | instid1(VALU_DEP_2)
	v_add_co_ci_u32_e32 v12, vcc_lo, s5, v12, vcc_lo
	global_load_b64 v[12:13], v[11:12], off
	s_waitcnt vmcnt(0)
	v_subrev_nc_u32_e32 v9, s12, v12
	v_subrev_nc_u32_e32 v23, s12, v13
	v_add_nc_u32_e32 v11, v9, v25
	s_delay_alu instid0(VALU_DEP_1)
	v_cmp_lt_i32_e64 s0, v11, v23
	s_cbranch_scc0 .LBB289_16
; %bb.9:
	v_mov_b32_e32 v9, 0
	v_mov_b32_e32 v10, 0
	s_delay_alu instid0(VALU_DEP_1)
	v_dual_mov_b32 v18, v10 :: v_dual_mov_b32 v17, v9
	v_dual_mov_b32 v16, v10 :: v_dual_mov_b32 v15, v9
	;; [unrolled: 1-line block ×3, first 2 shown]
	s_and_saveexec_b32 s1, s0
	s_cbranch_execz .LBB289_15
; %bb.10:
	v_dual_mov_b32 v9, 0 :: v_dual_mov_b32 v20, 0
	v_dual_mov_b32 v10, 0 :: v_dual_mov_b32 v21, v11
	v_mul_lo_u32 v24, v11, 28
	s_mov_b32 s4, 0
	s_delay_alu instid0(VALU_DEP_2)
	v_dual_mov_b32 v18, v10 :: v_dual_mov_b32 v17, v9
	v_dual_mov_b32 v16, v10 :: v_dual_mov_b32 v15, v9
	;; [unrolled: 1-line block ×3, first 2 shown]
.LBB289_11:                             ; =>This Loop Header: Depth=1
                                        ;     Child Loop BB289_12 Depth 2
	v_ashrrev_i32_e32 v22, 31, v21
	s_mov_b32 s5, 0
	s_delay_alu instid0(VALU_DEP_1) | instskip(NEXT) | instid1(VALU_DEP_1)
	v_lshlrev_b64 v[26:27], 2, v[21:22]
	v_add_co_u32 v26, vcc_lo, s6, v26
	s_delay_alu instid0(VALU_DEP_2) | instskip(SKIP_3) | instid1(VALU_DEP_1)
	v_add_co_ci_u32_e32 v27, vcc_lo, s7, v27, vcc_lo
	global_load_b32 v19, v[26:27], off
	s_waitcnt vmcnt(0)
	v_subrev_nc_u32_e32 v19, s12, v19
	v_mul_lo_u32 v22, v19, 14
	v_mov_b32_e32 v19, v24
.LBB289_12:                             ;   Parent Loop BB289_11 Depth=1
                                        ; =>  This Inner Loop Header: Depth=2
	s_delay_alu instid0(VALU_DEP_2) | instskip(NEXT) | instid1(VALU_DEP_2)
	v_dual_mov_b32 v27, v20 :: v_dual_add_nc_u32 v26, s5, v22
	v_lshlrev_b64 v[28:29], 4, v[19:20]
	v_add_nc_u32_e32 v19, 4, v19
	s_add_i32 s5, s5, 2
	s_delay_alu instid0(VALU_DEP_3) | instskip(SKIP_1) | instid1(VALU_DEP_3)
	v_lshlrev_b64 v[26:27], 4, v[26:27]
	s_cmp_eq_u32 s5, 14
	v_add_co_u32 v46, vcc_lo, s8, v28
	v_add_co_ci_u32_e32 v47, vcc_lo, s9, v29, vcc_lo
	s_delay_alu instid0(VALU_DEP_3) | instskip(NEXT) | instid1(VALU_DEP_4)
	v_add_co_u32 v38, vcc_lo, s10, v26
	v_add_co_ci_u32_e32 v39, vcc_lo, s11, v27, vcc_lo
	s_clause 0x1
	global_load_b128 v[26:29], v[46:47], off offset:16
	global_load_b128 v[30:33], v[46:47], off
	s_clause 0x1
	global_load_b128 v[34:37], v[38:39], off
	global_load_b128 v[38:41], v[38:39], off offset:16
	s_clause 0x1
	global_load_b128 v[42:45], v[46:47], off offset:32
	global_load_b128 v[46:49], v[46:47], off offset:48
	s_waitcnt vmcnt(3)
	v_fma_f64 v[17:18], v[30:31], v[34:35], v[17:18]
	v_fma_f64 v[9:10], v[32:33], v[34:35], v[9:10]
	;; [unrolled: 1-line block ×4, first 2 shown]
	s_delay_alu instid0(VALU_DEP_4) | instskip(NEXT) | instid1(VALU_DEP_4)
	v_fma_f64 v[17:18], -v[32:33], v[36:37], v[17:18]
	v_fma_f64 v[9:10], v[30:31], v[36:37], v[9:10]
	s_delay_alu instid0(VALU_DEP_4) | instskip(NEXT) | instid1(VALU_DEP_4)
	v_fma_f64 v[15:16], -v[28:29], v[36:37], v[15:16]
	v_fma_f64 v[13:14], v[26:27], v[36:37], v[13:14]
	s_waitcnt vmcnt(1)
	s_delay_alu instid0(VALU_DEP_4) | instskip(NEXT) | instid1(VALU_DEP_4)
	v_fma_f64 v[17:18], v[42:43], v[38:39], v[17:18]
	v_fma_f64 v[9:10], v[44:45], v[38:39], v[9:10]
	s_waitcnt vmcnt(0)
	s_delay_alu instid0(VALU_DEP_4) | instskip(NEXT) | instid1(VALU_DEP_4)
	v_fma_f64 v[15:16], v[46:47], v[38:39], v[15:16]
	v_fma_f64 v[13:14], v[48:49], v[38:39], v[13:14]
	s_delay_alu instid0(VALU_DEP_4) | instskip(NEXT) | instid1(VALU_DEP_4)
	v_fma_f64 v[17:18], -v[44:45], v[40:41], v[17:18]
	v_fma_f64 v[9:10], v[42:43], v[40:41], v[9:10]
	s_delay_alu instid0(VALU_DEP_4) | instskip(NEXT) | instid1(VALU_DEP_4)
	v_fma_f64 v[15:16], -v[48:49], v[40:41], v[15:16]
	v_fma_f64 v[13:14], v[46:47], v[40:41], v[13:14]
	s_cbranch_scc0 .LBB289_12
; %bb.13:                               ;   in Loop: Header=BB289_11 Depth=1
	v_add_nc_u32_e32 v21, 8, v21
	v_add_nc_u32_e32 v24, 0xe0, v24
	s_delay_alu instid0(VALU_DEP_2) | instskip(SKIP_1) | instid1(SALU_CYCLE_1)
	v_cmp_ge_i32_e32 vcc_lo, v21, v23
	s_or_b32 s4, vcc_lo, s4
	s_and_not1_b32 exec_lo, exec_lo, s4
	s_cbranch_execnz .LBB289_11
; %bb.14:
	s_or_b32 exec_lo, exec_lo, s4
.LBB289_15:
	s_delay_alu instid0(SALU_CYCLE_1)
	s_or_b32 exec_lo, exec_lo, s1
	s_cbranch_execz .LBB289_17
	s_branch .LBB289_24
.LBB289_16:
                                        ; implicit-def: $vgpr9_vgpr10
                                        ; implicit-def: $vgpr17_vgpr18
                                        ; implicit-def: $vgpr15_vgpr16
                                        ; implicit-def: $vgpr13_vgpr14
.LBB289_17:
	v_mov_b32_e32 v9, 0
	v_mov_b32_e32 v10, 0
	s_delay_alu instid0(VALU_DEP_1)
	v_dual_mov_b32 v18, v10 :: v_dual_mov_b32 v17, v9
	v_dual_mov_b32 v16, v10 :: v_dual_mov_b32 v15, v9
	;; [unrolled: 1-line block ×3, first 2 shown]
	s_and_saveexec_b32 s1, s0
	s_cbranch_execz .LBB289_23
; %bb.18:
	v_mul_lo_u32 v12, v12, 28
	v_dual_mov_b32 v9, 0 :: v_dual_mov_b32 v20, 0
	v_mov_b32_e32 v10, 0
	v_mul_lo_u32 v21, v11, 28
	s_mul_i32 s0, s12, 28
	s_delay_alu instid0(VALU_DEP_2) | instskip(SKIP_3) | instid1(VALU_DEP_3)
	v_dual_mov_b32 v18, v10 :: v_dual_mov_b32 v17, v9
	v_mad_u32_u24 v12, v25, 28, v12
	v_dual_mov_b32 v16, v10 :: v_dual_mov_b32 v15, v9
	v_dual_mov_b32 v14, v10 :: v_dual_mov_b32 v13, v9
	v_subrev_nc_u32_e32 v22, s0, v12
	s_mov_b32 s0, 0
.LBB289_19:                             ; =>This Loop Header: Depth=1
                                        ;     Child Loop BB289_20 Depth 2
	v_ashrrev_i32_e32 v12, 31, v11
	s_mov_b32 s4, 0
	s_delay_alu instid0(VALU_DEP_1) | instskip(NEXT) | instid1(VALU_DEP_1)
	v_lshlrev_b64 v[26:27], 2, v[11:12]
	v_add_co_u32 v26, vcc_lo, s6, v26
	s_delay_alu instid0(VALU_DEP_2) | instskip(SKIP_3) | instid1(VALU_DEP_1)
	v_add_co_ci_u32_e32 v27, vcc_lo, s7, v27, vcc_lo
	global_load_b32 v12, v[26:27], off
	s_waitcnt vmcnt(0)
	v_subrev_nc_u32_e32 v12, s12, v12
	v_mul_lo_u32 v12, v12, 14
.LBB289_20:                             ;   Parent Loop BB289_19 Depth=1
                                        ; =>  This Inner Loop Header: Depth=2
	v_add_nc_u32_e32 v19, s4, v22
	s_delay_alu instid0(VALU_DEP_1) | instskip(NEXT) | instid1(VALU_DEP_3)
	v_lshlrev_b64 v[26:27], 4, v[19:20]
	v_add_nc_u32_e32 v19, s4, v12
	s_delay_alu instid0(VALU_DEP_1) | instskip(SKIP_1) | instid1(VALU_DEP_4)
	v_lshlrev_b64 v[30:31], 4, v[19:20]
	v_add3_u32 v19, v21, s4, 14
	v_add_co_u32 v32, vcc_lo, s8, v26
	v_add_co_ci_u32_e32 v33, vcc_lo, s9, v27, vcc_lo
	s_delay_alu instid0(VALU_DEP_3)
	v_lshlrev_b64 v[34:35], 4, v[19:20]
	v_add_co_u32 v38, vcc_lo, s10, v30
	v_add_co_ci_u32_e32 v39, vcc_lo, s11, v31, vcc_lo
	global_load_b128 v[26:29], v[32:33], off offset:16
	v_add_co_u32 v46, vcc_lo, s8, v34
	v_add_co_ci_u32_e32 v47, vcc_lo, s9, v35, vcc_lo
	global_load_b128 v[30:33], v[32:33], off
	s_clause 0x1
	global_load_b128 v[34:37], v[38:39], off
	global_load_b128 v[38:41], v[38:39], off offset:16
	s_clause 0x1
	global_load_b128 v[42:45], v[46:47], off
	global_load_b128 v[46:49], v[46:47], off offset:16
	s_add_i32 s4, s4, 2
	s_delay_alu instid0(SALU_CYCLE_1)
	s_cmp_eq_u32 s4, 14
	s_waitcnt vmcnt(3)
	v_fma_f64 v[17:18], v[30:31], v[34:35], v[17:18]
	v_fma_f64 v[9:10], v[32:33], v[34:35], v[9:10]
	s_waitcnt vmcnt(1)
	v_fma_f64 v[15:16], v[42:43], v[34:35], v[15:16]
	v_fma_f64 v[13:14], v[44:45], v[34:35], v[13:14]
	s_delay_alu instid0(VALU_DEP_4) | instskip(NEXT) | instid1(VALU_DEP_4)
	v_fma_f64 v[17:18], -v[32:33], v[36:37], v[17:18]
	v_fma_f64 v[9:10], v[30:31], v[36:37], v[9:10]
	s_delay_alu instid0(VALU_DEP_4) | instskip(NEXT) | instid1(VALU_DEP_4)
	v_fma_f64 v[15:16], -v[44:45], v[36:37], v[15:16]
	v_fma_f64 v[13:14], v[42:43], v[36:37], v[13:14]
	s_delay_alu instid0(VALU_DEP_4) | instskip(NEXT) | instid1(VALU_DEP_4)
	v_fma_f64 v[17:18], v[26:27], v[38:39], v[17:18]
	v_fma_f64 v[9:10], v[28:29], v[38:39], v[9:10]
	s_waitcnt vmcnt(0)
	s_delay_alu instid0(VALU_DEP_4) | instskip(NEXT) | instid1(VALU_DEP_4)
	v_fma_f64 v[15:16], v[46:47], v[38:39], v[15:16]
	v_fma_f64 v[13:14], v[48:49], v[38:39], v[13:14]
	s_delay_alu instid0(VALU_DEP_4) | instskip(NEXT) | instid1(VALU_DEP_4)
	v_fma_f64 v[17:18], -v[28:29], v[40:41], v[17:18]
	v_fma_f64 v[9:10], v[26:27], v[40:41], v[9:10]
	s_delay_alu instid0(VALU_DEP_4) | instskip(NEXT) | instid1(VALU_DEP_4)
	v_fma_f64 v[15:16], -v[48:49], v[40:41], v[15:16]
	v_fma_f64 v[13:14], v[46:47], v[40:41], v[13:14]
	s_cbranch_scc0 .LBB289_20
; %bb.21:                               ;   in Loop: Header=BB289_19 Depth=1
	v_add_nc_u32_e32 v11, 8, v11
	v_add_nc_u32_e32 v21, 0xe0, v21
	v_add_nc_u32_e32 v22, 0xe0, v22
	s_delay_alu instid0(VALU_DEP_3) | instskip(SKIP_1) | instid1(SALU_CYCLE_1)
	v_cmp_ge_i32_e32 vcc_lo, v11, v23
	s_or_b32 s0, vcc_lo, s0
	s_and_not1_b32 exec_lo, exec_lo, s0
	s_cbranch_execnz .LBB289_19
; %bb.22:
	s_or_b32 exec_lo, exec_lo, s0
.LBB289_23:
	s_delay_alu instid0(SALU_CYCLE_1)
	s_or_b32 exec_lo, exec_lo, s1
.LBB289_24:
	v_mbcnt_lo_u32_b32 v26, -1, 0
	s_delay_alu instid0(VALU_DEP_1) | instskip(NEXT) | instid1(VALU_DEP_1)
	v_xor_b32_e32 v11, 4, v26
	v_cmp_gt_i32_e32 vcc_lo, 32, v11
	v_cndmask_b32_e32 v11, v26, v11, vcc_lo
	s_delay_alu instid0(VALU_DEP_1)
	v_lshlrev_b32_e32 v24, 2, v11
	ds_bpermute_b32 v11, v24, v17
	ds_bpermute_b32 v12, v24, v18
	ds_bpermute_b32 v19, v24, v9
	ds_bpermute_b32 v20, v24, v10
	s_waitcnt lgkmcnt(2)
	v_add_f64 v[11:12], v[17:18], v[11:12]
	s_waitcnt lgkmcnt(0)
	v_add_f64 v[17:18], v[9:10], v[19:20]
	v_xor_b32_e32 v9, 2, v26
	s_delay_alu instid0(VALU_DEP_1)
	v_cmp_gt_i32_e32 vcc_lo, 32, v9
	v_cndmask_b32_e32 v9, v26, v9, vcc_lo
	ds_bpermute_b32 v21, v24, v15
	ds_bpermute_b32 v22, v24, v16
	;; [unrolled: 1-line block ×4, first 2 shown]
	s_waitcnt lgkmcnt(2)
	v_add_f64 v[19:20], v[15:16], v[21:22]
	s_waitcnt lgkmcnt(0)
	v_add_f64 v[13:14], v[13:14], v[23:24]
	v_lshlrev_b32_e32 v24, 2, v9
	ds_bpermute_b32 v9, v24, v11
	ds_bpermute_b32 v10, v24, v12
	;; [unrolled: 1-line block ×4, first 2 shown]
	s_waitcnt lgkmcnt(2)
	v_add_f64 v[9:10], v[11:12], v[9:10]
	s_waitcnt lgkmcnt(0)
	v_add_f64 v[15:16], v[17:18], v[15:16]
	v_xor_b32_e32 v17, 1, v26
	s_delay_alu instid0(VALU_DEP_1)
	v_cmp_gt_i32_e32 vcc_lo, 32, v17
	ds_bpermute_b32 v21, v24, v19
	ds_bpermute_b32 v22, v24, v20
	;; [unrolled: 1-line block ×4, first 2 shown]
	v_cndmask_b32_e32 v17, v26, v17, vcc_lo
	v_cmp_eq_u32_e32 vcc_lo, 7, v25
	s_waitcnt lgkmcnt(2)
	v_add_f64 v[11:12], v[19:20], v[21:22]
	s_delay_alu instid0(VALU_DEP_3)
	v_lshlrev_b32_e32 v20, 2, v17
	s_waitcnt lgkmcnt(0)
	v_add_f64 v[13:14], v[13:14], v[23:24]
	ds_bpermute_b32 v23, v20, v9
	ds_bpermute_b32 v24, v20, v10
	;; [unrolled: 1-line block ×8, first 2 shown]
	s_and_b32 exec_lo, exec_lo, vcc_lo
	s_cbranch_execz .LBB289_29
; %bb.25:
	v_cmp_eq_f64_e32 vcc_lo, 0, v[4:5]
	v_cmp_eq_f64_e64 s0, 0, v[6:7]
	s_waitcnt lgkmcnt(6)
	v_add_f64 v[9:10], v[9:10], v[23:24]
	s_waitcnt lgkmcnt(4)
	v_add_f64 v[15:16], v[15:16], v[21:22]
	;; [unrolled: 2-line block ×4, first 2 shown]
	s_load_b64 s[2:3], s[2:3], 0x48
	s_and_b32 s0, vcc_lo, s0
	s_delay_alu instid0(SALU_CYCLE_1) | instskip(NEXT) | instid1(SALU_CYCLE_1)
	s_and_saveexec_b32 s1, s0
	s_xor_b32 s0, exec_lo, s1
	s_cbranch_execz .LBB289_27
; %bb.26:
	s_delay_alu instid0(VALU_DEP_3) | instskip(SKIP_1) | instid1(VALU_DEP_3)
	v_mul_f64 v[4:5], v[15:16], -v[2:3]
	v_mul_f64 v[6:7], v[0:1], v[15:16]
	v_mul_f64 v[15:16], v[13:14], -v[2:3]
	v_mul_f64 v[13:14], v[0:1], v[13:14]
	v_lshlrev_b32_e32 v8, 1, v8
	v_fma_f64 v[4:5], v[0:1], v[9:10], v[4:5]
	v_fma_f64 v[6:7], v[2:3], v[9:10], v[6:7]
	;; [unrolled: 1-line block ×4, first 2 shown]
	v_ashrrev_i32_e32 v9, 31, v8
                                        ; implicit-def: $vgpr15_vgpr16
                                        ; implicit-def: $vgpr11_vgpr12
                                        ; implicit-def: $vgpr13_vgpr14
	s_delay_alu instid0(VALU_DEP_1) | instskip(SKIP_1) | instid1(VALU_DEP_1)
	v_lshlrev_b64 v[8:9], 4, v[8:9]
	s_waitcnt lgkmcnt(0)
	v_add_co_u32 v8, vcc_lo, s2, v8
	s_delay_alu instid0(VALU_DEP_2)
	v_add_co_ci_u32_e32 v9, vcc_lo, s3, v9, vcc_lo
	s_clause 0x1
	global_store_b128 v[8:9], v[4:7], off
	global_store_b128 v[8:9], v[0:3], off offset:16
                                        ; implicit-def: $vgpr0_vgpr1
                                        ; implicit-def: $vgpr2_vgpr3
                                        ; implicit-def: $vgpr4_vgpr5
                                        ; implicit-def: $vgpr6_vgpr7
                                        ; implicit-def: $vgpr8
                                        ; implicit-def: $vgpr9_vgpr10
.LBB289_27:
	s_and_not1_saveexec_b32 s0, s0
	s_cbranch_execz .LBB289_29
; %bb.28:
	v_lshlrev_b32_e32 v17, 1, v8
	s_delay_alu instid0(VALU_DEP_4) | instskip(SKIP_1) | instid1(VALU_DEP_4)
	v_mul_f64 v[27:28], v[15:16], -v[2:3]
	v_mul_f64 v[15:16], v[0:1], v[15:16]
	v_mul_f64 v[29:30], v[13:14], -v[2:3]
	v_mul_f64 v[13:14], v[0:1], v[13:14]
	v_ashrrev_i32_e32 v18, 31, v17
	s_delay_alu instid0(VALU_DEP_1) | instskip(SKIP_1) | instid1(VALU_DEP_1)
	v_lshlrev_b64 v[17:18], 4, v[17:18]
	s_waitcnt lgkmcnt(0)
	v_add_co_u32 v25, vcc_lo, s2, v17
	s_delay_alu instid0(VALU_DEP_2)
	v_add_co_ci_u32_e32 v26, vcc_lo, s3, v18, vcc_lo
	s_clause 0x1
	global_load_b128 v[17:20], v[25:26], off
	global_load_b128 v[21:24], v[25:26], off offset:16
	v_fma_f64 v[27:28], v[0:1], v[9:10], v[27:28]
	v_fma_f64 v[8:9], v[2:3], v[9:10], v[15:16]
	;; [unrolled: 1-line block ×4, first 2 shown]
	s_waitcnt vmcnt(1)
	s_delay_alu instid0(VALU_DEP_4) | instskip(NEXT) | instid1(VALU_DEP_4)
	v_fma_f64 v[10:11], v[4:5], v[17:18], v[27:28]
	v_fma_f64 v[8:9], v[6:7], v[17:18], v[8:9]
	s_waitcnt vmcnt(0)
	s_delay_alu instid0(VALU_DEP_4) | instskip(NEXT) | instid1(VALU_DEP_4)
	v_fma_f64 v[12:13], v[4:5], v[21:22], v[0:1]
	v_fma_f64 v[14:15], v[6:7], v[21:22], v[2:3]
	s_delay_alu instid0(VALU_DEP_4) | instskip(NEXT) | instid1(VALU_DEP_4)
	v_fma_f64 v[0:1], -v[6:7], v[19:20], v[10:11]
	v_fma_f64 v[2:3], v[4:5], v[19:20], v[8:9]
	s_delay_alu instid0(VALU_DEP_4) | instskip(NEXT) | instid1(VALU_DEP_4)
	v_fma_f64 v[6:7], -v[6:7], v[23:24], v[12:13]
	v_fma_f64 v[8:9], v[4:5], v[23:24], v[14:15]
	s_clause 0x1
	global_store_b128 v[25:26], v[0:3], off
	global_store_b128 v[25:26], v[6:9], off offset:16
.LBB289_29:
	s_nop 0
	s_sendmsg sendmsg(MSG_DEALLOC_VGPRS)
	s_endpgm
	.section	.rodata,"a",@progbits
	.p2align	6, 0x0
	.amdhsa_kernel _ZN9rocsparseL19gebsrmvn_2xn_kernelILj128ELj14ELj8E21rocsparse_complex_numIdEEEvi20rocsparse_direction_NS_24const_host_device_scalarIT2_EEPKiS8_PKS5_SA_S6_PS5_21rocsparse_index_base_b
		.amdhsa_group_segment_fixed_size 2048
		.amdhsa_private_segment_fixed_size 0
		.amdhsa_kernarg_size 88
		.amdhsa_user_sgpr_count 15
		.amdhsa_user_sgpr_dispatch_ptr 1
		.amdhsa_user_sgpr_queue_ptr 0
		.amdhsa_user_sgpr_kernarg_segment_ptr 1
		.amdhsa_user_sgpr_dispatch_id 0
		.amdhsa_user_sgpr_private_segment_size 0
		.amdhsa_wavefront_size32 1
		.amdhsa_uses_dynamic_stack 0
		.amdhsa_enable_private_segment 0
		.amdhsa_system_sgpr_workgroup_id_x 1
		.amdhsa_system_sgpr_workgroup_id_y 0
		.amdhsa_system_sgpr_workgroup_id_z 0
		.amdhsa_system_sgpr_workgroup_info 0
		.amdhsa_system_vgpr_workitem_id 2
		.amdhsa_next_free_vgpr 50
		.amdhsa_next_free_sgpr 18
		.amdhsa_reserve_vcc 1
		.amdhsa_float_round_mode_32 0
		.amdhsa_float_round_mode_16_64 0
		.amdhsa_float_denorm_mode_32 3
		.amdhsa_float_denorm_mode_16_64 3
		.amdhsa_dx10_clamp 1
		.amdhsa_ieee_mode 1
		.amdhsa_fp16_overflow 0
		.amdhsa_workgroup_processor_mode 1
		.amdhsa_memory_ordered 1
		.amdhsa_forward_progress 0
		.amdhsa_shared_vgpr_count 0
		.amdhsa_exception_fp_ieee_invalid_op 0
		.amdhsa_exception_fp_denorm_src 0
		.amdhsa_exception_fp_ieee_div_zero 0
		.amdhsa_exception_fp_ieee_overflow 0
		.amdhsa_exception_fp_ieee_underflow 0
		.amdhsa_exception_fp_ieee_inexact 0
		.amdhsa_exception_int_div_zero 0
	.end_amdhsa_kernel
	.section	.text._ZN9rocsparseL19gebsrmvn_2xn_kernelILj128ELj14ELj8E21rocsparse_complex_numIdEEEvi20rocsparse_direction_NS_24const_host_device_scalarIT2_EEPKiS8_PKS5_SA_S6_PS5_21rocsparse_index_base_b,"axG",@progbits,_ZN9rocsparseL19gebsrmvn_2xn_kernelILj128ELj14ELj8E21rocsparse_complex_numIdEEEvi20rocsparse_direction_NS_24const_host_device_scalarIT2_EEPKiS8_PKS5_SA_S6_PS5_21rocsparse_index_base_b,comdat
.Lfunc_end289:
	.size	_ZN9rocsparseL19gebsrmvn_2xn_kernelILj128ELj14ELj8E21rocsparse_complex_numIdEEEvi20rocsparse_direction_NS_24const_host_device_scalarIT2_EEPKiS8_PKS5_SA_S6_PS5_21rocsparse_index_base_b, .Lfunc_end289-_ZN9rocsparseL19gebsrmvn_2xn_kernelILj128ELj14ELj8E21rocsparse_complex_numIdEEEvi20rocsparse_direction_NS_24const_host_device_scalarIT2_EEPKiS8_PKS5_SA_S6_PS5_21rocsparse_index_base_b
                                        ; -- End function
	.section	.AMDGPU.csdata,"",@progbits
; Kernel info:
; codeLenInByte = 2388
; NumSgprs: 20
; NumVgprs: 50
; ScratchSize: 0
; MemoryBound: 0
; FloatMode: 240
; IeeeMode: 1
; LDSByteSize: 2048 bytes/workgroup (compile time only)
; SGPRBlocks: 2
; VGPRBlocks: 6
; NumSGPRsForWavesPerEU: 20
; NumVGPRsForWavesPerEU: 50
; Occupancy: 16
; WaveLimiterHint : 1
; COMPUTE_PGM_RSRC2:SCRATCH_EN: 0
; COMPUTE_PGM_RSRC2:USER_SGPR: 15
; COMPUTE_PGM_RSRC2:TRAP_HANDLER: 0
; COMPUTE_PGM_RSRC2:TGID_X_EN: 1
; COMPUTE_PGM_RSRC2:TGID_Y_EN: 0
; COMPUTE_PGM_RSRC2:TGID_Z_EN: 0
; COMPUTE_PGM_RSRC2:TIDIG_COMP_CNT: 2
	.section	.text._ZN9rocsparseL19gebsrmvn_2xn_kernelILj128ELj14ELj16E21rocsparse_complex_numIdEEEvi20rocsparse_direction_NS_24const_host_device_scalarIT2_EEPKiS8_PKS5_SA_S6_PS5_21rocsparse_index_base_b,"axG",@progbits,_ZN9rocsparseL19gebsrmvn_2xn_kernelILj128ELj14ELj16E21rocsparse_complex_numIdEEEvi20rocsparse_direction_NS_24const_host_device_scalarIT2_EEPKiS8_PKS5_SA_S6_PS5_21rocsparse_index_base_b,comdat
	.globl	_ZN9rocsparseL19gebsrmvn_2xn_kernelILj128ELj14ELj16E21rocsparse_complex_numIdEEEvi20rocsparse_direction_NS_24const_host_device_scalarIT2_EEPKiS8_PKS5_SA_S6_PS5_21rocsparse_index_base_b ; -- Begin function _ZN9rocsparseL19gebsrmvn_2xn_kernelILj128ELj14ELj16E21rocsparse_complex_numIdEEEvi20rocsparse_direction_NS_24const_host_device_scalarIT2_EEPKiS8_PKS5_SA_S6_PS5_21rocsparse_index_base_b
	.p2align	8
	.type	_ZN9rocsparseL19gebsrmvn_2xn_kernelILj128ELj14ELj16E21rocsparse_complex_numIdEEEvi20rocsparse_direction_NS_24const_host_device_scalarIT2_EEPKiS8_PKS5_SA_S6_PS5_21rocsparse_index_base_b,@function
_ZN9rocsparseL19gebsrmvn_2xn_kernelILj128ELj14ELj16E21rocsparse_complex_numIdEEEvi20rocsparse_direction_NS_24const_host_device_scalarIT2_EEPKiS8_PKS5_SA_S6_PS5_21rocsparse_index_base_b: ; @_ZN9rocsparseL19gebsrmvn_2xn_kernelILj128ELj14ELj16E21rocsparse_complex_numIdEEEvi20rocsparse_direction_NS_24const_host_device_scalarIT2_EEPKiS8_PKS5_SA_S6_PS5_21rocsparse_index_base_b
; %bb.0:
	s_load_b64 s[12:13], s[2:3], 0x50
	s_load_b64 s[16:17], s[0:1], 0x4
	s_load_b128 s[8:11], s[2:3], 0x8
	v_bfe_u32 v1, v0, 10, 10
	s_mov_b64 s[0:1], src_shared_base
	s_load_b128 s[4:7], s[2:3], 0x38
	v_and_b32_e32 v10, 0x3ff, v0
	v_bfe_u32 v0, v0, 20, 10
	s_waitcnt lgkmcnt(0)
	s_bitcmp1_b32 s13, 0
	v_mul_u32_u24_e32 v1, s17, v1
	s_cselect_b32 s0, -1, 0
	s_delay_alu instid0(SALU_CYCLE_1)
	s_and_b32 vcc_lo, s0, exec_lo
	s_cselect_b32 s13, s1, s9
	s_lshr_b32 s14, s16, 16
	v_dual_mov_b32 v2, s4 :: v_dual_mov_b32 v3, s5
	s_mul_i32 s14, s14, s17
	v_mov_b32_e32 v6, s13
	v_mad_u32_u24 v1, s14, v10, v1
	s_delay_alu instid0(VALU_DEP_1) | instskip(SKIP_1) | instid1(VALU_DEP_2)
	v_add_lshl_u32 v4, v1, v0, 3
	v_dual_mov_b32 v0, s8 :: v_dual_mov_b32 v1, s9
	v_add_nc_u32_e32 v5, 0x400, v4
	ds_store_2addr_stride64_b64 v4, v[2:3], v[0:1] offset1:2
	v_dual_mov_b32 v2, s10 :: v_dual_mov_b32 v3, s11
	v_cndmask_b32_e64 v5, s8, v5, s0
	s_xor_b32 s10, s0, -1
	flat_load_b64 v[0:1], v[5:6]
	s_cbranch_vccnz .LBB290_2
; %bb.1:
	v_dual_mov_b32 v2, s8 :: v_dual_mov_b32 v3, s9
	flat_load_b64 v[2:3], v[2:3] offset:8
.LBB290_2:
	s_and_b32 s8, s0, exec_lo
	s_cselect_b32 s1, s1, s5
	v_cndmask_b32_e64 v4, s4, v4, s0
	v_dual_mov_b32 v5, s1 :: v_dual_mov_b32 v6, s6
	v_mov_b32_e32 v7, s7
	s_and_not1_b32 vcc_lo, exec_lo, s10
	flat_load_b64 v[4:5], v[4:5]
	s_cbranch_vccnz .LBB290_4
; %bb.3:
	v_dual_mov_b32 v7, s5 :: v_dual_mov_b32 v6, s4
	flat_load_b64 v[6:7], v[6:7] offset:8
.LBB290_4:
	s_waitcnt vmcnt(1) lgkmcnt(1)
	v_cmp_eq_f64_e32 vcc_lo, 0, v[0:1]
	v_cmp_eq_f64_e64 s0, 0, v[2:3]
	s_delay_alu instid0(VALU_DEP_1)
	s_and_b32 s4, vcc_lo, s0
	s_mov_b32 s0, -1
	s_and_saveexec_b32 s1, s4
	s_cbranch_execz .LBB290_6
; %bb.5:
	s_waitcnt vmcnt(0) lgkmcnt(0)
	v_cmp_neq_f64_e32 vcc_lo, 1.0, v[4:5]
	v_cmp_neq_f64_e64 s0, 0, v[6:7]
	s_delay_alu instid0(VALU_DEP_1) | instskip(NEXT) | instid1(SALU_CYCLE_1)
	s_or_b32 s0, vcc_lo, s0
	s_or_not1_b32 s0, s0, exec_lo
.LBB290_6:
	s_or_b32 exec_lo, exec_lo, s1
	s_and_saveexec_b32 s1, s0
	s_cbranch_execz .LBB290_29
; %bb.7:
	s_load_b64 s[0:1], s[2:3], 0x0
	v_lshrrev_b32_e32 v8, 4, v10
	s_delay_alu instid0(VALU_DEP_1) | instskip(SKIP_1) | instid1(VALU_DEP_1)
	v_lshl_or_b32 v8, s15, 3, v8
	s_waitcnt lgkmcnt(0)
	v_cmp_gt_i32_e32 vcc_lo, s0, v8
	s_and_b32 exec_lo, exec_lo, vcc_lo
	s_cbranch_execz .LBB290_29
; %bb.8:
	s_load_b256 s[4:11], s[2:3], 0x18
	v_ashrrev_i32_e32 v9, 31, v8
	v_and_b32_e32 v25, 15, v10
	s_cmp_lg_u32 s1, 0
	s_delay_alu instid0(VALU_DEP_2) | instskip(SKIP_1) | instid1(VALU_DEP_1)
	v_lshlrev_b64 v[11:12], 2, v[8:9]
	s_waitcnt lgkmcnt(0)
	v_add_co_u32 v11, vcc_lo, s4, v11
	s_delay_alu instid0(VALU_DEP_2) | instskip(SKIP_4) | instid1(VALU_DEP_2)
	v_add_co_ci_u32_e32 v12, vcc_lo, s5, v12, vcc_lo
	global_load_b64 v[18:19], v[11:12], off
	s_waitcnt vmcnt(0)
	v_subrev_nc_u32_e32 v9, s12, v18
	v_subrev_nc_u32_e32 v23, s12, v19
	v_add_nc_u32_e32 v17, v9, v25
	s_delay_alu instid0(VALU_DEP_1)
	v_cmp_lt_i32_e64 s0, v17, v23
	s_cbranch_scc0 .LBB290_16
; %bb.9:
	v_mov_b32_e32 v9, 0
	v_mov_b32_e32 v10, 0
	s_delay_alu instid0(VALU_DEP_1)
	v_dual_mov_b32 v16, v10 :: v_dual_mov_b32 v15, v9
	v_dual_mov_b32 v14, v10 :: v_dual_mov_b32 v13, v9
	;; [unrolled: 1-line block ×3, first 2 shown]
	s_and_saveexec_b32 s1, s0
	s_cbranch_execz .LBB290_15
; %bb.10:
	v_dual_mov_b32 v9, 0 :: v_dual_mov_b32 v20, 0
	v_dual_mov_b32 v10, 0 :: v_dual_mov_b32 v21, v17
	v_mul_lo_u32 v24, v17, 28
	s_mov_b32 s4, 0
	s_delay_alu instid0(VALU_DEP_2)
	v_dual_mov_b32 v16, v10 :: v_dual_mov_b32 v15, v9
	v_dual_mov_b32 v14, v10 :: v_dual_mov_b32 v13, v9
	;; [unrolled: 1-line block ×3, first 2 shown]
.LBB290_11:                             ; =>This Loop Header: Depth=1
                                        ;     Child Loop BB290_12 Depth 2
	v_ashrrev_i32_e32 v22, 31, v21
	s_mov_b32 s5, 0
	s_delay_alu instid0(VALU_DEP_1) | instskip(NEXT) | instid1(VALU_DEP_1)
	v_lshlrev_b64 v[26:27], 2, v[21:22]
	v_add_co_u32 v26, vcc_lo, s6, v26
	s_delay_alu instid0(VALU_DEP_2) | instskip(SKIP_3) | instid1(VALU_DEP_1)
	v_add_co_ci_u32_e32 v27, vcc_lo, s7, v27, vcc_lo
	global_load_b32 v19, v[26:27], off
	s_waitcnt vmcnt(0)
	v_subrev_nc_u32_e32 v19, s12, v19
	v_mul_lo_u32 v22, v19, 14
	v_mov_b32_e32 v19, v24
.LBB290_12:                             ;   Parent Loop BB290_11 Depth=1
                                        ; =>  This Inner Loop Header: Depth=2
	s_delay_alu instid0(VALU_DEP_2) | instskip(NEXT) | instid1(VALU_DEP_2)
	v_dual_mov_b32 v27, v20 :: v_dual_add_nc_u32 v26, s5, v22
	v_lshlrev_b64 v[28:29], 4, v[19:20]
	v_add_nc_u32_e32 v19, 4, v19
	s_add_i32 s5, s5, 2
	s_delay_alu instid0(VALU_DEP_3) | instskip(SKIP_1) | instid1(VALU_DEP_3)
	v_lshlrev_b64 v[26:27], 4, v[26:27]
	s_cmp_eq_u32 s5, 14
	v_add_co_u32 v46, vcc_lo, s8, v28
	v_add_co_ci_u32_e32 v47, vcc_lo, s9, v29, vcc_lo
	s_delay_alu instid0(VALU_DEP_3) | instskip(NEXT) | instid1(VALU_DEP_4)
	v_add_co_u32 v38, vcc_lo, s10, v26
	v_add_co_ci_u32_e32 v39, vcc_lo, s11, v27, vcc_lo
	s_clause 0x1
	global_load_b128 v[26:29], v[46:47], off offset:16
	global_load_b128 v[30:33], v[46:47], off
	s_clause 0x1
	global_load_b128 v[34:37], v[38:39], off
	global_load_b128 v[38:41], v[38:39], off offset:16
	s_clause 0x1
	global_load_b128 v[42:45], v[46:47], off offset:32
	global_load_b128 v[46:49], v[46:47], off offset:48
	s_waitcnt vmcnt(3)
	v_fma_f64 v[15:16], v[30:31], v[34:35], v[15:16]
	v_fma_f64 v[9:10], v[32:33], v[34:35], v[9:10]
	;; [unrolled: 1-line block ×4, first 2 shown]
	s_delay_alu instid0(VALU_DEP_4) | instskip(NEXT) | instid1(VALU_DEP_4)
	v_fma_f64 v[15:16], -v[32:33], v[36:37], v[15:16]
	v_fma_f64 v[9:10], v[30:31], v[36:37], v[9:10]
	s_delay_alu instid0(VALU_DEP_4) | instskip(NEXT) | instid1(VALU_DEP_4)
	v_fma_f64 v[13:14], -v[28:29], v[36:37], v[13:14]
	v_fma_f64 v[11:12], v[26:27], v[36:37], v[11:12]
	s_waitcnt vmcnt(1)
	s_delay_alu instid0(VALU_DEP_4) | instskip(NEXT) | instid1(VALU_DEP_4)
	v_fma_f64 v[15:16], v[42:43], v[38:39], v[15:16]
	v_fma_f64 v[9:10], v[44:45], v[38:39], v[9:10]
	s_waitcnt vmcnt(0)
	s_delay_alu instid0(VALU_DEP_4) | instskip(NEXT) | instid1(VALU_DEP_4)
	v_fma_f64 v[13:14], v[46:47], v[38:39], v[13:14]
	v_fma_f64 v[11:12], v[48:49], v[38:39], v[11:12]
	s_delay_alu instid0(VALU_DEP_4) | instskip(NEXT) | instid1(VALU_DEP_4)
	v_fma_f64 v[15:16], -v[44:45], v[40:41], v[15:16]
	v_fma_f64 v[9:10], v[42:43], v[40:41], v[9:10]
	s_delay_alu instid0(VALU_DEP_4) | instskip(NEXT) | instid1(VALU_DEP_4)
	v_fma_f64 v[13:14], -v[48:49], v[40:41], v[13:14]
	v_fma_f64 v[11:12], v[46:47], v[40:41], v[11:12]
	s_cbranch_scc0 .LBB290_12
; %bb.13:                               ;   in Loop: Header=BB290_11 Depth=1
	v_add_nc_u32_e32 v21, 16, v21
	v_add_nc_u32_e32 v24, 0x1c0, v24
	s_delay_alu instid0(VALU_DEP_2) | instskip(SKIP_1) | instid1(SALU_CYCLE_1)
	v_cmp_ge_i32_e32 vcc_lo, v21, v23
	s_or_b32 s4, vcc_lo, s4
	s_and_not1_b32 exec_lo, exec_lo, s4
	s_cbranch_execnz .LBB290_11
; %bb.14:
	s_or_b32 exec_lo, exec_lo, s4
.LBB290_15:
	s_delay_alu instid0(SALU_CYCLE_1)
	s_or_b32 exec_lo, exec_lo, s1
	s_cbranch_execz .LBB290_17
	s_branch .LBB290_24
.LBB290_16:
                                        ; implicit-def: $vgpr9_vgpr10
                                        ; implicit-def: $vgpr15_vgpr16
                                        ; implicit-def: $vgpr13_vgpr14
                                        ; implicit-def: $vgpr11_vgpr12
.LBB290_17:
	v_mov_b32_e32 v9, 0
	v_mov_b32_e32 v10, 0
	s_delay_alu instid0(VALU_DEP_1)
	v_dual_mov_b32 v16, v10 :: v_dual_mov_b32 v15, v9
	v_dual_mov_b32 v14, v10 :: v_dual_mov_b32 v13, v9
	v_dual_mov_b32 v12, v10 :: v_dual_mov_b32 v11, v9
	s_and_saveexec_b32 s1, s0
	s_cbranch_execz .LBB290_23
; %bb.18:
	v_mul_lo_u32 v11, v18, 28
	v_mov_b32_e32 v9, 0
	v_dual_mov_b32 v10, 0 :: v_dual_mov_b32 v19, 0
	v_mul_lo_u32 v20, v17, 28
	s_mul_i32 s0, s12, 28
	s_delay_alu instid0(VALU_DEP_2) | instskip(SKIP_2) | instid1(VALU_DEP_2)
	v_dual_mov_b32 v16, v10 :: v_dual_mov_b32 v15, v9
	v_mad_u32_u24 v11, v25, 28, v11
	v_dual_mov_b32 v14, v10 :: v_dual_mov_b32 v13, v9
	v_subrev_nc_u32_e32 v21, s0, v11
	v_dual_mov_b32 v12, v10 :: v_dual_mov_b32 v11, v9
	s_mov_b32 s0, 0
.LBB290_19:                             ; =>This Loop Header: Depth=1
                                        ;     Child Loop BB290_20 Depth 2
	v_ashrrev_i32_e32 v18, 31, v17
	s_mov_b32 s4, 0
	s_delay_alu instid0(VALU_DEP_1) | instskip(NEXT) | instid1(VALU_DEP_1)
	v_lshlrev_b64 v[26:27], 2, v[17:18]
	v_add_co_u32 v26, vcc_lo, s6, v26
	s_delay_alu instid0(VALU_DEP_2) | instskip(SKIP_3) | instid1(VALU_DEP_1)
	v_add_co_ci_u32_e32 v27, vcc_lo, s7, v27, vcc_lo
	global_load_b32 v18, v[26:27], off
	s_waitcnt vmcnt(0)
	v_subrev_nc_u32_e32 v18, s12, v18
	v_mul_lo_u32 v22, v18, 14
.LBB290_20:                             ;   Parent Loop BB290_19 Depth=1
                                        ; =>  This Inner Loop Header: Depth=2
	v_add_nc_u32_e32 v18, s4, v21
	s_delay_alu instid0(VALU_DEP_1) | instskip(NEXT) | instid1(VALU_DEP_3)
	v_lshlrev_b64 v[26:27], 4, v[18:19]
	v_add_nc_u32_e32 v18, s4, v22
	s_delay_alu instid0(VALU_DEP_1) | instskip(SKIP_1) | instid1(VALU_DEP_4)
	v_lshlrev_b64 v[30:31], 4, v[18:19]
	v_add3_u32 v18, v20, s4, 14
	v_add_co_u32 v32, vcc_lo, s8, v26
	v_add_co_ci_u32_e32 v33, vcc_lo, s9, v27, vcc_lo
	s_delay_alu instid0(VALU_DEP_3)
	v_lshlrev_b64 v[34:35], 4, v[18:19]
	v_add_co_u32 v38, vcc_lo, s10, v30
	v_add_co_ci_u32_e32 v39, vcc_lo, s11, v31, vcc_lo
	global_load_b128 v[26:29], v[32:33], off offset:16
	v_add_co_u32 v46, vcc_lo, s8, v34
	v_add_co_ci_u32_e32 v47, vcc_lo, s9, v35, vcc_lo
	global_load_b128 v[30:33], v[32:33], off
	s_clause 0x1
	global_load_b128 v[34:37], v[38:39], off
	global_load_b128 v[38:41], v[38:39], off offset:16
	s_clause 0x1
	global_load_b128 v[42:45], v[46:47], off
	global_load_b128 v[46:49], v[46:47], off offset:16
	s_add_i32 s4, s4, 2
	s_delay_alu instid0(SALU_CYCLE_1)
	s_cmp_eq_u32 s4, 14
	s_waitcnt vmcnt(3)
	v_fma_f64 v[15:16], v[30:31], v[34:35], v[15:16]
	v_fma_f64 v[9:10], v[32:33], v[34:35], v[9:10]
	s_waitcnt vmcnt(1)
	v_fma_f64 v[13:14], v[42:43], v[34:35], v[13:14]
	v_fma_f64 v[11:12], v[44:45], v[34:35], v[11:12]
	s_delay_alu instid0(VALU_DEP_4) | instskip(NEXT) | instid1(VALU_DEP_4)
	v_fma_f64 v[15:16], -v[32:33], v[36:37], v[15:16]
	v_fma_f64 v[9:10], v[30:31], v[36:37], v[9:10]
	s_delay_alu instid0(VALU_DEP_4) | instskip(NEXT) | instid1(VALU_DEP_4)
	v_fma_f64 v[13:14], -v[44:45], v[36:37], v[13:14]
	v_fma_f64 v[11:12], v[42:43], v[36:37], v[11:12]
	s_delay_alu instid0(VALU_DEP_4) | instskip(NEXT) | instid1(VALU_DEP_4)
	v_fma_f64 v[15:16], v[26:27], v[38:39], v[15:16]
	v_fma_f64 v[9:10], v[28:29], v[38:39], v[9:10]
	s_waitcnt vmcnt(0)
	s_delay_alu instid0(VALU_DEP_4) | instskip(NEXT) | instid1(VALU_DEP_4)
	v_fma_f64 v[13:14], v[46:47], v[38:39], v[13:14]
	v_fma_f64 v[11:12], v[48:49], v[38:39], v[11:12]
	s_delay_alu instid0(VALU_DEP_4) | instskip(NEXT) | instid1(VALU_DEP_4)
	v_fma_f64 v[15:16], -v[28:29], v[40:41], v[15:16]
	v_fma_f64 v[9:10], v[26:27], v[40:41], v[9:10]
	s_delay_alu instid0(VALU_DEP_4) | instskip(NEXT) | instid1(VALU_DEP_4)
	v_fma_f64 v[13:14], -v[48:49], v[40:41], v[13:14]
	v_fma_f64 v[11:12], v[46:47], v[40:41], v[11:12]
	s_cbranch_scc0 .LBB290_20
; %bb.21:                               ;   in Loop: Header=BB290_19 Depth=1
	v_add_nc_u32_e32 v17, 16, v17
	v_add_nc_u32_e32 v20, 0x1c0, v20
	v_add_nc_u32_e32 v21, 0x1c0, v21
	s_delay_alu instid0(VALU_DEP_3) | instskip(SKIP_1) | instid1(SALU_CYCLE_1)
	v_cmp_ge_i32_e32 vcc_lo, v17, v23
	s_or_b32 s0, vcc_lo, s0
	s_and_not1_b32 exec_lo, exec_lo, s0
	s_cbranch_execnz .LBB290_19
; %bb.22:
	s_or_b32 exec_lo, exec_lo, s0
.LBB290_23:
	s_delay_alu instid0(SALU_CYCLE_1)
	s_or_b32 exec_lo, exec_lo, s1
.LBB290_24:
	v_mbcnt_lo_u32_b32 v26, -1, 0
	s_delay_alu instid0(VALU_DEP_1) | instskip(NEXT) | instid1(VALU_DEP_1)
	v_xor_b32_e32 v17, 8, v26
	v_cmp_gt_i32_e32 vcc_lo, 32, v17
	v_cndmask_b32_e32 v17, v26, v17, vcc_lo
	s_delay_alu instid0(VALU_DEP_1)
	v_lshlrev_b32_e32 v24, 2, v17
	ds_bpermute_b32 v17, v24, v15
	ds_bpermute_b32 v18, v24, v16
	;; [unrolled: 1-line block ×8, first 2 shown]
	s_waitcnt lgkmcnt(6)
	v_add_f64 v[15:16], v[15:16], v[17:18]
	v_xor_b32_e32 v17, 4, v26
	s_waitcnt lgkmcnt(4)
	v_add_f64 v[9:10], v[9:10], v[19:20]
	s_waitcnt lgkmcnt(2)
	v_add_f64 v[13:14], v[13:14], v[21:22]
	s_waitcnt lgkmcnt(0)
	v_add_f64 v[11:12], v[11:12], v[23:24]
	v_cmp_gt_i32_e32 vcc_lo, 32, v17
	v_cndmask_b32_e32 v17, v26, v17, vcc_lo
	s_delay_alu instid0(VALU_DEP_1)
	v_lshlrev_b32_e32 v24, 2, v17
	ds_bpermute_b32 v17, v24, v15
	ds_bpermute_b32 v18, v24, v16
	ds_bpermute_b32 v19, v24, v9
	ds_bpermute_b32 v20, v24, v10
	ds_bpermute_b32 v21, v24, v13
	ds_bpermute_b32 v22, v24, v14
	ds_bpermute_b32 v23, v24, v11
	ds_bpermute_b32 v24, v24, v12
	s_waitcnt lgkmcnt(6)
	v_add_f64 v[15:16], v[15:16], v[17:18]
	s_waitcnt lgkmcnt(4)
	v_add_f64 v[17:18], v[9:10], v[19:20]
	v_xor_b32_e32 v9, 2, v26
	s_waitcnt lgkmcnt(2)
	v_add_f64 v[13:14], v[13:14], v[21:22]
	s_waitcnt lgkmcnt(0)
	v_add_f64 v[19:20], v[11:12], v[23:24]
	v_cmp_gt_i32_e32 vcc_lo, 32, v9
	v_cndmask_b32_e32 v9, v26, v9, vcc_lo
	s_delay_alu instid0(VALU_DEP_1)
	v_lshlrev_b32_e32 v24, 2, v9
	ds_bpermute_b32 v9, v24, v15
	ds_bpermute_b32 v10, v24, v16
	;; [unrolled: 1-line block ×8, first 2 shown]
	s_waitcnt lgkmcnt(6)
	v_add_f64 v[9:10], v[15:16], v[9:10]
	s_waitcnt lgkmcnt(4)
	v_add_f64 v[15:16], v[17:18], v[11:12]
	v_xor_b32_e32 v17, 1, v26
	s_waitcnt lgkmcnt(2)
	v_add_f64 v[11:12], v[13:14], v[21:22]
	s_waitcnt lgkmcnt(0)
	v_add_f64 v[13:14], v[19:20], v[23:24]
	v_cmp_gt_i32_e32 vcc_lo, 32, v17
	v_cndmask_b32_e32 v17, v26, v17, vcc_lo
	v_cmp_eq_u32_e32 vcc_lo, 15, v25
	s_delay_alu instid0(VALU_DEP_2)
	v_lshlrev_b32_e32 v20, 2, v17
	ds_bpermute_b32 v23, v20, v9
	ds_bpermute_b32 v24, v20, v10
	;; [unrolled: 1-line block ×8, first 2 shown]
	s_and_b32 exec_lo, exec_lo, vcc_lo
	s_cbranch_execz .LBB290_29
; %bb.25:
	v_cmp_eq_f64_e32 vcc_lo, 0, v[4:5]
	v_cmp_eq_f64_e64 s0, 0, v[6:7]
	s_waitcnt lgkmcnt(6)
	v_add_f64 v[9:10], v[9:10], v[23:24]
	s_waitcnt lgkmcnt(4)
	v_add_f64 v[15:16], v[15:16], v[21:22]
	s_waitcnt lgkmcnt(2)
	v_add_f64 v[11:12], v[11:12], v[17:18]
	s_waitcnt lgkmcnt(0)
	v_add_f64 v[13:14], v[13:14], v[19:20]
	s_load_b64 s[2:3], s[2:3], 0x48
	s_and_b32 s0, vcc_lo, s0
	s_delay_alu instid0(SALU_CYCLE_1) | instskip(NEXT) | instid1(SALU_CYCLE_1)
	s_and_saveexec_b32 s1, s0
	s_xor_b32 s0, exec_lo, s1
	s_cbranch_execz .LBB290_27
; %bb.26:
	s_delay_alu instid0(VALU_DEP_3) | instskip(SKIP_1) | instid1(VALU_DEP_3)
	v_mul_f64 v[4:5], v[15:16], -v[2:3]
	v_mul_f64 v[6:7], v[0:1], v[15:16]
	v_mul_f64 v[15:16], v[13:14], -v[2:3]
	v_mul_f64 v[13:14], v[0:1], v[13:14]
	v_lshlrev_b32_e32 v8, 1, v8
	v_fma_f64 v[4:5], v[0:1], v[9:10], v[4:5]
	v_fma_f64 v[6:7], v[2:3], v[9:10], v[6:7]
	;; [unrolled: 1-line block ×4, first 2 shown]
	v_ashrrev_i32_e32 v9, 31, v8
                                        ; implicit-def: $vgpr15_vgpr16
                                        ; implicit-def: $vgpr11_vgpr12
                                        ; implicit-def: $vgpr13_vgpr14
	s_delay_alu instid0(VALU_DEP_1) | instskip(SKIP_1) | instid1(VALU_DEP_1)
	v_lshlrev_b64 v[8:9], 4, v[8:9]
	s_waitcnt lgkmcnt(0)
	v_add_co_u32 v8, vcc_lo, s2, v8
	s_delay_alu instid0(VALU_DEP_2)
	v_add_co_ci_u32_e32 v9, vcc_lo, s3, v9, vcc_lo
	s_clause 0x1
	global_store_b128 v[8:9], v[4:7], off
	global_store_b128 v[8:9], v[0:3], off offset:16
                                        ; implicit-def: $vgpr0_vgpr1
                                        ; implicit-def: $vgpr2_vgpr3
                                        ; implicit-def: $vgpr4_vgpr5
                                        ; implicit-def: $vgpr6_vgpr7
                                        ; implicit-def: $vgpr8
                                        ; implicit-def: $vgpr9_vgpr10
.LBB290_27:
	s_and_not1_saveexec_b32 s0, s0
	s_cbranch_execz .LBB290_29
; %bb.28:
	v_lshlrev_b32_e32 v17, 1, v8
	s_delay_alu instid0(VALU_DEP_4) | instskip(SKIP_1) | instid1(VALU_DEP_4)
	v_mul_f64 v[27:28], v[15:16], -v[2:3]
	v_mul_f64 v[15:16], v[0:1], v[15:16]
	v_mul_f64 v[29:30], v[13:14], -v[2:3]
	v_mul_f64 v[13:14], v[0:1], v[13:14]
	v_ashrrev_i32_e32 v18, 31, v17
	s_delay_alu instid0(VALU_DEP_1) | instskip(SKIP_1) | instid1(VALU_DEP_1)
	v_lshlrev_b64 v[17:18], 4, v[17:18]
	s_waitcnt lgkmcnt(0)
	v_add_co_u32 v25, vcc_lo, s2, v17
	s_delay_alu instid0(VALU_DEP_2)
	v_add_co_ci_u32_e32 v26, vcc_lo, s3, v18, vcc_lo
	s_clause 0x1
	global_load_b128 v[17:20], v[25:26], off
	global_load_b128 v[21:24], v[25:26], off offset:16
	v_fma_f64 v[27:28], v[0:1], v[9:10], v[27:28]
	v_fma_f64 v[8:9], v[2:3], v[9:10], v[15:16]
	;; [unrolled: 1-line block ×4, first 2 shown]
	s_waitcnt vmcnt(1)
	s_delay_alu instid0(VALU_DEP_4) | instskip(NEXT) | instid1(VALU_DEP_4)
	v_fma_f64 v[10:11], v[4:5], v[17:18], v[27:28]
	v_fma_f64 v[8:9], v[6:7], v[17:18], v[8:9]
	s_waitcnt vmcnt(0)
	s_delay_alu instid0(VALU_DEP_4) | instskip(NEXT) | instid1(VALU_DEP_4)
	v_fma_f64 v[12:13], v[4:5], v[21:22], v[0:1]
	v_fma_f64 v[14:15], v[6:7], v[21:22], v[2:3]
	s_delay_alu instid0(VALU_DEP_4) | instskip(NEXT) | instid1(VALU_DEP_4)
	v_fma_f64 v[0:1], -v[6:7], v[19:20], v[10:11]
	v_fma_f64 v[2:3], v[4:5], v[19:20], v[8:9]
	s_delay_alu instid0(VALU_DEP_4) | instskip(NEXT) | instid1(VALU_DEP_4)
	v_fma_f64 v[6:7], -v[6:7], v[23:24], v[12:13]
	v_fma_f64 v[8:9], v[4:5], v[23:24], v[14:15]
	s_clause 0x1
	global_store_b128 v[25:26], v[0:3], off
	global_store_b128 v[25:26], v[6:9], off offset:16
.LBB290_29:
	s_nop 0
	s_sendmsg sendmsg(MSG_DEALLOC_VGPRS)
	s_endpgm
	.section	.rodata,"a",@progbits
	.p2align	6, 0x0
	.amdhsa_kernel _ZN9rocsparseL19gebsrmvn_2xn_kernelILj128ELj14ELj16E21rocsparse_complex_numIdEEEvi20rocsparse_direction_NS_24const_host_device_scalarIT2_EEPKiS8_PKS5_SA_S6_PS5_21rocsparse_index_base_b
		.amdhsa_group_segment_fixed_size 2048
		.amdhsa_private_segment_fixed_size 0
		.amdhsa_kernarg_size 88
		.amdhsa_user_sgpr_count 15
		.amdhsa_user_sgpr_dispatch_ptr 1
		.amdhsa_user_sgpr_queue_ptr 0
		.amdhsa_user_sgpr_kernarg_segment_ptr 1
		.amdhsa_user_sgpr_dispatch_id 0
		.amdhsa_user_sgpr_private_segment_size 0
		.amdhsa_wavefront_size32 1
		.amdhsa_uses_dynamic_stack 0
		.amdhsa_enable_private_segment 0
		.amdhsa_system_sgpr_workgroup_id_x 1
		.amdhsa_system_sgpr_workgroup_id_y 0
		.amdhsa_system_sgpr_workgroup_id_z 0
		.amdhsa_system_sgpr_workgroup_info 0
		.amdhsa_system_vgpr_workitem_id 2
		.amdhsa_next_free_vgpr 50
		.amdhsa_next_free_sgpr 18
		.amdhsa_reserve_vcc 1
		.amdhsa_float_round_mode_32 0
		.amdhsa_float_round_mode_16_64 0
		.amdhsa_float_denorm_mode_32 3
		.amdhsa_float_denorm_mode_16_64 3
		.amdhsa_dx10_clamp 1
		.amdhsa_ieee_mode 1
		.amdhsa_fp16_overflow 0
		.amdhsa_workgroup_processor_mode 1
		.amdhsa_memory_ordered 1
		.amdhsa_forward_progress 0
		.amdhsa_shared_vgpr_count 0
		.amdhsa_exception_fp_ieee_invalid_op 0
		.amdhsa_exception_fp_denorm_src 0
		.amdhsa_exception_fp_ieee_div_zero 0
		.amdhsa_exception_fp_ieee_overflow 0
		.amdhsa_exception_fp_ieee_underflow 0
		.amdhsa_exception_fp_ieee_inexact 0
		.amdhsa_exception_int_div_zero 0
	.end_amdhsa_kernel
	.section	.text._ZN9rocsparseL19gebsrmvn_2xn_kernelILj128ELj14ELj16E21rocsparse_complex_numIdEEEvi20rocsparse_direction_NS_24const_host_device_scalarIT2_EEPKiS8_PKS5_SA_S6_PS5_21rocsparse_index_base_b,"axG",@progbits,_ZN9rocsparseL19gebsrmvn_2xn_kernelILj128ELj14ELj16E21rocsparse_complex_numIdEEEvi20rocsparse_direction_NS_24const_host_device_scalarIT2_EEPKiS8_PKS5_SA_S6_PS5_21rocsparse_index_base_b,comdat
.Lfunc_end290:
	.size	_ZN9rocsparseL19gebsrmvn_2xn_kernelILj128ELj14ELj16E21rocsparse_complex_numIdEEEvi20rocsparse_direction_NS_24const_host_device_scalarIT2_EEPKiS8_PKS5_SA_S6_PS5_21rocsparse_index_base_b, .Lfunc_end290-_ZN9rocsparseL19gebsrmvn_2xn_kernelILj128ELj14ELj16E21rocsparse_complex_numIdEEEvi20rocsparse_direction_NS_24const_host_device_scalarIT2_EEPKiS8_PKS5_SA_S6_PS5_21rocsparse_index_base_b
                                        ; -- End function
	.section	.AMDGPU.csdata,"",@progbits
; Kernel info:
; codeLenInByte = 2516
; NumSgprs: 20
; NumVgprs: 50
; ScratchSize: 0
; MemoryBound: 0
; FloatMode: 240
; IeeeMode: 1
; LDSByteSize: 2048 bytes/workgroup (compile time only)
; SGPRBlocks: 2
; VGPRBlocks: 6
; NumSGPRsForWavesPerEU: 20
; NumVGPRsForWavesPerEU: 50
; Occupancy: 16
; WaveLimiterHint : 1
; COMPUTE_PGM_RSRC2:SCRATCH_EN: 0
; COMPUTE_PGM_RSRC2:USER_SGPR: 15
; COMPUTE_PGM_RSRC2:TRAP_HANDLER: 0
; COMPUTE_PGM_RSRC2:TGID_X_EN: 1
; COMPUTE_PGM_RSRC2:TGID_Y_EN: 0
; COMPUTE_PGM_RSRC2:TGID_Z_EN: 0
; COMPUTE_PGM_RSRC2:TIDIG_COMP_CNT: 2
	.section	.text._ZN9rocsparseL19gebsrmvn_2xn_kernelILj128ELj14ELj32E21rocsparse_complex_numIdEEEvi20rocsparse_direction_NS_24const_host_device_scalarIT2_EEPKiS8_PKS5_SA_S6_PS5_21rocsparse_index_base_b,"axG",@progbits,_ZN9rocsparseL19gebsrmvn_2xn_kernelILj128ELj14ELj32E21rocsparse_complex_numIdEEEvi20rocsparse_direction_NS_24const_host_device_scalarIT2_EEPKiS8_PKS5_SA_S6_PS5_21rocsparse_index_base_b,comdat
	.globl	_ZN9rocsparseL19gebsrmvn_2xn_kernelILj128ELj14ELj32E21rocsparse_complex_numIdEEEvi20rocsparse_direction_NS_24const_host_device_scalarIT2_EEPKiS8_PKS5_SA_S6_PS5_21rocsparse_index_base_b ; -- Begin function _ZN9rocsparseL19gebsrmvn_2xn_kernelILj128ELj14ELj32E21rocsparse_complex_numIdEEEvi20rocsparse_direction_NS_24const_host_device_scalarIT2_EEPKiS8_PKS5_SA_S6_PS5_21rocsparse_index_base_b
	.p2align	8
	.type	_ZN9rocsparseL19gebsrmvn_2xn_kernelILj128ELj14ELj32E21rocsparse_complex_numIdEEEvi20rocsparse_direction_NS_24const_host_device_scalarIT2_EEPKiS8_PKS5_SA_S6_PS5_21rocsparse_index_base_b,@function
_ZN9rocsparseL19gebsrmvn_2xn_kernelILj128ELj14ELj32E21rocsparse_complex_numIdEEEvi20rocsparse_direction_NS_24const_host_device_scalarIT2_EEPKiS8_PKS5_SA_S6_PS5_21rocsparse_index_base_b: ; @_ZN9rocsparseL19gebsrmvn_2xn_kernelILj128ELj14ELj32E21rocsparse_complex_numIdEEEvi20rocsparse_direction_NS_24const_host_device_scalarIT2_EEPKiS8_PKS5_SA_S6_PS5_21rocsparse_index_base_b
; %bb.0:
	s_load_b64 s[12:13], s[2:3], 0x50
	s_load_b64 s[16:17], s[0:1], 0x4
	s_load_b128 s[8:11], s[2:3], 0x8
	v_bfe_u32 v1, v0, 10, 10
	s_mov_b64 s[0:1], src_shared_base
	s_load_b128 s[4:7], s[2:3], 0x38
	v_and_b32_e32 v10, 0x3ff, v0
	v_bfe_u32 v0, v0, 20, 10
	s_waitcnt lgkmcnt(0)
	s_bitcmp1_b32 s13, 0
	v_mul_u32_u24_e32 v1, s17, v1
	s_cselect_b32 s0, -1, 0
	s_delay_alu instid0(SALU_CYCLE_1)
	s_and_b32 vcc_lo, s0, exec_lo
	s_cselect_b32 s13, s1, s9
	s_lshr_b32 s14, s16, 16
	v_dual_mov_b32 v2, s4 :: v_dual_mov_b32 v3, s5
	s_mul_i32 s14, s14, s17
	v_mov_b32_e32 v6, s13
	v_mad_u32_u24 v1, s14, v10, v1
	s_delay_alu instid0(VALU_DEP_1) | instskip(SKIP_1) | instid1(VALU_DEP_2)
	v_add_lshl_u32 v4, v1, v0, 3
	v_dual_mov_b32 v0, s8 :: v_dual_mov_b32 v1, s9
	v_add_nc_u32_e32 v5, 0x400, v4
	ds_store_2addr_stride64_b64 v4, v[2:3], v[0:1] offset1:2
	v_dual_mov_b32 v2, s10 :: v_dual_mov_b32 v3, s11
	v_cndmask_b32_e64 v5, s8, v5, s0
	s_xor_b32 s10, s0, -1
	flat_load_b64 v[0:1], v[5:6]
	s_cbranch_vccnz .LBB291_2
; %bb.1:
	v_dual_mov_b32 v2, s8 :: v_dual_mov_b32 v3, s9
	flat_load_b64 v[2:3], v[2:3] offset:8
.LBB291_2:
	s_and_b32 s8, s0, exec_lo
	s_cselect_b32 s1, s1, s5
	v_cndmask_b32_e64 v4, s4, v4, s0
	v_dual_mov_b32 v5, s1 :: v_dual_mov_b32 v6, s6
	v_mov_b32_e32 v7, s7
	s_and_not1_b32 vcc_lo, exec_lo, s10
	flat_load_b64 v[4:5], v[4:5]
	s_cbranch_vccnz .LBB291_4
; %bb.3:
	v_dual_mov_b32 v7, s5 :: v_dual_mov_b32 v6, s4
	flat_load_b64 v[6:7], v[6:7] offset:8
.LBB291_4:
	s_waitcnt vmcnt(1) lgkmcnt(1)
	v_cmp_eq_f64_e32 vcc_lo, 0, v[0:1]
	v_cmp_eq_f64_e64 s0, 0, v[2:3]
	s_delay_alu instid0(VALU_DEP_1)
	s_and_b32 s4, vcc_lo, s0
	s_mov_b32 s0, -1
	s_and_saveexec_b32 s1, s4
	s_cbranch_execz .LBB291_6
; %bb.5:
	s_waitcnt vmcnt(0) lgkmcnt(0)
	v_cmp_neq_f64_e32 vcc_lo, 1.0, v[4:5]
	v_cmp_neq_f64_e64 s0, 0, v[6:7]
	s_delay_alu instid0(VALU_DEP_1) | instskip(NEXT) | instid1(SALU_CYCLE_1)
	s_or_b32 s0, vcc_lo, s0
	s_or_not1_b32 s0, s0, exec_lo
.LBB291_6:
	s_or_b32 exec_lo, exec_lo, s1
	s_and_saveexec_b32 s1, s0
	s_cbranch_execz .LBB291_29
; %bb.7:
	s_load_b64 s[0:1], s[2:3], 0x0
	v_lshrrev_b32_e32 v8, 5, v10
	s_delay_alu instid0(VALU_DEP_1) | instskip(SKIP_1) | instid1(VALU_DEP_1)
	v_lshl_or_b32 v8, s15, 2, v8
	s_waitcnt lgkmcnt(0)
	v_cmp_gt_i32_e32 vcc_lo, s0, v8
	s_and_b32 exec_lo, exec_lo, vcc_lo
	s_cbranch_execz .LBB291_29
; %bb.8:
	s_load_b256 s[4:11], s[2:3], 0x18
	v_ashrrev_i32_e32 v9, 31, v8
	v_and_b32_e32 v25, 31, v10
	s_cmp_lg_u32 s1, 0
	s_delay_alu instid0(VALU_DEP_2) | instskip(SKIP_1) | instid1(VALU_DEP_1)
	v_lshlrev_b64 v[11:12], 2, v[8:9]
	s_waitcnt lgkmcnt(0)
	v_add_co_u32 v11, vcc_lo, s4, v11
	s_delay_alu instid0(VALU_DEP_2) | instskip(SKIP_4) | instid1(VALU_DEP_2)
	v_add_co_ci_u32_e32 v12, vcc_lo, s5, v12, vcc_lo
	global_load_b64 v[18:19], v[11:12], off
	s_waitcnt vmcnt(0)
	v_subrev_nc_u32_e32 v9, s12, v18
	v_subrev_nc_u32_e32 v23, s12, v19
	v_add_nc_u32_e32 v17, v9, v25
	s_delay_alu instid0(VALU_DEP_1)
	v_cmp_lt_i32_e64 s0, v17, v23
	s_cbranch_scc0 .LBB291_16
; %bb.9:
	v_mov_b32_e32 v9, 0
	v_mov_b32_e32 v10, 0
	s_delay_alu instid0(VALU_DEP_1)
	v_dual_mov_b32 v16, v10 :: v_dual_mov_b32 v15, v9
	v_dual_mov_b32 v14, v10 :: v_dual_mov_b32 v13, v9
	;; [unrolled: 1-line block ×3, first 2 shown]
	s_and_saveexec_b32 s1, s0
	s_cbranch_execz .LBB291_15
; %bb.10:
	v_dual_mov_b32 v9, 0 :: v_dual_mov_b32 v20, 0
	v_dual_mov_b32 v10, 0 :: v_dual_mov_b32 v21, v17
	v_mul_lo_u32 v24, v17, 28
	s_mov_b32 s4, 0
	s_delay_alu instid0(VALU_DEP_2)
	v_dual_mov_b32 v16, v10 :: v_dual_mov_b32 v15, v9
	v_dual_mov_b32 v14, v10 :: v_dual_mov_b32 v13, v9
	;; [unrolled: 1-line block ×3, first 2 shown]
.LBB291_11:                             ; =>This Loop Header: Depth=1
                                        ;     Child Loop BB291_12 Depth 2
	v_ashrrev_i32_e32 v22, 31, v21
	s_mov_b32 s5, 0
	s_delay_alu instid0(VALU_DEP_1) | instskip(NEXT) | instid1(VALU_DEP_1)
	v_lshlrev_b64 v[26:27], 2, v[21:22]
	v_add_co_u32 v26, vcc_lo, s6, v26
	s_delay_alu instid0(VALU_DEP_2) | instskip(SKIP_3) | instid1(VALU_DEP_1)
	v_add_co_ci_u32_e32 v27, vcc_lo, s7, v27, vcc_lo
	global_load_b32 v19, v[26:27], off
	s_waitcnt vmcnt(0)
	v_subrev_nc_u32_e32 v19, s12, v19
	v_mul_lo_u32 v22, v19, 14
	v_mov_b32_e32 v19, v24
.LBB291_12:                             ;   Parent Loop BB291_11 Depth=1
                                        ; =>  This Inner Loop Header: Depth=2
	s_delay_alu instid0(VALU_DEP_2) | instskip(NEXT) | instid1(VALU_DEP_2)
	v_dual_mov_b32 v27, v20 :: v_dual_add_nc_u32 v26, s5, v22
	v_lshlrev_b64 v[28:29], 4, v[19:20]
	v_add_nc_u32_e32 v19, 4, v19
	s_add_i32 s5, s5, 2
	s_delay_alu instid0(VALU_DEP_3) | instskip(SKIP_1) | instid1(VALU_DEP_3)
	v_lshlrev_b64 v[26:27], 4, v[26:27]
	s_cmp_eq_u32 s5, 14
	v_add_co_u32 v46, vcc_lo, s8, v28
	v_add_co_ci_u32_e32 v47, vcc_lo, s9, v29, vcc_lo
	s_delay_alu instid0(VALU_DEP_3) | instskip(NEXT) | instid1(VALU_DEP_4)
	v_add_co_u32 v38, vcc_lo, s10, v26
	v_add_co_ci_u32_e32 v39, vcc_lo, s11, v27, vcc_lo
	s_clause 0x1
	global_load_b128 v[26:29], v[46:47], off offset:16
	global_load_b128 v[30:33], v[46:47], off
	s_clause 0x1
	global_load_b128 v[34:37], v[38:39], off
	global_load_b128 v[38:41], v[38:39], off offset:16
	s_clause 0x1
	global_load_b128 v[42:45], v[46:47], off offset:32
	global_load_b128 v[46:49], v[46:47], off offset:48
	s_waitcnt vmcnt(3)
	v_fma_f64 v[15:16], v[30:31], v[34:35], v[15:16]
	v_fma_f64 v[9:10], v[32:33], v[34:35], v[9:10]
	;; [unrolled: 1-line block ×4, first 2 shown]
	s_delay_alu instid0(VALU_DEP_4) | instskip(NEXT) | instid1(VALU_DEP_4)
	v_fma_f64 v[15:16], -v[32:33], v[36:37], v[15:16]
	v_fma_f64 v[9:10], v[30:31], v[36:37], v[9:10]
	s_delay_alu instid0(VALU_DEP_4) | instskip(NEXT) | instid1(VALU_DEP_4)
	v_fma_f64 v[13:14], -v[28:29], v[36:37], v[13:14]
	v_fma_f64 v[11:12], v[26:27], v[36:37], v[11:12]
	s_waitcnt vmcnt(1)
	s_delay_alu instid0(VALU_DEP_4) | instskip(NEXT) | instid1(VALU_DEP_4)
	v_fma_f64 v[15:16], v[42:43], v[38:39], v[15:16]
	v_fma_f64 v[9:10], v[44:45], v[38:39], v[9:10]
	s_waitcnt vmcnt(0)
	s_delay_alu instid0(VALU_DEP_4) | instskip(NEXT) | instid1(VALU_DEP_4)
	v_fma_f64 v[13:14], v[46:47], v[38:39], v[13:14]
	v_fma_f64 v[11:12], v[48:49], v[38:39], v[11:12]
	s_delay_alu instid0(VALU_DEP_4) | instskip(NEXT) | instid1(VALU_DEP_4)
	v_fma_f64 v[15:16], -v[44:45], v[40:41], v[15:16]
	v_fma_f64 v[9:10], v[42:43], v[40:41], v[9:10]
	s_delay_alu instid0(VALU_DEP_4) | instskip(NEXT) | instid1(VALU_DEP_4)
	v_fma_f64 v[13:14], -v[48:49], v[40:41], v[13:14]
	v_fma_f64 v[11:12], v[46:47], v[40:41], v[11:12]
	s_cbranch_scc0 .LBB291_12
; %bb.13:                               ;   in Loop: Header=BB291_11 Depth=1
	v_add_nc_u32_e32 v21, 32, v21
	v_add_nc_u32_e32 v24, 0x380, v24
	s_delay_alu instid0(VALU_DEP_2) | instskip(SKIP_1) | instid1(SALU_CYCLE_1)
	v_cmp_ge_i32_e32 vcc_lo, v21, v23
	s_or_b32 s4, vcc_lo, s4
	s_and_not1_b32 exec_lo, exec_lo, s4
	s_cbranch_execnz .LBB291_11
; %bb.14:
	s_or_b32 exec_lo, exec_lo, s4
.LBB291_15:
	s_delay_alu instid0(SALU_CYCLE_1)
	s_or_b32 exec_lo, exec_lo, s1
	s_cbranch_execz .LBB291_17
	s_branch .LBB291_24
.LBB291_16:
                                        ; implicit-def: $vgpr9_vgpr10
                                        ; implicit-def: $vgpr15_vgpr16
                                        ; implicit-def: $vgpr13_vgpr14
                                        ; implicit-def: $vgpr11_vgpr12
.LBB291_17:
	v_mov_b32_e32 v9, 0
	v_mov_b32_e32 v10, 0
	s_delay_alu instid0(VALU_DEP_1)
	v_dual_mov_b32 v16, v10 :: v_dual_mov_b32 v15, v9
	v_dual_mov_b32 v14, v10 :: v_dual_mov_b32 v13, v9
	;; [unrolled: 1-line block ×3, first 2 shown]
	s_and_saveexec_b32 s1, s0
	s_cbranch_execz .LBB291_23
; %bb.18:
	v_mul_lo_u32 v11, v18, 28
	v_mov_b32_e32 v9, 0
	v_dual_mov_b32 v10, 0 :: v_dual_mov_b32 v19, 0
	v_mul_lo_u32 v20, v17, 28
	s_mul_i32 s0, s12, 28
	s_delay_alu instid0(VALU_DEP_2) | instskip(SKIP_2) | instid1(VALU_DEP_2)
	v_dual_mov_b32 v16, v10 :: v_dual_mov_b32 v15, v9
	v_mad_u32_u24 v11, v25, 28, v11
	v_dual_mov_b32 v14, v10 :: v_dual_mov_b32 v13, v9
	v_subrev_nc_u32_e32 v21, s0, v11
	v_dual_mov_b32 v12, v10 :: v_dual_mov_b32 v11, v9
	s_mov_b32 s0, 0
.LBB291_19:                             ; =>This Loop Header: Depth=1
                                        ;     Child Loop BB291_20 Depth 2
	v_ashrrev_i32_e32 v18, 31, v17
	s_mov_b32 s4, 0
	s_delay_alu instid0(VALU_DEP_1) | instskip(NEXT) | instid1(VALU_DEP_1)
	v_lshlrev_b64 v[26:27], 2, v[17:18]
	v_add_co_u32 v26, vcc_lo, s6, v26
	s_delay_alu instid0(VALU_DEP_2) | instskip(SKIP_3) | instid1(VALU_DEP_1)
	v_add_co_ci_u32_e32 v27, vcc_lo, s7, v27, vcc_lo
	global_load_b32 v18, v[26:27], off
	s_waitcnt vmcnt(0)
	v_subrev_nc_u32_e32 v18, s12, v18
	v_mul_lo_u32 v22, v18, 14
.LBB291_20:                             ;   Parent Loop BB291_19 Depth=1
                                        ; =>  This Inner Loop Header: Depth=2
	v_add_nc_u32_e32 v18, s4, v21
	s_delay_alu instid0(VALU_DEP_1) | instskip(NEXT) | instid1(VALU_DEP_3)
	v_lshlrev_b64 v[26:27], 4, v[18:19]
	v_add_nc_u32_e32 v18, s4, v22
	s_delay_alu instid0(VALU_DEP_1) | instskip(SKIP_1) | instid1(VALU_DEP_4)
	v_lshlrev_b64 v[30:31], 4, v[18:19]
	v_add3_u32 v18, v20, s4, 14
	v_add_co_u32 v32, vcc_lo, s8, v26
	v_add_co_ci_u32_e32 v33, vcc_lo, s9, v27, vcc_lo
	s_delay_alu instid0(VALU_DEP_3)
	v_lshlrev_b64 v[34:35], 4, v[18:19]
	v_add_co_u32 v38, vcc_lo, s10, v30
	v_add_co_ci_u32_e32 v39, vcc_lo, s11, v31, vcc_lo
	global_load_b128 v[26:29], v[32:33], off offset:16
	v_add_co_u32 v46, vcc_lo, s8, v34
	v_add_co_ci_u32_e32 v47, vcc_lo, s9, v35, vcc_lo
	global_load_b128 v[30:33], v[32:33], off
	s_clause 0x1
	global_load_b128 v[34:37], v[38:39], off
	global_load_b128 v[38:41], v[38:39], off offset:16
	s_clause 0x1
	global_load_b128 v[42:45], v[46:47], off
	global_load_b128 v[46:49], v[46:47], off offset:16
	s_add_i32 s4, s4, 2
	s_delay_alu instid0(SALU_CYCLE_1)
	s_cmp_eq_u32 s4, 14
	s_waitcnt vmcnt(3)
	v_fma_f64 v[15:16], v[30:31], v[34:35], v[15:16]
	v_fma_f64 v[9:10], v[32:33], v[34:35], v[9:10]
	s_waitcnt vmcnt(1)
	v_fma_f64 v[13:14], v[42:43], v[34:35], v[13:14]
	v_fma_f64 v[11:12], v[44:45], v[34:35], v[11:12]
	s_delay_alu instid0(VALU_DEP_4) | instskip(NEXT) | instid1(VALU_DEP_4)
	v_fma_f64 v[15:16], -v[32:33], v[36:37], v[15:16]
	v_fma_f64 v[9:10], v[30:31], v[36:37], v[9:10]
	s_delay_alu instid0(VALU_DEP_4) | instskip(NEXT) | instid1(VALU_DEP_4)
	v_fma_f64 v[13:14], -v[44:45], v[36:37], v[13:14]
	v_fma_f64 v[11:12], v[42:43], v[36:37], v[11:12]
	s_delay_alu instid0(VALU_DEP_4) | instskip(NEXT) | instid1(VALU_DEP_4)
	v_fma_f64 v[15:16], v[26:27], v[38:39], v[15:16]
	v_fma_f64 v[9:10], v[28:29], v[38:39], v[9:10]
	s_waitcnt vmcnt(0)
	s_delay_alu instid0(VALU_DEP_4) | instskip(NEXT) | instid1(VALU_DEP_4)
	v_fma_f64 v[13:14], v[46:47], v[38:39], v[13:14]
	v_fma_f64 v[11:12], v[48:49], v[38:39], v[11:12]
	s_delay_alu instid0(VALU_DEP_4) | instskip(NEXT) | instid1(VALU_DEP_4)
	v_fma_f64 v[15:16], -v[28:29], v[40:41], v[15:16]
	v_fma_f64 v[9:10], v[26:27], v[40:41], v[9:10]
	s_delay_alu instid0(VALU_DEP_4) | instskip(NEXT) | instid1(VALU_DEP_4)
	v_fma_f64 v[13:14], -v[48:49], v[40:41], v[13:14]
	v_fma_f64 v[11:12], v[46:47], v[40:41], v[11:12]
	s_cbranch_scc0 .LBB291_20
; %bb.21:                               ;   in Loop: Header=BB291_19 Depth=1
	v_add_nc_u32_e32 v17, 32, v17
	v_add_nc_u32_e32 v20, 0x380, v20
	;; [unrolled: 1-line block ×3, first 2 shown]
	s_delay_alu instid0(VALU_DEP_3) | instskip(SKIP_1) | instid1(SALU_CYCLE_1)
	v_cmp_ge_i32_e32 vcc_lo, v17, v23
	s_or_b32 s0, vcc_lo, s0
	s_and_not1_b32 exec_lo, exec_lo, s0
	s_cbranch_execnz .LBB291_19
; %bb.22:
	s_or_b32 exec_lo, exec_lo, s0
.LBB291_23:
	s_delay_alu instid0(SALU_CYCLE_1)
	s_or_b32 exec_lo, exec_lo, s1
.LBB291_24:
	v_mbcnt_lo_u32_b32 v26, -1, 0
	s_delay_alu instid0(VALU_DEP_1) | instskip(NEXT) | instid1(VALU_DEP_1)
	v_xor_b32_e32 v17, 16, v26
	v_cmp_gt_i32_e32 vcc_lo, 32, v17
	v_cndmask_b32_e32 v17, v26, v17, vcc_lo
	s_delay_alu instid0(VALU_DEP_1)
	v_lshlrev_b32_e32 v24, 2, v17
	ds_bpermute_b32 v17, v24, v15
	ds_bpermute_b32 v18, v24, v16
	;; [unrolled: 1-line block ×8, first 2 shown]
	s_waitcnt lgkmcnt(6)
	v_add_f64 v[15:16], v[15:16], v[17:18]
	v_xor_b32_e32 v17, 8, v26
	s_waitcnt lgkmcnt(4)
	v_add_f64 v[9:10], v[9:10], v[19:20]
	s_waitcnt lgkmcnt(2)
	v_add_f64 v[13:14], v[13:14], v[21:22]
	;; [unrolled: 2-line block ×3, first 2 shown]
	v_cmp_gt_i32_e32 vcc_lo, 32, v17
	v_cndmask_b32_e32 v17, v26, v17, vcc_lo
	s_delay_alu instid0(VALU_DEP_1)
	v_lshlrev_b32_e32 v24, 2, v17
	ds_bpermute_b32 v17, v24, v15
	ds_bpermute_b32 v18, v24, v16
	;; [unrolled: 1-line block ×8, first 2 shown]
	s_waitcnt lgkmcnt(6)
	v_add_f64 v[15:16], v[15:16], v[17:18]
	v_xor_b32_e32 v17, 4, v26
	s_waitcnt lgkmcnt(4)
	v_add_f64 v[9:10], v[9:10], v[19:20]
	s_waitcnt lgkmcnt(2)
	v_add_f64 v[13:14], v[13:14], v[21:22]
	;; [unrolled: 2-line block ×3, first 2 shown]
	v_cmp_gt_i32_e32 vcc_lo, 32, v17
	v_cndmask_b32_e32 v17, v26, v17, vcc_lo
	s_delay_alu instid0(VALU_DEP_1)
	v_lshlrev_b32_e32 v24, 2, v17
	ds_bpermute_b32 v17, v24, v15
	ds_bpermute_b32 v18, v24, v16
	;; [unrolled: 1-line block ×8, first 2 shown]
	s_waitcnt lgkmcnt(6)
	v_add_f64 v[15:16], v[15:16], v[17:18]
	s_waitcnt lgkmcnt(4)
	v_add_f64 v[17:18], v[9:10], v[19:20]
	v_xor_b32_e32 v9, 2, v26
	s_waitcnt lgkmcnt(2)
	v_add_f64 v[13:14], v[13:14], v[21:22]
	s_waitcnt lgkmcnt(0)
	v_add_f64 v[19:20], v[11:12], v[23:24]
	v_cmp_gt_i32_e32 vcc_lo, 32, v9
	v_cndmask_b32_e32 v9, v26, v9, vcc_lo
	s_delay_alu instid0(VALU_DEP_1)
	v_lshlrev_b32_e32 v24, 2, v9
	ds_bpermute_b32 v9, v24, v15
	ds_bpermute_b32 v10, v24, v16
	;; [unrolled: 1-line block ×8, first 2 shown]
	s_waitcnt lgkmcnt(6)
	v_add_f64 v[9:10], v[15:16], v[9:10]
	s_waitcnt lgkmcnt(4)
	v_add_f64 v[15:16], v[17:18], v[11:12]
	v_xor_b32_e32 v17, 1, v26
	s_waitcnt lgkmcnt(2)
	v_add_f64 v[11:12], v[13:14], v[21:22]
	s_waitcnt lgkmcnt(0)
	v_add_f64 v[13:14], v[19:20], v[23:24]
	v_cmp_gt_i32_e32 vcc_lo, 32, v17
	v_cndmask_b32_e32 v17, v26, v17, vcc_lo
	v_cmp_eq_u32_e32 vcc_lo, 31, v25
	s_delay_alu instid0(VALU_DEP_2)
	v_lshlrev_b32_e32 v20, 2, v17
	ds_bpermute_b32 v23, v20, v9
	ds_bpermute_b32 v24, v20, v10
	;; [unrolled: 1-line block ×8, first 2 shown]
	s_and_b32 exec_lo, exec_lo, vcc_lo
	s_cbranch_execz .LBB291_29
; %bb.25:
	v_cmp_eq_f64_e32 vcc_lo, 0, v[4:5]
	v_cmp_eq_f64_e64 s0, 0, v[6:7]
	s_waitcnt lgkmcnt(6)
	v_add_f64 v[9:10], v[9:10], v[23:24]
	s_waitcnt lgkmcnt(4)
	v_add_f64 v[15:16], v[15:16], v[21:22]
	;; [unrolled: 2-line block ×4, first 2 shown]
	s_load_b64 s[2:3], s[2:3], 0x48
	s_and_b32 s0, vcc_lo, s0
	s_delay_alu instid0(SALU_CYCLE_1) | instskip(NEXT) | instid1(SALU_CYCLE_1)
	s_and_saveexec_b32 s1, s0
	s_xor_b32 s0, exec_lo, s1
	s_cbranch_execz .LBB291_27
; %bb.26:
	s_delay_alu instid0(VALU_DEP_3) | instskip(SKIP_1) | instid1(VALU_DEP_3)
	v_mul_f64 v[4:5], v[15:16], -v[2:3]
	v_mul_f64 v[6:7], v[0:1], v[15:16]
	v_mul_f64 v[15:16], v[13:14], -v[2:3]
	v_mul_f64 v[13:14], v[0:1], v[13:14]
	v_lshlrev_b32_e32 v8, 1, v8
	v_fma_f64 v[4:5], v[0:1], v[9:10], v[4:5]
	v_fma_f64 v[6:7], v[2:3], v[9:10], v[6:7]
	v_fma_f64 v[0:1], v[0:1], v[11:12], v[15:16]
	v_fma_f64 v[2:3], v[2:3], v[11:12], v[13:14]
	v_ashrrev_i32_e32 v9, 31, v8
                                        ; implicit-def: $vgpr15_vgpr16
                                        ; implicit-def: $vgpr11_vgpr12
                                        ; implicit-def: $vgpr13_vgpr14
	s_delay_alu instid0(VALU_DEP_1) | instskip(SKIP_1) | instid1(VALU_DEP_1)
	v_lshlrev_b64 v[8:9], 4, v[8:9]
	s_waitcnt lgkmcnt(0)
	v_add_co_u32 v8, vcc_lo, s2, v8
	s_delay_alu instid0(VALU_DEP_2)
	v_add_co_ci_u32_e32 v9, vcc_lo, s3, v9, vcc_lo
	s_clause 0x1
	global_store_b128 v[8:9], v[4:7], off
	global_store_b128 v[8:9], v[0:3], off offset:16
                                        ; implicit-def: $vgpr0_vgpr1
                                        ; implicit-def: $vgpr2_vgpr3
                                        ; implicit-def: $vgpr4_vgpr5
                                        ; implicit-def: $vgpr6_vgpr7
                                        ; implicit-def: $vgpr8
                                        ; implicit-def: $vgpr9_vgpr10
.LBB291_27:
	s_and_not1_saveexec_b32 s0, s0
	s_cbranch_execz .LBB291_29
; %bb.28:
	v_lshlrev_b32_e32 v17, 1, v8
	s_delay_alu instid0(VALU_DEP_4) | instskip(SKIP_1) | instid1(VALU_DEP_4)
	v_mul_f64 v[27:28], v[15:16], -v[2:3]
	v_mul_f64 v[15:16], v[0:1], v[15:16]
	v_mul_f64 v[29:30], v[13:14], -v[2:3]
	v_mul_f64 v[13:14], v[0:1], v[13:14]
	v_ashrrev_i32_e32 v18, 31, v17
	s_delay_alu instid0(VALU_DEP_1) | instskip(SKIP_1) | instid1(VALU_DEP_1)
	v_lshlrev_b64 v[17:18], 4, v[17:18]
	s_waitcnt lgkmcnt(0)
	v_add_co_u32 v25, vcc_lo, s2, v17
	s_delay_alu instid0(VALU_DEP_2)
	v_add_co_ci_u32_e32 v26, vcc_lo, s3, v18, vcc_lo
	s_clause 0x1
	global_load_b128 v[17:20], v[25:26], off
	global_load_b128 v[21:24], v[25:26], off offset:16
	v_fma_f64 v[27:28], v[0:1], v[9:10], v[27:28]
	v_fma_f64 v[8:9], v[2:3], v[9:10], v[15:16]
	;; [unrolled: 1-line block ×4, first 2 shown]
	s_waitcnt vmcnt(1)
	s_delay_alu instid0(VALU_DEP_4) | instskip(NEXT) | instid1(VALU_DEP_4)
	v_fma_f64 v[10:11], v[4:5], v[17:18], v[27:28]
	v_fma_f64 v[8:9], v[6:7], v[17:18], v[8:9]
	s_waitcnt vmcnt(0)
	s_delay_alu instid0(VALU_DEP_4) | instskip(NEXT) | instid1(VALU_DEP_4)
	v_fma_f64 v[12:13], v[4:5], v[21:22], v[0:1]
	v_fma_f64 v[14:15], v[6:7], v[21:22], v[2:3]
	s_delay_alu instid0(VALU_DEP_4) | instskip(NEXT) | instid1(VALU_DEP_4)
	v_fma_f64 v[0:1], -v[6:7], v[19:20], v[10:11]
	v_fma_f64 v[2:3], v[4:5], v[19:20], v[8:9]
	s_delay_alu instid0(VALU_DEP_4) | instskip(NEXT) | instid1(VALU_DEP_4)
	v_fma_f64 v[6:7], -v[6:7], v[23:24], v[12:13]
	v_fma_f64 v[8:9], v[4:5], v[23:24], v[14:15]
	s_clause 0x1
	global_store_b128 v[25:26], v[0:3], off
	global_store_b128 v[25:26], v[6:9], off offset:16
.LBB291_29:
	s_nop 0
	s_sendmsg sendmsg(MSG_DEALLOC_VGPRS)
	s_endpgm
	.section	.rodata,"a",@progbits
	.p2align	6, 0x0
	.amdhsa_kernel _ZN9rocsparseL19gebsrmvn_2xn_kernelILj128ELj14ELj32E21rocsparse_complex_numIdEEEvi20rocsparse_direction_NS_24const_host_device_scalarIT2_EEPKiS8_PKS5_SA_S6_PS5_21rocsparse_index_base_b
		.amdhsa_group_segment_fixed_size 2048
		.amdhsa_private_segment_fixed_size 0
		.amdhsa_kernarg_size 88
		.amdhsa_user_sgpr_count 15
		.amdhsa_user_sgpr_dispatch_ptr 1
		.amdhsa_user_sgpr_queue_ptr 0
		.amdhsa_user_sgpr_kernarg_segment_ptr 1
		.amdhsa_user_sgpr_dispatch_id 0
		.amdhsa_user_sgpr_private_segment_size 0
		.amdhsa_wavefront_size32 1
		.amdhsa_uses_dynamic_stack 0
		.amdhsa_enable_private_segment 0
		.amdhsa_system_sgpr_workgroup_id_x 1
		.amdhsa_system_sgpr_workgroup_id_y 0
		.amdhsa_system_sgpr_workgroup_id_z 0
		.amdhsa_system_sgpr_workgroup_info 0
		.amdhsa_system_vgpr_workitem_id 2
		.amdhsa_next_free_vgpr 50
		.amdhsa_next_free_sgpr 18
		.amdhsa_reserve_vcc 1
		.amdhsa_float_round_mode_32 0
		.amdhsa_float_round_mode_16_64 0
		.amdhsa_float_denorm_mode_32 3
		.amdhsa_float_denorm_mode_16_64 3
		.amdhsa_dx10_clamp 1
		.amdhsa_ieee_mode 1
		.amdhsa_fp16_overflow 0
		.amdhsa_workgroup_processor_mode 1
		.amdhsa_memory_ordered 1
		.amdhsa_forward_progress 0
		.amdhsa_shared_vgpr_count 0
		.amdhsa_exception_fp_ieee_invalid_op 0
		.amdhsa_exception_fp_denorm_src 0
		.amdhsa_exception_fp_ieee_div_zero 0
		.amdhsa_exception_fp_ieee_overflow 0
		.amdhsa_exception_fp_ieee_underflow 0
		.amdhsa_exception_fp_ieee_inexact 0
		.amdhsa_exception_int_div_zero 0
	.end_amdhsa_kernel
	.section	.text._ZN9rocsparseL19gebsrmvn_2xn_kernelILj128ELj14ELj32E21rocsparse_complex_numIdEEEvi20rocsparse_direction_NS_24const_host_device_scalarIT2_EEPKiS8_PKS5_SA_S6_PS5_21rocsparse_index_base_b,"axG",@progbits,_ZN9rocsparseL19gebsrmvn_2xn_kernelILj128ELj14ELj32E21rocsparse_complex_numIdEEEvi20rocsparse_direction_NS_24const_host_device_scalarIT2_EEPKiS8_PKS5_SA_S6_PS5_21rocsparse_index_base_b,comdat
.Lfunc_end291:
	.size	_ZN9rocsparseL19gebsrmvn_2xn_kernelILj128ELj14ELj32E21rocsparse_complex_numIdEEEvi20rocsparse_direction_NS_24const_host_device_scalarIT2_EEPKiS8_PKS5_SA_S6_PS5_21rocsparse_index_base_b, .Lfunc_end291-_ZN9rocsparseL19gebsrmvn_2xn_kernelILj128ELj14ELj32E21rocsparse_complex_numIdEEEvi20rocsparse_direction_NS_24const_host_device_scalarIT2_EEPKiS8_PKS5_SA_S6_PS5_21rocsparse_index_base_b
                                        ; -- End function
	.section	.AMDGPU.csdata,"",@progbits
; Kernel info:
; codeLenInByte = 2648
; NumSgprs: 20
; NumVgprs: 50
; ScratchSize: 0
; MemoryBound: 0
; FloatMode: 240
; IeeeMode: 1
; LDSByteSize: 2048 bytes/workgroup (compile time only)
; SGPRBlocks: 2
; VGPRBlocks: 6
; NumSGPRsForWavesPerEU: 20
; NumVGPRsForWavesPerEU: 50
; Occupancy: 16
; WaveLimiterHint : 1
; COMPUTE_PGM_RSRC2:SCRATCH_EN: 0
; COMPUTE_PGM_RSRC2:USER_SGPR: 15
; COMPUTE_PGM_RSRC2:TRAP_HANDLER: 0
; COMPUTE_PGM_RSRC2:TGID_X_EN: 1
; COMPUTE_PGM_RSRC2:TGID_Y_EN: 0
; COMPUTE_PGM_RSRC2:TGID_Z_EN: 0
; COMPUTE_PGM_RSRC2:TIDIG_COMP_CNT: 2
	.section	.text._ZN9rocsparseL19gebsrmvn_2xn_kernelILj128ELj14ELj64E21rocsparse_complex_numIdEEEvi20rocsparse_direction_NS_24const_host_device_scalarIT2_EEPKiS8_PKS5_SA_S6_PS5_21rocsparse_index_base_b,"axG",@progbits,_ZN9rocsparseL19gebsrmvn_2xn_kernelILj128ELj14ELj64E21rocsparse_complex_numIdEEEvi20rocsparse_direction_NS_24const_host_device_scalarIT2_EEPKiS8_PKS5_SA_S6_PS5_21rocsparse_index_base_b,comdat
	.globl	_ZN9rocsparseL19gebsrmvn_2xn_kernelILj128ELj14ELj64E21rocsparse_complex_numIdEEEvi20rocsparse_direction_NS_24const_host_device_scalarIT2_EEPKiS8_PKS5_SA_S6_PS5_21rocsparse_index_base_b ; -- Begin function _ZN9rocsparseL19gebsrmvn_2xn_kernelILj128ELj14ELj64E21rocsparse_complex_numIdEEEvi20rocsparse_direction_NS_24const_host_device_scalarIT2_EEPKiS8_PKS5_SA_S6_PS5_21rocsparse_index_base_b
	.p2align	8
	.type	_ZN9rocsparseL19gebsrmvn_2xn_kernelILj128ELj14ELj64E21rocsparse_complex_numIdEEEvi20rocsparse_direction_NS_24const_host_device_scalarIT2_EEPKiS8_PKS5_SA_S6_PS5_21rocsparse_index_base_b,@function
_ZN9rocsparseL19gebsrmvn_2xn_kernelILj128ELj14ELj64E21rocsparse_complex_numIdEEEvi20rocsparse_direction_NS_24const_host_device_scalarIT2_EEPKiS8_PKS5_SA_S6_PS5_21rocsparse_index_base_b: ; @_ZN9rocsparseL19gebsrmvn_2xn_kernelILj128ELj14ELj64E21rocsparse_complex_numIdEEEvi20rocsparse_direction_NS_24const_host_device_scalarIT2_EEPKiS8_PKS5_SA_S6_PS5_21rocsparse_index_base_b
; %bb.0:
	s_load_b64 s[12:13], s[2:3], 0x50
	s_load_b64 s[16:17], s[0:1], 0x4
	s_load_b128 s[8:11], s[2:3], 0x8
	v_bfe_u32 v1, v0, 10, 10
	s_mov_b64 s[0:1], src_shared_base
	s_load_b128 s[4:7], s[2:3], 0x38
	v_and_b32_e32 v10, 0x3ff, v0
	v_bfe_u32 v0, v0, 20, 10
	s_waitcnt lgkmcnt(0)
	s_bitcmp1_b32 s13, 0
	v_mul_u32_u24_e32 v1, s17, v1
	s_cselect_b32 s0, -1, 0
	s_delay_alu instid0(SALU_CYCLE_1)
	s_and_b32 vcc_lo, s0, exec_lo
	s_cselect_b32 s13, s1, s9
	s_lshr_b32 s14, s16, 16
	v_dual_mov_b32 v2, s4 :: v_dual_mov_b32 v3, s5
	s_mul_i32 s14, s14, s17
	v_mov_b32_e32 v6, s13
	v_mad_u32_u24 v1, s14, v10, v1
	s_delay_alu instid0(VALU_DEP_1) | instskip(SKIP_1) | instid1(VALU_DEP_2)
	v_add_lshl_u32 v4, v1, v0, 3
	v_dual_mov_b32 v0, s8 :: v_dual_mov_b32 v1, s9
	v_add_nc_u32_e32 v5, 0x400, v4
	ds_store_2addr_stride64_b64 v4, v[2:3], v[0:1] offset1:2
	v_dual_mov_b32 v2, s10 :: v_dual_mov_b32 v3, s11
	v_cndmask_b32_e64 v5, s8, v5, s0
	s_xor_b32 s10, s0, -1
	flat_load_b64 v[0:1], v[5:6]
	s_cbranch_vccnz .LBB292_2
; %bb.1:
	v_dual_mov_b32 v2, s8 :: v_dual_mov_b32 v3, s9
	flat_load_b64 v[2:3], v[2:3] offset:8
.LBB292_2:
	s_and_b32 s8, s0, exec_lo
	s_cselect_b32 s1, s1, s5
	v_cndmask_b32_e64 v4, s4, v4, s0
	v_dual_mov_b32 v5, s1 :: v_dual_mov_b32 v6, s6
	v_mov_b32_e32 v7, s7
	s_and_not1_b32 vcc_lo, exec_lo, s10
	flat_load_b64 v[4:5], v[4:5]
	s_cbranch_vccnz .LBB292_4
; %bb.3:
	v_dual_mov_b32 v7, s5 :: v_dual_mov_b32 v6, s4
	flat_load_b64 v[6:7], v[6:7] offset:8
.LBB292_4:
	s_waitcnt vmcnt(1) lgkmcnt(1)
	v_cmp_eq_f64_e32 vcc_lo, 0, v[0:1]
	v_cmp_eq_f64_e64 s0, 0, v[2:3]
	s_delay_alu instid0(VALU_DEP_1)
	s_and_b32 s4, vcc_lo, s0
	s_mov_b32 s0, -1
	s_and_saveexec_b32 s1, s4
	s_cbranch_execz .LBB292_6
; %bb.5:
	s_waitcnt vmcnt(0) lgkmcnt(0)
	v_cmp_neq_f64_e32 vcc_lo, 1.0, v[4:5]
	v_cmp_neq_f64_e64 s0, 0, v[6:7]
	s_delay_alu instid0(VALU_DEP_1) | instskip(NEXT) | instid1(SALU_CYCLE_1)
	s_or_b32 s0, vcc_lo, s0
	s_or_not1_b32 s0, s0, exec_lo
.LBB292_6:
	s_or_b32 exec_lo, exec_lo, s1
	s_and_saveexec_b32 s1, s0
	s_cbranch_execz .LBB292_29
; %bb.7:
	s_load_b64 s[0:1], s[2:3], 0x0
	v_lshrrev_b32_e32 v8, 6, v10
	s_delay_alu instid0(VALU_DEP_1) | instskip(SKIP_1) | instid1(VALU_DEP_1)
	v_lshl_or_b32 v8, s15, 1, v8
	s_waitcnt lgkmcnt(0)
	v_cmp_gt_i32_e32 vcc_lo, s0, v8
	s_and_b32 exec_lo, exec_lo, vcc_lo
	s_cbranch_execz .LBB292_29
; %bb.8:
	s_load_b256 s[4:11], s[2:3], 0x18
	v_ashrrev_i32_e32 v9, 31, v8
	v_and_b32_e32 v25, 63, v10
	s_cmp_lg_u32 s1, 0
	s_delay_alu instid0(VALU_DEP_2) | instskip(SKIP_1) | instid1(VALU_DEP_1)
	v_lshlrev_b64 v[11:12], 2, v[8:9]
	s_waitcnt lgkmcnt(0)
	v_add_co_u32 v11, vcc_lo, s4, v11
	s_delay_alu instid0(VALU_DEP_2) | instskip(SKIP_4) | instid1(VALU_DEP_2)
	v_add_co_ci_u32_e32 v12, vcc_lo, s5, v12, vcc_lo
	global_load_b64 v[18:19], v[11:12], off
	s_waitcnt vmcnt(0)
	v_subrev_nc_u32_e32 v9, s12, v18
	v_subrev_nc_u32_e32 v23, s12, v19
	v_add_nc_u32_e32 v17, v9, v25
	s_delay_alu instid0(VALU_DEP_1)
	v_cmp_lt_i32_e64 s0, v17, v23
	s_cbranch_scc0 .LBB292_16
; %bb.9:
	v_mov_b32_e32 v9, 0
	v_mov_b32_e32 v10, 0
	s_delay_alu instid0(VALU_DEP_1)
	v_dual_mov_b32 v16, v10 :: v_dual_mov_b32 v15, v9
	v_dual_mov_b32 v14, v10 :: v_dual_mov_b32 v13, v9
	;; [unrolled: 1-line block ×3, first 2 shown]
	s_and_saveexec_b32 s1, s0
	s_cbranch_execz .LBB292_15
; %bb.10:
	v_dual_mov_b32 v9, 0 :: v_dual_mov_b32 v20, 0
	v_dual_mov_b32 v10, 0 :: v_dual_mov_b32 v21, v17
	v_mul_lo_u32 v24, v17, 28
	s_mov_b32 s4, 0
	s_delay_alu instid0(VALU_DEP_2)
	v_dual_mov_b32 v16, v10 :: v_dual_mov_b32 v15, v9
	v_dual_mov_b32 v14, v10 :: v_dual_mov_b32 v13, v9
	;; [unrolled: 1-line block ×3, first 2 shown]
.LBB292_11:                             ; =>This Loop Header: Depth=1
                                        ;     Child Loop BB292_12 Depth 2
	v_ashrrev_i32_e32 v22, 31, v21
	s_mov_b32 s5, 0
	s_delay_alu instid0(VALU_DEP_1) | instskip(NEXT) | instid1(VALU_DEP_1)
	v_lshlrev_b64 v[26:27], 2, v[21:22]
	v_add_co_u32 v26, vcc_lo, s6, v26
	s_delay_alu instid0(VALU_DEP_2) | instskip(SKIP_3) | instid1(VALU_DEP_1)
	v_add_co_ci_u32_e32 v27, vcc_lo, s7, v27, vcc_lo
	global_load_b32 v19, v[26:27], off
	s_waitcnt vmcnt(0)
	v_subrev_nc_u32_e32 v19, s12, v19
	v_mul_lo_u32 v22, v19, 14
	v_mov_b32_e32 v19, v24
.LBB292_12:                             ;   Parent Loop BB292_11 Depth=1
                                        ; =>  This Inner Loop Header: Depth=2
	s_delay_alu instid0(VALU_DEP_2) | instskip(NEXT) | instid1(VALU_DEP_2)
	v_dual_mov_b32 v27, v20 :: v_dual_add_nc_u32 v26, s5, v22
	v_lshlrev_b64 v[28:29], 4, v[19:20]
	v_add_nc_u32_e32 v19, 4, v19
	s_add_i32 s5, s5, 2
	s_delay_alu instid0(VALU_DEP_3) | instskip(SKIP_1) | instid1(VALU_DEP_3)
	v_lshlrev_b64 v[26:27], 4, v[26:27]
	s_cmp_eq_u32 s5, 14
	v_add_co_u32 v46, vcc_lo, s8, v28
	v_add_co_ci_u32_e32 v47, vcc_lo, s9, v29, vcc_lo
	s_delay_alu instid0(VALU_DEP_3) | instskip(NEXT) | instid1(VALU_DEP_4)
	v_add_co_u32 v38, vcc_lo, s10, v26
	v_add_co_ci_u32_e32 v39, vcc_lo, s11, v27, vcc_lo
	s_clause 0x1
	global_load_b128 v[26:29], v[46:47], off offset:16
	global_load_b128 v[30:33], v[46:47], off
	s_clause 0x1
	global_load_b128 v[34:37], v[38:39], off
	global_load_b128 v[38:41], v[38:39], off offset:16
	s_clause 0x1
	global_load_b128 v[42:45], v[46:47], off offset:32
	global_load_b128 v[46:49], v[46:47], off offset:48
	s_waitcnt vmcnt(3)
	v_fma_f64 v[15:16], v[30:31], v[34:35], v[15:16]
	v_fma_f64 v[9:10], v[32:33], v[34:35], v[9:10]
	;; [unrolled: 1-line block ×4, first 2 shown]
	s_delay_alu instid0(VALU_DEP_4) | instskip(NEXT) | instid1(VALU_DEP_4)
	v_fma_f64 v[15:16], -v[32:33], v[36:37], v[15:16]
	v_fma_f64 v[9:10], v[30:31], v[36:37], v[9:10]
	s_delay_alu instid0(VALU_DEP_4) | instskip(NEXT) | instid1(VALU_DEP_4)
	v_fma_f64 v[13:14], -v[28:29], v[36:37], v[13:14]
	v_fma_f64 v[11:12], v[26:27], v[36:37], v[11:12]
	s_waitcnt vmcnt(1)
	s_delay_alu instid0(VALU_DEP_4) | instskip(NEXT) | instid1(VALU_DEP_4)
	v_fma_f64 v[15:16], v[42:43], v[38:39], v[15:16]
	v_fma_f64 v[9:10], v[44:45], v[38:39], v[9:10]
	s_waitcnt vmcnt(0)
	s_delay_alu instid0(VALU_DEP_4) | instskip(NEXT) | instid1(VALU_DEP_4)
	v_fma_f64 v[13:14], v[46:47], v[38:39], v[13:14]
	v_fma_f64 v[11:12], v[48:49], v[38:39], v[11:12]
	s_delay_alu instid0(VALU_DEP_4) | instskip(NEXT) | instid1(VALU_DEP_4)
	v_fma_f64 v[15:16], -v[44:45], v[40:41], v[15:16]
	v_fma_f64 v[9:10], v[42:43], v[40:41], v[9:10]
	s_delay_alu instid0(VALU_DEP_4) | instskip(NEXT) | instid1(VALU_DEP_4)
	v_fma_f64 v[13:14], -v[48:49], v[40:41], v[13:14]
	v_fma_f64 v[11:12], v[46:47], v[40:41], v[11:12]
	s_cbranch_scc0 .LBB292_12
; %bb.13:                               ;   in Loop: Header=BB292_11 Depth=1
	v_add_nc_u32_e32 v21, 64, v21
	v_add_nc_u32_e32 v24, 0x700, v24
	s_delay_alu instid0(VALU_DEP_2) | instskip(SKIP_1) | instid1(SALU_CYCLE_1)
	v_cmp_ge_i32_e32 vcc_lo, v21, v23
	s_or_b32 s4, vcc_lo, s4
	s_and_not1_b32 exec_lo, exec_lo, s4
	s_cbranch_execnz .LBB292_11
; %bb.14:
	s_or_b32 exec_lo, exec_lo, s4
.LBB292_15:
	s_delay_alu instid0(SALU_CYCLE_1)
	s_or_b32 exec_lo, exec_lo, s1
	s_cbranch_execz .LBB292_17
	s_branch .LBB292_24
.LBB292_16:
                                        ; implicit-def: $vgpr9_vgpr10
                                        ; implicit-def: $vgpr15_vgpr16
                                        ; implicit-def: $vgpr13_vgpr14
                                        ; implicit-def: $vgpr11_vgpr12
.LBB292_17:
	v_mov_b32_e32 v9, 0
	v_mov_b32_e32 v10, 0
	s_delay_alu instid0(VALU_DEP_1)
	v_dual_mov_b32 v16, v10 :: v_dual_mov_b32 v15, v9
	v_dual_mov_b32 v14, v10 :: v_dual_mov_b32 v13, v9
	;; [unrolled: 1-line block ×3, first 2 shown]
	s_and_saveexec_b32 s1, s0
	s_cbranch_execz .LBB292_23
; %bb.18:
	v_mul_lo_u32 v11, v18, 28
	v_mov_b32_e32 v9, 0
	v_dual_mov_b32 v10, 0 :: v_dual_mov_b32 v19, 0
	v_mul_lo_u32 v20, v17, 28
	s_mul_i32 s0, s12, 28
	s_delay_alu instid0(VALU_DEP_2) | instskip(SKIP_2) | instid1(VALU_DEP_2)
	v_dual_mov_b32 v16, v10 :: v_dual_mov_b32 v15, v9
	v_mad_u32_u24 v11, v25, 28, v11
	v_dual_mov_b32 v14, v10 :: v_dual_mov_b32 v13, v9
	v_subrev_nc_u32_e32 v21, s0, v11
	v_dual_mov_b32 v12, v10 :: v_dual_mov_b32 v11, v9
	s_mov_b32 s0, 0
.LBB292_19:                             ; =>This Loop Header: Depth=1
                                        ;     Child Loop BB292_20 Depth 2
	v_ashrrev_i32_e32 v18, 31, v17
	s_mov_b32 s4, 0
	s_delay_alu instid0(VALU_DEP_1) | instskip(NEXT) | instid1(VALU_DEP_1)
	v_lshlrev_b64 v[26:27], 2, v[17:18]
	v_add_co_u32 v26, vcc_lo, s6, v26
	s_delay_alu instid0(VALU_DEP_2) | instskip(SKIP_3) | instid1(VALU_DEP_1)
	v_add_co_ci_u32_e32 v27, vcc_lo, s7, v27, vcc_lo
	global_load_b32 v18, v[26:27], off
	s_waitcnt vmcnt(0)
	v_subrev_nc_u32_e32 v18, s12, v18
	v_mul_lo_u32 v22, v18, 14
.LBB292_20:                             ;   Parent Loop BB292_19 Depth=1
                                        ; =>  This Inner Loop Header: Depth=2
	v_add_nc_u32_e32 v18, s4, v21
	s_delay_alu instid0(VALU_DEP_1) | instskip(NEXT) | instid1(VALU_DEP_3)
	v_lshlrev_b64 v[26:27], 4, v[18:19]
	v_add_nc_u32_e32 v18, s4, v22
	s_delay_alu instid0(VALU_DEP_1) | instskip(SKIP_1) | instid1(VALU_DEP_4)
	v_lshlrev_b64 v[30:31], 4, v[18:19]
	v_add3_u32 v18, v20, s4, 14
	v_add_co_u32 v32, vcc_lo, s8, v26
	v_add_co_ci_u32_e32 v33, vcc_lo, s9, v27, vcc_lo
	s_delay_alu instid0(VALU_DEP_3)
	v_lshlrev_b64 v[34:35], 4, v[18:19]
	v_add_co_u32 v38, vcc_lo, s10, v30
	v_add_co_ci_u32_e32 v39, vcc_lo, s11, v31, vcc_lo
	global_load_b128 v[26:29], v[32:33], off offset:16
	v_add_co_u32 v46, vcc_lo, s8, v34
	v_add_co_ci_u32_e32 v47, vcc_lo, s9, v35, vcc_lo
	global_load_b128 v[30:33], v[32:33], off
	s_clause 0x1
	global_load_b128 v[34:37], v[38:39], off
	global_load_b128 v[38:41], v[38:39], off offset:16
	s_clause 0x1
	global_load_b128 v[42:45], v[46:47], off
	global_load_b128 v[46:49], v[46:47], off offset:16
	s_add_i32 s4, s4, 2
	s_delay_alu instid0(SALU_CYCLE_1)
	s_cmp_eq_u32 s4, 14
	s_waitcnt vmcnt(3)
	v_fma_f64 v[15:16], v[30:31], v[34:35], v[15:16]
	v_fma_f64 v[9:10], v[32:33], v[34:35], v[9:10]
	s_waitcnt vmcnt(1)
	v_fma_f64 v[13:14], v[42:43], v[34:35], v[13:14]
	v_fma_f64 v[11:12], v[44:45], v[34:35], v[11:12]
	s_delay_alu instid0(VALU_DEP_4) | instskip(NEXT) | instid1(VALU_DEP_4)
	v_fma_f64 v[15:16], -v[32:33], v[36:37], v[15:16]
	v_fma_f64 v[9:10], v[30:31], v[36:37], v[9:10]
	s_delay_alu instid0(VALU_DEP_4) | instskip(NEXT) | instid1(VALU_DEP_4)
	v_fma_f64 v[13:14], -v[44:45], v[36:37], v[13:14]
	v_fma_f64 v[11:12], v[42:43], v[36:37], v[11:12]
	s_delay_alu instid0(VALU_DEP_4) | instskip(NEXT) | instid1(VALU_DEP_4)
	v_fma_f64 v[15:16], v[26:27], v[38:39], v[15:16]
	v_fma_f64 v[9:10], v[28:29], v[38:39], v[9:10]
	s_waitcnt vmcnt(0)
	s_delay_alu instid0(VALU_DEP_4) | instskip(NEXT) | instid1(VALU_DEP_4)
	v_fma_f64 v[13:14], v[46:47], v[38:39], v[13:14]
	v_fma_f64 v[11:12], v[48:49], v[38:39], v[11:12]
	s_delay_alu instid0(VALU_DEP_4) | instskip(NEXT) | instid1(VALU_DEP_4)
	v_fma_f64 v[15:16], -v[28:29], v[40:41], v[15:16]
	v_fma_f64 v[9:10], v[26:27], v[40:41], v[9:10]
	s_delay_alu instid0(VALU_DEP_4) | instskip(NEXT) | instid1(VALU_DEP_4)
	v_fma_f64 v[13:14], -v[48:49], v[40:41], v[13:14]
	v_fma_f64 v[11:12], v[46:47], v[40:41], v[11:12]
	s_cbranch_scc0 .LBB292_20
; %bb.21:                               ;   in Loop: Header=BB292_19 Depth=1
	v_add_nc_u32_e32 v17, 64, v17
	v_add_nc_u32_e32 v20, 0x700, v20
	v_add_nc_u32_e32 v21, 0x700, v21
	s_delay_alu instid0(VALU_DEP_3) | instskip(SKIP_1) | instid1(SALU_CYCLE_1)
	v_cmp_ge_i32_e32 vcc_lo, v17, v23
	s_or_b32 s0, vcc_lo, s0
	s_and_not1_b32 exec_lo, exec_lo, s0
	s_cbranch_execnz .LBB292_19
; %bb.22:
	s_or_b32 exec_lo, exec_lo, s0
.LBB292_23:
	s_delay_alu instid0(SALU_CYCLE_1)
	s_or_b32 exec_lo, exec_lo, s1
.LBB292_24:
	v_mbcnt_lo_u32_b32 v26, -1, 0
	s_delay_alu instid0(VALU_DEP_1) | instskip(NEXT) | instid1(VALU_DEP_1)
	v_or_b32_e32 v17, 32, v26
	v_cmp_gt_i32_e32 vcc_lo, 32, v17
	v_cndmask_b32_e32 v17, v26, v17, vcc_lo
	s_delay_alu instid0(VALU_DEP_1)
	v_lshlrev_b32_e32 v24, 2, v17
	ds_bpermute_b32 v17, v24, v15
	ds_bpermute_b32 v18, v24, v16
	ds_bpermute_b32 v19, v24, v9
	ds_bpermute_b32 v20, v24, v10
	ds_bpermute_b32 v21, v24, v13
	ds_bpermute_b32 v22, v24, v14
	ds_bpermute_b32 v23, v24, v11
	ds_bpermute_b32 v24, v24, v12
	s_waitcnt lgkmcnt(6)
	v_add_f64 v[15:16], v[15:16], v[17:18]
	v_xor_b32_e32 v17, 16, v26
	s_waitcnt lgkmcnt(4)
	v_add_f64 v[9:10], v[9:10], v[19:20]
	s_waitcnt lgkmcnt(2)
	v_add_f64 v[13:14], v[13:14], v[21:22]
	s_waitcnt lgkmcnt(0)
	v_add_f64 v[11:12], v[11:12], v[23:24]
	v_cmp_gt_i32_e32 vcc_lo, 32, v17
	v_cndmask_b32_e32 v17, v26, v17, vcc_lo
	s_delay_alu instid0(VALU_DEP_1)
	v_lshlrev_b32_e32 v24, 2, v17
	ds_bpermute_b32 v17, v24, v15
	ds_bpermute_b32 v18, v24, v16
	ds_bpermute_b32 v19, v24, v9
	ds_bpermute_b32 v20, v24, v10
	ds_bpermute_b32 v21, v24, v13
	ds_bpermute_b32 v22, v24, v14
	ds_bpermute_b32 v23, v24, v11
	ds_bpermute_b32 v24, v24, v12
	s_waitcnt lgkmcnt(6)
	v_add_f64 v[15:16], v[15:16], v[17:18]
	v_xor_b32_e32 v17, 8, v26
	s_waitcnt lgkmcnt(4)
	v_add_f64 v[9:10], v[9:10], v[19:20]
	s_waitcnt lgkmcnt(2)
	v_add_f64 v[13:14], v[13:14], v[21:22]
	s_waitcnt lgkmcnt(0)
	v_add_f64 v[11:12], v[11:12], v[23:24]
	;; [unrolled: 21-line block ×3, first 2 shown]
	v_cmp_gt_i32_e32 vcc_lo, 32, v17
	v_cndmask_b32_e32 v17, v26, v17, vcc_lo
	s_delay_alu instid0(VALU_DEP_1)
	v_lshlrev_b32_e32 v24, 2, v17
	ds_bpermute_b32 v17, v24, v15
	ds_bpermute_b32 v18, v24, v16
	;; [unrolled: 1-line block ×8, first 2 shown]
	s_waitcnt lgkmcnt(6)
	v_add_f64 v[15:16], v[15:16], v[17:18]
	s_waitcnt lgkmcnt(4)
	v_add_f64 v[17:18], v[9:10], v[19:20]
	v_xor_b32_e32 v9, 2, v26
	s_waitcnt lgkmcnt(2)
	v_add_f64 v[13:14], v[13:14], v[21:22]
	s_waitcnt lgkmcnt(0)
	v_add_f64 v[19:20], v[11:12], v[23:24]
	v_cmp_gt_i32_e32 vcc_lo, 32, v9
	v_cndmask_b32_e32 v9, v26, v9, vcc_lo
	s_delay_alu instid0(VALU_DEP_1)
	v_lshlrev_b32_e32 v24, 2, v9
	ds_bpermute_b32 v9, v24, v15
	ds_bpermute_b32 v10, v24, v16
	ds_bpermute_b32 v11, v24, v17
	ds_bpermute_b32 v12, v24, v18
	ds_bpermute_b32 v21, v24, v13
	ds_bpermute_b32 v22, v24, v14
	ds_bpermute_b32 v23, v24, v19
	ds_bpermute_b32 v24, v24, v20
	s_waitcnt lgkmcnt(6)
	v_add_f64 v[9:10], v[15:16], v[9:10]
	s_waitcnt lgkmcnt(4)
	v_add_f64 v[15:16], v[17:18], v[11:12]
	v_xor_b32_e32 v17, 1, v26
	s_waitcnt lgkmcnt(2)
	v_add_f64 v[11:12], v[13:14], v[21:22]
	s_waitcnt lgkmcnt(0)
	v_add_f64 v[13:14], v[19:20], v[23:24]
	v_cmp_gt_i32_e32 vcc_lo, 32, v17
	v_cndmask_b32_e32 v17, v26, v17, vcc_lo
	v_cmp_eq_u32_e32 vcc_lo, 63, v25
	s_delay_alu instid0(VALU_DEP_2)
	v_lshlrev_b32_e32 v20, 2, v17
	ds_bpermute_b32 v23, v20, v9
	ds_bpermute_b32 v24, v20, v10
	;; [unrolled: 1-line block ×8, first 2 shown]
	s_and_b32 exec_lo, exec_lo, vcc_lo
	s_cbranch_execz .LBB292_29
; %bb.25:
	v_cmp_eq_f64_e32 vcc_lo, 0, v[4:5]
	v_cmp_eq_f64_e64 s0, 0, v[6:7]
	s_waitcnt lgkmcnt(6)
	v_add_f64 v[9:10], v[9:10], v[23:24]
	s_waitcnt lgkmcnt(4)
	v_add_f64 v[15:16], v[15:16], v[21:22]
	;; [unrolled: 2-line block ×4, first 2 shown]
	s_load_b64 s[2:3], s[2:3], 0x48
	s_and_b32 s0, vcc_lo, s0
	s_delay_alu instid0(SALU_CYCLE_1) | instskip(NEXT) | instid1(SALU_CYCLE_1)
	s_and_saveexec_b32 s1, s0
	s_xor_b32 s0, exec_lo, s1
	s_cbranch_execz .LBB292_27
; %bb.26:
	s_delay_alu instid0(VALU_DEP_3) | instskip(SKIP_1) | instid1(VALU_DEP_3)
	v_mul_f64 v[4:5], v[15:16], -v[2:3]
	v_mul_f64 v[6:7], v[0:1], v[15:16]
	v_mul_f64 v[15:16], v[13:14], -v[2:3]
	v_mul_f64 v[13:14], v[0:1], v[13:14]
	v_lshlrev_b32_e32 v8, 1, v8
	v_fma_f64 v[4:5], v[0:1], v[9:10], v[4:5]
	v_fma_f64 v[6:7], v[2:3], v[9:10], v[6:7]
	;; [unrolled: 1-line block ×4, first 2 shown]
	v_ashrrev_i32_e32 v9, 31, v8
                                        ; implicit-def: $vgpr15_vgpr16
                                        ; implicit-def: $vgpr11_vgpr12
                                        ; implicit-def: $vgpr13_vgpr14
	s_delay_alu instid0(VALU_DEP_1) | instskip(SKIP_1) | instid1(VALU_DEP_1)
	v_lshlrev_b64 v[8:9], 4, v[8:9]
	s_waitcnt lgkmcnt(0)
	v_add_co_u32 v8, vcc_lo, s2, v8
	s_delay_alu instid0(VALU_DEP_2)
	v_add_co_ci_u32_e32 v9, vcc_lo, s3, v9, vcc_lo
	s_clause 0x1
	global_store_b128 v[8:9], v[4:7], off
	global_store_b128 v[8:9], v[0:3], off offset:16
                                        ; implicit-def: $vgpr0_vgpr1
                                        ; implicit-def: $vgpr2_vgpr3
                                        ; implicit-def: $vgpr4_vgpr5
                                        ; implicit-def: $vgpr6_vgpr7
                                        ; implicit-def: $vgpr8
                                        ; implicit-def: $vgpr9_vgpr10
.LBB292_27:
	s_and_not1_saveexec_b32 s0, s0
	s_cbranch_execz .LBB292_29
; %bb.28:
	v_lshlrev_b32_e32 v17, 1, v8
	s_delay_alu instid0(VALU_DEP_4) | instskip(SKIP_1) | instid1(VALU_DEP_4)
	v_mul_f64 v[27:28], v[15:16], -v[2:3]
	v_mul_f64 v[15:16], v[0:1], v[15:16]
	v_mul_f64 v[29:30], v[13:14], -v[2:3]
	v_mul_f64 v[13:14], v[0:1], v[13:14]
	v_ashrrev_i32_e32 v18, 31, v17
	s_delay_alu instid0(VALU_DEP_1) | instskip(SKIP_1) | instid1(VALU_DEP_1)
	v_lshlrev_b64 v[17:18], 4, v[17:18]
	s_waitcnt lgkmcnt(0)
	v_add_co_u32 v25, vcc_lo, s2, v17
	s_delay_alu instid0(VALU_DEP_2)
	v_add_co_ci_u32_e32 v26, vcc_lo, s3, v18, vcc_lo
	s_clause 0x1
	global_load_b128 v[17:20], v[25:26], off
	global_load_b128 v[21:24], v[25:26], off offset:16
	v_fma_f64 v[27:28], v[0:1], v[9:10], v[27:28]
	v_fma_f64 v[8:9], v[2:3], v[9:10], v[15:16]
	;; [unrolled: 1-line block ×4, first 2 shown]
	s_waitcnt vmcnt(1)
	s_delay_alu instid0(VALU_DEP_4) | instskip(NEXT) | instid1(VALU_DEP_4)
	v_fma_f64 v[10:11], v[4:5], v[17:18], v[27:28]
	v_fma_f64 v[8:9], v[6:7], v[17:18], v[8:9]
	s_waitcnt vmcnt(0)
	s_delay_alu instid0(VALU_DEP_4) | instskip(NEXT) | instid1(VALU_DEP_4)
	v_fma_f64 v[12:13], v[4:5], v[21:22], v[0:1]
	v_fma_f64 v[14:15], v[6:7], v[21:22], v[2:3]
	s_delay_alu instid0(VALU_DEP_4) | instskip(NEXT) | instid1(VALU_DEP_4)
	v_fma_f64 v[0:1], -v[6:7], v[19:20], v[10:11]
	v_fma_f64 v[2:3], v[4:5], v[19:20], v[8:9]
	s_delay_alu instid0(VALU_DEP_4) | instskip(NEXT) | instid1(VALU_DEP_4)
	v_fma_f64 v[6:7], -v[6:7], v[23:24], v[12:13]
	v_fma_f64 v[8:9], v[4:5], v[23:24], v[14:15]
	s_clause 0x1
	global_store_b128 v[25:26], v[0:3], off
	global_store_b128 v[25:26], v[6:9], off offset:16
.LBB292_29:
	s_nop 0
	s_sendmsg sendmsg(MSG_DEALLOC_VGPRS)
	s_endpgm
	.section	.rodata,"a",@progbits
	.p2align	6, 0x0
	.amdhsa_kernel _ZN9rocsparseL19gebsrmvn_2xn_kernelILj128ELj14ELj64E21rocsparse_complex_numIdEEEvi20rocsparse_direction_NS_24const_host_device_scalarIT2_EEPKiS8_PKS5_SA_S6_PS5_21rocsparse_index_base_b
		.amdhsa_group_segment_fixed_size 2048
		.amdhsa_private_segment_fixed_size 0
		.amdhsa_kernarg_size 88
		.amdhsa_user_sgpr_count 15
		.amdhsa_user_sgpr_dispatch_ptr 1
		.amdhsa_user_sgpr_queue_ptr 0
		.amdhsa_user_sgpr_kernarg_segment_ptr 1
		.amdhsa_user_sgpr_dispatch_id 0
		.amdhsa_user_sgpr_private_segment_size 0
		.amdhsa_wavefront_size32 1
		.amdhsa_uses_dynamic_stack 0
		.amdhsa_enable_private_segment 0
		.amdhsa_system_sgpr_workgroup_id_x 1
		.amdhsa_system_sgpr_workgroup_id_y 0
		.amdhsa_system_sgpr_workgroup_id_z 0
		.amdhsa_system_sgpr_workgroup_info 0
		.amdhsa_system_vgpr_workitem_id 2
		.amdhsa_next_free_vgpr 50
		.amdhsa_next_free_sgpr 18
		.amdhsa_reserve_vcc 1
		.amdhsa_float_round_mode_32 0
		.amdhsa_float_round_mode_16_64 0
		.amdhsa_float_denorm_mode_32 3
		.amdhsa_float_denorm_mode_16_64 3
		.amdhsa_dx10_clamp 1
		.amdhsa_ieee_mode 1
		.amdhsa_fp16_overflow 0
		.amdhsa_workgroup_processor_mode 1
		.amdhsa_memory_ordered 1
		.amdhsa_forward_progress 0
		.amdhsa_shared_vgpr_count 0
		.amdhsa_exception_fp_ieee_invalid_op 0
		.amdhsa_exception_fp_denorm_src 0
		.amdhsa_exception_fp_ieee_div_zero 0
		.amdhsa_exception_fp_ieee_overflow 0
		.amdhsa_exception_fp_ieee_underflow 0
		.amdhsa_exception_fp_ieee_inexact 0
		.amdhsa_exception_int_div_zero 0
	.end_amdhsa_kernel
	.section	.text._ZN9rocsparseL19gebsrmvn_2xn_kernelILj128ELj14ELj64E21rocsparse_complex_numIdEEEvi20rocsparse_direction_NS_24const_host_device_scalarIT2_EEPKiS8_PKS5_SA_S6_PS5_21rocsparse_index_base_b,"axG",@progbits,_ZN9rocsparseL19gebsrmvn_2xn_kernelILj128ELj14ELj64E21rocsparse_complex_numIdEEEvi20rocsparse_direction_NS_24const_host_device_scalarIT2_EEPKiS8_PKS5_SA_S6_PS5_21rocsparse_index_base_b,comdat
.Lfunc_end292:
	.size	_ZN9rocsparseL19gebsrmvn_2xn_kernelILj128ELj14ELj64E21rocsparse_complex_numIdEEEvi20rocsparse_direction_NS_24const_host_device_scalarIT2_EEPKiS8_PKS5_SA_S6_PS5_21rocsparse_index_base_b, .Lfunc_end292-_ZN9rocsparseL19gebsrmvn_2xn_kernelILj128ELj14ELj64E21rocsparse_complex_numIdEEEvi20rocsparse_direction_NS_24const_host_device_scalarIT2_EEPKiS8_PKS5_SA_S6_PS5_21rocsparse_index_base_b
                                        ; -- End function
	.section	.AMDGPU.csdata,"",@progbits
; Kernel info:
; codeLenInByte = 2780
; NumSgprs: 20
; NumVgprs: 50
; ScratchSize: 0
; MemoryBound: 0
; FloatMode: 240
; IeeeMode: 1
; LDSByteSize: 2048 bytes/workgroup (compile time only)
; SGPRBlocks: 2
; VGPRBlocks: 6
; NumSGPRsForWavesPerEU: 20
; NumVGPRsForWavesPerEU: 50
; Occupancy: 16
; WaveLimiterHint : 1
; COMPUTE_PGM_RSRC2:SCRATCH_EN: 0
; COMPUTE_PGM_RSRC2:USER_SGPR: 15
; COMPUTE_PGM_RSRC2:TRAP_HANDLER: 0
; COMPUTE_PGM_RSRC2:TGID_X_EN: 1
; COMPUTE_PGM_RSRC2:TGID_Y_EN: 0
; COMPUTE_PGM_RSRC2:TGID_Z_EN: 0
; COMPUTE_PGM_RSRC2:TIDIG_COMP_CNT: 2
	.section	.text._ZN9rocsparseL19gebsrmvn_2xn_kernelILj128ELj15ELj4E21rocsparse_complex_numIdEEEvi20rocsparse_direction_NS_24const_host_device_scalarIT2_EEPKiS8_PKS5_SA_S6_PS5_21rocsparse_index_base_b,"axG",@progbits,_ZN9rocsparseL19gebsrmvn_2xn_kernelILj128ELj15ELj4E21rocsparse_complex_numIdEEEvi20rocsparse_direction_NS_24const_host_device_scalarIT2_EEPKiS8_PKS5_SA_S6_PS5_21rocsparse_index_base_b,comdat
	.globl	_ZN9rocsparseL19gebsrmvn_2xn_kernelILj128ELj15ELj4E21rocsparse_complex_numIdEEEvi20rocsparse_direction_NS_24const_host_device_scalarIT2_EEPKiS8_PKS5_SA_S6_PS5_21rocsparse_index_base_b ; -- Begin function _ZN9rocsparseL19gebsrmvn_2xn_kernelILj128ELj15ELj4E21rocsparse_complex_numIdEEEvi20rocsparse_direction_NS_24const_host_device_scalarIT2_EEPKiS8_PKS5_SA_S6_PS5_21rocsparse_index_base_b
	.p2align	8
	.type	_ZN9rocsparseL19gebsrmvn_2xn_kernelILj128ELj15ELj4E21rocsparse_complex_numIdEEEvi20rocsparse_direction_NS_24const_host_device_scalarIT2_EEPKiS8_PKS5_SA_S6_PS5_21rocsparse_index_base_b,@function
_ZN9rocsparseL19gebsrmvn_2xn_kernelILj128ELj15ELj4E21rocsparse_complex_numIdEEEvi20rocsparse_direction_NS_24const_host_device_scalarIT2_EEPKiS8_PKS5_SA_S6_PS5_21rocsparse_index_base_b: ; @_ZN9rocsparseL19gebsrmvn_2xn_kernelILj128ELj15ELj4E21rocsparse_complex_numIdEEEvi20rocsparse_direction_NS_24const_host_device_scalarIT2_EEPKiS8_PKS5_SA_S6_PS5_21rocsparse_index_base_b
; %bb.0:
	s_load_b64 s[12:13], s[2:3], 0x50
	s_load_b64 s[16:17], s[0:1], 0x4
	s_load_b128 s[8:11], s[2:3], 0x8
	v_bfe_u32 v1, v0, 10, 10
	s_mov_b64 s[0:1], src_shared_base
	s_load_b128 s[4:7], s[2:3], 0x38
	v_and_b32_e32 v12, 0x3ff, v0
	v_bfe_u32 v0, v0, 20, 10
	s_waitcnt lgkmcnt(0)
	s_bitcmp1_b32 s13, 0
	v_mul_u32_u24_e32 v1, s17, v1
	s_cselect_b32 s0, -1, 0
	s_delay_alu instid0(SALU_CYCLE_1)
	s_and_b32 vcc_lo, s0, exec_lo
	s_cselect_b32 s13, s1, s9
	s_lshr_b32 s14, s16, 16
	v_dual_mov_b32 v2, s4 :: v_dual_mov_b32 v3, s5
	s_mul_i32 s14, s14, s17
	v_mov_b32_e32 v6, s13
	v_mad_u32_u24 v1, s14, v12, v1
	s_delay_alu instid0(VALU_DEP_1) | instskip(SKIP_1) | instid1(VALU_DEP_2)
	v_add_lshl_u32 v4, v1, v0, 3
	v_dual_mov_b32 v0, s8 :: v_dual_mov_b32 v1, s9
	v_add_nc_u32_e32 v5, 0x400, v4
	ds_store_2addr_stride64_b64 v4, v[2:3], v[0:1] offset1:2
	v_dual_mov_b32 v2, s10 :: v_dual_mov_b32 v3, s11
	v_cndmask_b32_e64 v5, s8, v5, s0
	s_xor_b32 s10, s0, -1
	flat_load_b64 v[0:1], v[5:6]
	s_cbranch_vccnz .LBB293_2
; %bb.1:
	v_dual_mov_b32 v2, s8 :: v_dual_mov_b32 v3, s9
	flat_load_b64 v[2:3], v[2:3] offset:8
.LBB293_2:
	s_and_b32 s8, s0, exec_lo
	s_cselect_b32 s1, s1, s5
	v_cndmask_b32_e64 v4, s4, v4, s0
	v_dual_mov_b32 v5, s1 :: v_dual_mov_b32 v6, s6
	v_mov_b32_e32 v7, s7
	s_and_not1_b32 vcc_lo, exec_lo, s10
	flat_load_b64 v[4:5], v[4:5]
	s_cbranch_vccnz .LBB293_4
; %bb.3:
	v_dual_mov_b32 v7, s5 :: v_dual_mov_b32 v6, s4
	flat_load_b64 v[6:7], v[6:7] offset:8
.LBB293_4:
	s_waitcnt vmcnt(1) lgkmcnt(1)
	v_cmp_eq_f64_e32 vcc_lo, 0, v[0:1]
	v_cmp_eq_f64_e64 s0, 0, v[2:3]
	s_delay_alu instid0(VALU_DEP_1)
	s_and_b32 s4, vcc_lo, s0
	s_mov_b32 s0, -1
	s_and_saveexec_b32 s1, s4
	s_cbranch_execz .LBB293_6
; %bb.5:
	s_waitcnt vmcnt(0) lgkmcnt(0)
	v_cmp_neq_f64_e32 vcc_lo, 1.0, v[4:5]
	v_cmp_neq_f64_e64 s0, 0, v[6:7]
	s_delay_alu instid0(VALU_DEP_1) | instskip(NEXT) | instid1(SALU_CYCLE_1)
	s_or_b32 s0, vcc_lo, s0
	s_or_not1_b32 s0, s0, exec_lo
.LBB293_6:
	s_or_b32 exec_lo, exec_lo, s1
	s_and_saveexec_b32 s1, s0
	s_cbranch_execz .LBB293_29
; %bb.7:
	s_load_b64 s[0:1], s[2:3], 0x0
	v_lshrrev_b32_e32 v8, 2, v12
	s_delay_alu instid0(VALU_DEP_1) | instskip(SKIP_1) | instid1(VALU_DEP_1)
	v_lshl_or_b32 v8, s15, 5, v8
	s_waitcnt lgkmcnt(0)
	v_cmp_gt_i32_e32 vcc_lo, s0, v8
	s_and_b32 exec_lo, exec_lo, vcc_lo
	s_cbranch_execz .LBB293_29
; %bb.8:
	s_load_b256 s[4:11], s[2:3], 0x18
	v_ashrrev_i32_e32 v9, 31, v8
	v_and_b32_e32 v25, 3, v12
	s_cmp_lg_u32 s1, 0
	s_delay_alu instid0(VALU_DEP_2) | instskip(SKIP_1) | instid1(VALU_DEP_1)
	v_lshlrev_b64 v[9:10], 2, v[8:9]
	s_waitcnt lgkmcnt(0)
	v_add_co_u32 v9, vcc_lo, s4, v9
	s_delay_alu instid0(VALU_DEP_2) | instskip(SKIP_4) | instid1(VALU_DEP_2)
	v_add_co_ci_u32_e32 v10, vcc_lo, s5, v10, vcc_lo
	global_load_b64 v[10:11], v[9:10], off
	s_waitcnt vmcnt(0)
	v_subrev_nc_u32_e32 v9, s12, v10
	v_subrev_nc_u32_e32 v23, s12, v11
	v_add_nc_u32_e32 v9, v9, v25
	s_delay_alu instid0(VALU_DEP_1)
	v_cmp_lt_i32_e64 s0, v9, v23
	s_cbranch_scc0 .LBB293_16
; %bb.9:
	v_mov_b32_e32 v11, 0
	v_mov_b32_e32 v12, 0
	s_delay_alu instid0(VALU_DEP_1)
	v_dual_mov_b32 v14, v12 :: v_dual_mov_b32 v13, v11
	v_dual_mov_b32 v16, v12 :: v_dual_mov_b32 v15, v11
	;; [unrolled: 1-line block ×3, first 2 shown]
	s_and_saveexec_b32 s1, s0
	s_cbranch_execz .LBB293_15
; %bb.10:
	v_dual_mov_b32 v11, 0 :: v_dual_mov_b32 v20, 0
	v_dual_mov_b32 v12, 0 :: v_dual_mov_b32 v21, v9
	v_mul_lo_u32 v24, v9, 30
	s_mov_b32 s4, 0
	s_delay_alu instid0(VALU_DEP_2)
	v_dual_mov_b32 v14, v12 :: v_dual_mov_b32 v13, v11
	v_dual_mov_b32 v16, v12 :: v_dual_mov_b32 v15, v11
	;; [unrolled: 1-line block ×3, first 2 shown]
.LBB293_11:                             ; =>This Loop Header: Depth=1
                                        ;     Child Loop BB293_12 Depth 2
	v_ashrrev_i32_e32 v22, 31, v21
	s_mov_b32 s5, 0
	s_delay_alu instid0(VALU_DEP_1) | instskip(NEXT) | instid1(VALU_DEP_1)
	v_lshlrev_b64 v[26:27], 2, v[21:22]
	v_add_co_u32 v26, vcc_lo, s6, v26
	s_delay_alu instid0(VALU_DEP_2) | instskip(SKIP_3) | instid1(VALU_DEP_1)
	v_add_co_ci_u32_e32 v27, vcc_lo, s7, v27, vcc_lo
	global_load_b32 v19, v[26:27], off
	s_waitcnt vmcnt(0)
	v_subrev_nc_u32_e32 v19, s12, v19
	v_mul_lo_u32 v22, v19, 15
	v_mov_b32_e32 v19, v24
.LBB293_12:                             ;   Parent Loop BB293_11 Depth=1
                                        ; =>  This Inner Loop Header: Depth=2
	s_delay_alu instid0(VALU_DEP_2) | instskip(NEXT) | instid1(VALU_DEP_2)
	v_dual_mov_b32 v51, v20 :: v_dual_add_nc_u32 v50, s5, v22
	v_lshlrev_b64 v[26:27], 4, v[19:20]
	v_dual_mov_b32 v39, v20 :: v_dual_add_nc_u32 v38, 2, v19
	s_delay_alu instid0(VALU_DEP_3) | instskip(NEXT) | instid1(VALU_DEP_4)
	v_dual_mov_b32 v41, v20 :: v_dual_add_nc_u32 v40, 1, v50
	v_lshlrev_b64 v[28:29], 4, v[50:51]
	s_delay_alu instid0(VALU_DEP_4) | instskip(SKIP_2) | instid1(VALU_DEP_4)
	v_add_co_u32 v30, vcc_lo, s8, v26
	v_add_co_ci_u32_e32 v31, vcc_lo, s9, v27, vcc_lo
	v_lshlrev_b64 v[38:39], 4, v[38:39]
	v_add_co_u32 v34, vcc_lo, s10, v28
	v_add_co_ci_u32_e32 v35, vcc_lo, s11, v29, vcc_lo
	s_clause 0x1
	global_load_b128 v[26:29], v[30:31], off offset:16
	global_load_b128 v[30:33], v[30:31], off
	global_load_b128 v[34:37], v[34:35], off
	v_lshlrev_b64 v[40:41], 4, v[40:41]
	v_add_co_u32 v42, vcc_lo, s8, v38
	v_add_co_ci_u32_e32 v43, vcc_lo, s9, v39, vcc_lo
	v_dual_mov_b32 v52, v20 :: v_dual_add_nc_u32 v51, 4, v19
	s_delay_alu instid0(VALU_DEP_4)
	v_add_co_u32 v46, vcc_lo, s10, v40
	v_add_co_ci_u32_e32 v47, vcc_lo, s11, v41, vcc_lo
	s_clause 0x1
	global_load_b128 v[38:41], v[42:43], off offset:16
	global_load_b128 v[42:45], v[42:43], off
	global_load_b128 v[46:49], v[46:47], off
	v_dual_mov_b32 v54, v20 :: v_dual_add_nc_u32 v53, 2, v50
	v_lshlrev_b64 v[50:51], 4, v[51:52]
	v_add_nc_u32_e32 v19, 6, v19
	s_add_i32 s5, s5, 3
	s_delay_alu instid0(VALU_DEP_3) | instskip(SKIP_1) | instid1(VALU_DEP_3)
	v_lshlrev_b64 v[52:53], 4, v[53:54]
	s_cmp_eq_u32 s5, 15
	v_add_co_u32 v54, vcc_lo, s8, v50
	v_add_co_ci_u32_e32 v55, vcc_lo, s9, v51, vcc_lo
	s_delay_alu instid0(VALU_DEP_3) | instskip(NEXT) | instid1(VALU_DEP_4)
	v_add_co_u32 v58, vcc_lo, s10, v52
	v_add_co_ci_u32_e32 v59, vcc_lo, s11, v53, vcc_lo
	s_clause 0x1
	global_load_b128 v[50:53], v[54:55], off offset:16
	global_load_b128 v[54:57], v[54:55], off
	global_load_b128 v[58:61], v[58:59], off
	s_waitcnt vmcnt(6)
	v_fma_f64 v[13:14], v[30:31], v[34:35], v[13:14]
	v_fma_f64 v[11:12], v[32:33], v[34:35], v[11:12]
	;; [unrolled: 1-line block ×4, first 2 shown]
	s_delay_alu instid0(VALU_DEP_4) | instskip(NEXT) | instid1(VALU_DEP_4)
	v_fma_f64 v[13:14], -v[32:33], v[36:37], v[13:14]
	v_fma_f64 v[11:12], v[30:31], v[36:37], v[11:12]
	s_delay_alu instid0(VALU_DEP_4) | instskip(NEXT) | instid1(VALU_DEP_4)
	v_fma_f64 v[15:16], -v[28:29], v[36:37], v[15:16]
	v_fma_f64 v[17:18], v[26:27], v[36:37], v[17:18]
	s_waitcnt vmcnt(3)
	s_delay_alu instid0(VALU_DEP_4) | instskip(NEXT) | instid1(VALU_DEP_4)
	v_fma_f64 v[13:14], v[42:43], v[46:47], v[13:14]
	v_fma_f64 v[11:12], v[44:45], v[46:47], v[11:12]
	s_delay_alu instid0(VALU_DEP_4) | instskip(NEXT) | instid1(VALU_DEP_4)
	v_fma_f64 v[15:16], v[38:39], v[46:47], v[15:16]
	v_fma_f64 v[17:18], v[40:41], v[46:47], v[17:18]
	s_delay_alu instid0(VALU_DEP_4) | instskip(NEXT) | instid1(VALU_DEP_4)
	v_fma_f64 v[13:14], -v[44:45], v[48:49], v[13:14]
	v_fma_f64 v[11:12], v[42:43], v[48:49], v[11:12]
	s_delay_alu instid0(VALU_DEP_4) | instskip(NEXT) | instid1(VALU_DEP_4)
	v_fma_f64 v[15:16], -v[40:41], v[48:49], v[15:16]
	v_fma_f64 v[17:18], v[38:39], v[48:49], v[17:18]
	s_waitcnt vmcnt(0)
	s_delay_alu instid0(VALU_DEP_4) | instskip(NEXT) | instid1(VALU_DEP_4)
	v_fma_f64 v[13:14], v[54:55], v[58:59], v[13:14]
	v_fma_f64 v[11:12], v[56:57], v[58:59], v[11:12]
	s_delay_alu instid0(VALU_DEP_4) | instskip(NEXT) | instid1(VALU_DEP_4)
	v_fma_f64 v[15:16], v[50:51], v[58:59], v[15:16]
	v_fma_f64 v[17:18], v[52:53], v[58:59], v[17:18]
	s_delay_alu instid0(VALU_DEP_4) | instskip(NEXT) | instid1(VALU_DEP_4)
	v_fma_f64 v[13:14], -v[56:57], v[60:61], v[13:14]
	v_fma_f64 v[11:12], v[54:55], v[60:61], v[11:12]
	s_delay_alu instid0(VALU_DEP_4) | instskip(NEXT) | instid1(VALU_DEP_4)
	v_fma_f64 v[15:16], -v[52:53], v[60:61], v[15:16]
	v_fma_f64 v[17:18], v[50:51], v[60:61], v[17:18]
	s_cbranch_scc0 .LBB293_12
; %bb.13:                               ;   in Loop: Header=BB293_11 Depth=1
	v_add_nc_u32_e32 v21, 4, v21
	v_add_nc_u32_e32 v24, 0x78, v24
	s_delay_alu instid0(VALU_DEP_2) | instskip(SKIP_1) | instid1(SALU_CYCLE_1)
	v_cmp_ge_i32_e32 vcc_lo, v21, v23
	s_or_b32 s4, vcc_lo, s4
	s_and_not1_b32 exec_lo, exec_lo, s4
	s_cbranch_execnz .LBB293_11
; %bb.14:
	s_or_b32 exec_lo, exec_lo, s4
.LBB293_15:
	s_delay_alu instid0(SALU_CYCLE_1)
	s_or_b32 exec_lo, exec_lo, s1
	s_cbranch_execz .LBB293_17
	s_branch .LBB293_24
.LBB293_16:
                                        ; implicit-def: $vgpr11_vgpr12
                                        ; implicit-def: $vgpr13_vgpr14
                                        ; implicit-def: $vgpr15_vgpr16
                                        ; implicit-def: $vgpr17_vgpr18
.LBB293_17:
	v_mov_b32_e32 v11, 0
	v_mov_b32_e32 v12, 0
	s_delay_alu instid0(VALU_DEP_1)
	v_dual_mov_b32 v14, v12 :: v_dual_mov_b32 v13, v11
	v_dual_mov_b32 v16, v12 :: v_dual_mov_b32 v15, v11
	;; [unrolled: 1-line block ×3, first 2 shown]
	s_and_saveexec_b32 s1, s0
	s_cbranch_execz .LBB293_23
; %bb.18:
	v_mul_lo_u32 v10, v10, 30
	v_dual_mov_b32 v11, 0 :: v_dual_mov_b32 v20, 0
	v_mov_b32_e32 v12, 0
	v_mul_lo_u32 v21, v9, 30
	s_mul_i32 s0, s12, 30
	s_delay_alu instid0(VALU_DEP_2) | instskip(SKIP_3) | instid1(VALU_DEP_3)
	v_dual_mov_b32 v14, v12 :: v_dual_mov_b32 v13, v11
	v_mad_u32_u24 v10, v25, 30, v10
	v_dual_mov_b32 v16, v12 :: v_dual_mov_b32 v15, v11
	v_dual_mov_b32 v18, v12 :: v_dual_mov_b32 v17, v11
	v_subrev_nc_u32_e32 v22, s0, v10
	s_mov_b32 s0, 0
.LBB293_19:                             ; =>This Loop Header: Depth=1
                                        ;     Child Loop BB293_20 Depth 2
	v_ashrrev_i32_e32 v10, 31, v9
	s_mov_b32 s4, 0
	s_delay_alu instid0(VALU_DEP_1) | instskip(NEXT) | instid1(VALU_DEP_1)
	v_lshlrev_b64 v[26:27], 2, v[9:10]
	v_add_co_u32 v26, vcc_lo, s6, v26
	s_delay_alu instid0(VALU_DEP_2) | instskip(SKIP_3) | instid1(VALU_DEP_1)
	v_add_co_ci_u32_e32 v27, vcc_lo, s7, v27, vcc_lo
	global_load_b32 v10, v[26:27], off
	s_waitcnt vmcnt(0)
	v_subrev_nc_u32_e32 v10, s12, v10
	v_mul_lo_u32 v10, v10, 15
.LBB293_20:                             ;   Parent Loop BB293_19 Depth=1
                                        ; =>  This Inner Loop Header: Depth=2
	v_add_nc_u32_e32 v19, s4, v22
	v_dual_mov_b32 v27, v20 :: v_dual_add_nc_u32 v24, s4, v21
	v_mov_b32_e32 v41, v20
	v_mov_b32_e32 v43, v20
	s_delay_alu instid0(VALU_DEP_4) | instskip(NEXT) | instid1(VALU_DEP_4)
	v_lshlrev_b64 v[28:29], 4, v[19:20]
	v_add_nc_u32_e32 v42, 16, v24
	v_add_nc_u32_e32 v19, s4, v10
	v_dual_mov_b32 v39, v20 :: v_dual_add_nc_u32 v26, 15, v24
	v_add_nc_u32_e32 v38, 1, v24
	v_add_co_u32 v28, vcc_lo, s8, v28
	s_delay_alu instid0(VALU_DEP_4) | instskip(NEXT) | instid1(VALU_DEP_4)
	v_lshlrev_b64 v[30:31], 4, v[19:20]
	v_lshlrev_b64 v[26:27], 4, v[26:27]
	v_add_co_ci_u32_e32 v29, vcc_lo, s9, v29, vcc_lo
	v_lshlrev_b64 v[38:39], 4, v[38:39]
	v_dual_mov_b32 v51, v20 :: v_dual_add_nc_u32 v40, 1, v19
	v_add_co_u32 v30, vcc_lo, s10, v30
	v_add_co_ci_u32_e32 v31, vcc_lo, s11, v31, vcc_lo
	v_add_co_u32 v34, vcc_lo, s8, v26
	v_add_co_ci_u32_e32 v35, vcc_lo, s9, v27, vcc_lo
	global_load_b128 v[26:29], v[28:29], off
	global_load_b128 v[30:33], v[30:31], off
	;; [unrolled: 1-line block ×3, first 2 shown]
	v_lshlrev_b64 v[42:43], 4, v[42:43]
	v_lshlrev_b64 v[40:41], 4, v[40:41]
	v_add_co_u32 v38, vcc_lo, s8, v38
	v_add_co_ci_u32_e32 v39, vcc_lo, s9, v39, vcc_lo
	s_delay_alu instid0(VALU_DEP_4)
	v_add_co_u32 v42, vcc_lo, s8, v42
	v_add_co_ci_u32_e32 v43, vcc_lo, s9, v43, vcc_lo
	v_add_co_u32 v46, vcc_lo, s10, v40
	v_add_co_ci_u32_e32 v47, vcc_lo, s11, v41, vcc_lo
	s_clause 0x1
	global_load_b128 v[38:41], v[38:39], off
	global_load_b128 v[42:45], v[42:43], off
	global_load_b128 v[46:49], v[46:47], off
	v_add_nc_u32_e32 v50, 2, v24
	v_add_nc_u32_e32 v19, 2, v19
	s_add_i32 s4, s4, 3
	s_delay_alu instid0(SALU_CYCLE_1) | instskip(NEXT) | instid1(VALU_DEP_2)
	s_cmp_eq_u32 s4, 15
	v_lshlrev_b64 v[50:51], 4, v[50:51]
	s_delay_alu instid0(VALU_DEP_2) | instskip(SKIP_1) | instid1(VALU_DEP_3)
	v_lshlrev_b64 v[52:53], 4, v[19:20]
	v_add_nc_u32_e32 v19, 17, v24
	v_add_co_u32 v50, vcc_lo, s8, v50
	s_delay_alu instid0(VALU_DEP_2) | instskip(SKIP_3) | instid1(VALU_DEP_4)
	v_lshlrev_b64 v[54:55], 4, v[19:20]
	v_add_co_ci_u32_e32 v51, vcc_lo, s9, v51, vcc_lo
	v_add_co_u32 v56, vcc_lo, s10, v52
	v_add_co_ci_u32_e32 v57, vcc_lo, s11, v53, vcc_lo
	v_add_co_u32 v58, vcc_lo, s8, v54
	v_add_co_ci_u32_e32 v59, vcc_lo, s9, v55, vcc_lo
	global_load_b128 v[50:53], v[50:51], off
	global_load_b128 v[54:57], v[56:57], off
	;; [unrolled: 1-line block ×3, first 2 shown]
	s_waitcnt vmcnt(7)
	v_fma_f64 v[13:14], v[26:27], v[30:31], v[13:14]
	v_fma_f64 v[11:12], v[28:29], v[30:31], v[11:12]
	s_waitcnt vmcnt(6)
	v_fma_f64 v[15:16], v[34:35], v[30:31], v[15:16]
	v_fma_f64 v[17:18], v[36:37], v[30:31], v[17:18]
	s_delay_alu instid0(VALU_DEP_4) | instskip(NEXT) | instid1(VALU_DEP_4)
	v_fma_f64 v[13:14], -v[28:29], v[32:33], v[13:14]
	v_fma_f64 v[11:12], v[26:27], v[32:33], v[11:12]
	s_delay_alu instid0(VALU_DEP_4) | instskip(NEXT) | instid1(VALU_DEP_4)
	v_fma_f64 v[15:16], -v[36:37], v[32:33], v[15:16]
	v_fma_f64 v[17:18], v[34:35], v[32:33], v[17:18]
	s_waitcnt vmcnt(3)
	s_delay_alu instid0(VALU_DEP_4) | instskip(NEXT) | instid1(VALU_DEP_4)
	v_fma_f64 v[13:14], v[38:39], v[46:47], v[13:14]
	v_fma_f64 v[11:12], v[40:41], v[46:47], v[11:12]
	s_delay_alu instid0(VALU_DEP_4) | instskip(NEXT) | instid1(VALU_DEP_4)
	v_fma_f64 v[15:16], v[42:43], v[46:47], v[15:16]
	v_fma_f64 v[17:18], v[44:45], v[46:47], v[17:18]
	s_delay_alu instid0(VALU_DEP_4) | instskip(NEXT) | instid1(VALU_DEP_4)
	v_fma_f64 v[13:14], -v[40:41], v[48:49], v[13:14]
	v_fma_f64 v[11:12], v[38:39], v[48:49], v[11:12]
	s_delay_alu instid0(VALU_DEP_4) | instskip(NEXT) | instid1(VALU_DEP_4)
	v_fma_f64 v[15:16], -v[44:45], v[48:49], v[15:16]
	v_fma_f64 v[17:18], v[42:43], v[48:49], v[17:18]
	s_waitcnt vmcnt(1)
	s_delay_alu instid0(VALU_DEP_4) | instskip(NEXT) | instid1(VALU_DEP_4)
	v_fma_f64 v[13:14], v[50:51], v[54:55], v[13:14]
	v_fma_f64 v[11:12], v[52:53], v[54:55], v[11:12]
	s_waitcnt vmcnt(0)
	s_delay_alu instid0(VALU_DEP_4) | instskip(NEXT) | instid1(VALU_DEP_4)
	v_fma_f64 v[15:16], v[58:59], v[54:55], v[15:16]
	v_fma_f64 v[17:18], v[60:61], v[54:55], v[17:18]
	s_delay_alu instid0(VALU_DEP_4) | instskip(NEXT) | instid1(VALU_DEP_4)
	v_fma_f64 v[13:14], -v[52:53], v[56:57], v[13:14]
	v_fma_f64 v[11:12], v[50:51], v[56:57], v[11:12]
	s_delay_alu instid0(VALU_DEP_4) | instskip(NEXT) | instid1(VALU_DEP_4)
	v_fma_f64 v[15:16], -v[60:61], v[56:57], v[15:16]
	v_fma_f64 v[17:18], v[58:59], v[56:57], v[17:18]
	s_cbranch_scc0 .LBB293_20
; %bb.21:                               ;   in Loop: Header=BB293_19 Depth=1
	v_add_nc_u32_e32 v9, 4, v9
	v_add_nc_u32_e32 v21, 0x78, v21
	;; [unrolled: 1-line block ×3, first 2 shown]
	s_delay_alu instid0(VALU_DEP_3) | instskip(SKIP_1) | instid1(SALU_CYCLE_1)
	v_cmp_ge_i32_e32 vcc_lo, v9, v23
	s_or_b32 s0, vcc_lo, s0
	s_and_not1_b32 exec_lo, exec_lo, s0
	s_cbranch_execnz .LBB293_19
; %bb.22:
	s_or_b32 exec_lo, exec_lo, s0
.LBB293_23:
	s_delay_alu instid0(SALU_CYCLE_1)
	s_or_b32 exec_lo, exec_lo, s1
.LBB293_24:
	v_mbcnt_lo_u32_b32 v26, -1, 0
	s_delay_alu instid0(VALU_DEP_1) | instskip(NEXT) | instid1(VALU_DEP_1)
	v_xor_b32_e32 v9, 2, v26
	v_cmp_gt_i32_e32 vcc_lo, 32, v9
	v_cndmask_b32_e32 v9, v26, v9, vcc_lo
	s_delay_alu instid0(VALU_DEP_1)
	v_lshlrev_b32_e32 v24, 2, v9
	ds_bpermute_b32 v19, v24, v11
	ds_bpermute_b32 v20, v24, v12
	ds_bpermute_b32 v21, v24, v15
	ds_bpermute_b32 v22, v24, v16
	s_waitcnt lgkmcnt(2)
	v_add_f64 v[19:20], v[11:12], v[19:20]
	s_waitcnt lgkmcnt(0)
	v_add_f64 v[11:12], v[15:16], v[21:22]
	v_xor_b32_e32 v15, 1, v26
	s_delay_alu instid0(VALU_DEP_1)
	v_cmp_gt_i32_e32 vcc_lo, 32, v15
	v_cndmask_b32_e32 v15, v26, v15, vcc_lo
	ds_bpermute_b32 v9, v24, v13
	ds_bpermute_b32 v10, v24, v14
	;; [unrolled: 1-line block ×4, first 2 shown]
	v_lshlrev_b32_e32 v22, 2, v15
	v_cmp_eq_u32_e32 vcc_lo, 3, v25
	s_waitcnt lgkmcnt(2)
	v_add_f64 v[9:10], v[13:14], v[9:10]
	s_waitcnt lgkmcnt(0)
	v_add_f64 v[13:14], v[17:18], v[23:24]
	ds_bpermute_b32 v15, v22, v19
	ds_bpermute_b32 v16, v22, v20
	;; [unrolled: 1-line block ×8, first 2 shown]
	s_and_b32 exec_lo, exec_lo, vcc_lo
	s_cbranch_execz .LBB293_29
; %bb.25:
	v_cmp_eq_f64_e32 vcc_lo, 0, v[4:5]
	v_cmp_eq_f64_e64 s0, 0, v[6:7]
	s_waitcnt lgkmcnt(2)
	v_add_f64 v[9:10], v[9:10], v[23:24]
	v_add_f64 v[15:16], v[19:20], v[15:16]
	;; [unrolled: 1-line block ×3, first 2 shown]
	s_waitcnt lgkmcnt(0)
	v_add_f64 v[13:14], v[13:14], v[21:22]
	s_load_b64 s[2:3], s[2:3], 0x48
	s_and_b32 s0, vcc_lo, s0
	s_delay_alu instid0(SALU_CYCLE_1) | instskip(NEXT) | instid1(SALU_CYCLE_1)
	s_and_saveexec_b32 s1, s0
	s_xor_b32 s0, exec_lo, s1
	s_cbranch_execz .LBB293_27
; %bb.26:
	s_delay_alu instid0(VALU_DEP_3) | instskip(SKIP_1) | instid1(VALU_DEP_3)
	v_mul_f64 v[4:5], v[15:16], -v[2:3]
	v_mul_f64 v[6:7], v[0:1], v[15:16]
	v_mul_f64 v[15:16], v[13:14], -v[2:3]
	v_mul_f64 v[13:14], v[0:1], v[13:14]
	v_lshlrev_b32_e32 v8, 1, v8
	v_fma_f64 v[4:5], v[0:1], v[9:10], v[4:5]
	v_fma_f64 v[6:7], v[2:3], v[9:10], v[6:7]
	;; [unrolled: 1-line block ×4, first 2 shown]
	v_ashrrev_i32_e32 v9, 31, v8
                                        ; implicit-def: $vgpr15_vgpr16
                                        ; implicit-def: $vgpr11_vgpr12
                                        ; implicit-def: $vgpr13_vgpr14
	s_delay_alu instid0(VALU_DEP_1) | instskip(SKIP_1) | instid1(VALU_DEP_1)
	v_lshlrev_b64 v[8:9], 4, v[8:9]
	s_waitcnt lgkmcnt(0)
	v_add_co_u32 v8, vcc_lo, s2, v8
	s_delay_alu instid0(VALU_DEP_2)
	v_add_co_ci_u32_e32 v9, vcc_lo, s3, v9, vcc_lo
	s_clause 0x1
	global_store_b128 v[8:9], v[4:7], off
	global_store_b128 v[8:9], v[0:3], off offset:16
                                        ; implicit-def: $vgpr0_vgpr1
                                        ; implicit-def: $vgpr2_vgpr3
                                        ; implicit-def: $vgpr4_vgpr5
                                        ; implicit-def: $vgpr6_vgpr7
                                        ; implicit-def: $vgpr8
                                        ; implicit-def: $vgpr9_vgpr10
.LBB293_27:
	s_and_not1_saveexec_b32 s0, s0
	s_cbranch_execz .LBB293_29
; %bb.28:
	v_lshlrev_b32_e32 v17, 1, v8
	s_delay_alu instid0(VALU_DEP_4) | instskip(SKIP_1) | instid1(VALU_DEP_4)
	v_mul_f64 v[27:28], v[15:16], -v[2:3]
	v_mul_f64 v[15:16], v[0:1], v[15:16]
	v_mul_f64 v[29:30], v[13:14], -v[2:3]
	v_mul_f64 v[13:14], v[0:1], v[13:14]
	v_ashrrev_i32_e32 v18, 31, v17
	s_delay_alu instid0(VALU_DEP_1) | instskip(SKIP_1) | instid1(VALU_DEP_1)
	v_lshlrev_b64 v[17:18], 4, v[17:18]
	s_waitcnt lgkmcnt(0)
	v_add_co_u32 v25, vcc_lo, s2, v17
	s_delay_alu instid0(VALU_DEP_2)
	v_add_co_ci_u32_e32 v26, vcc_lo, s3, v18, vcc_lo
	s_clause 0x1
	global_load_b128 v[17:20], v[25:26], off
	global_load_b128 v[21:24], v[25:26], off offset:16
	v_fma_f64 v[27:28], v[0:1], v[9:10], v[27:28]
	v_fma_f64 v[8:9], v[2:3], v[9:10], v[15:16]
	;; [unrolled: 1-line block ×4, first 2 shown]
	s_waitcnt vmcnt(1)
	s_delay_alu instid0(VALU_DEP_4) | instskip(NEXT) | instid1(VALU_DEP_4)
	v_fma_f64 v[10:11], v[4:5], v[17:18], v[27:28]
	v_fma_f64 v[8:9], v[6:7], v[17:18], v[8:9]
	s_waitcnt vmcnt(0)
	s_delay_alu instid0(VALU_DEP_4) | instskip(NEXT) | instid1(VALU_DEP_4)
	v_fma_f64 v[12:13], v[4:5], v[21:22], v[0:1]
	v_fma_f64 v[14:15], v[6:7], v[21:22], v[2:3]
	s_delay_alu instid0(VALU_DEP_4) | instskip(NEXT) | instid1(VALU_DEP_4)
	v_fma_f64 v[0:1], -v[6:7], v[19:20], v[10:11]
	v_fma_f64 v[2:3], v[4:5], v[19:20], v[8:9]
	s_delay_alu instid0(VALU_DEP_4) | instskip(NEXT) | instid1(VALU_DEP_4)
	v_fma_f64 v[6:7], -v[6:7], v[23:24], v[12:13]
	v_fma_f64 v[8:9], v[4:5], v[23:24], v[14:15]
	s_clause 0x1
	global_store_b128 v[25:26], v[0:3], off
	global_store_b128 v[25:26], v[6:9], off offset:16
.LBB293_29:
	s_nop 0
	s_sendmsg sendmsg(MSG_DEALLOC_VGPRS)
	s_endpgm
	.section	.rodata,"a",@progbits
	.p2align	6, 0x0
	.amdhsa_kernel _ZN9rocsparseL19gebsrmvn_2xn_kernelILj128ELj15ELj4E21rocsparse_complex_numIdEEEvi20rocsparse_direction_NS_24const_host_device_scalarIT2_EEPKiS8_PKS5_SA_S6_PS5_21rocsparse_index_base_b
		.amdhsa_group_segment_fixed_size 2048
		.amdhsa_private_segment_fixed_size 0
		.amdhsa_kernarg_size 88
		.amdhsa_user_sgpr_count 15
		.amdhsa_user_sgpr_dispatch_ptr 1
		.amdhsa_user_sgpr_queue_ptr 0
		.amdhsa_user_sgpr_kernarg_segment_ptr 1
		.amdhsa_user_sgpr_dispatch_id 0
		.amdhsa_user_sgpr_private_segment_size 0
		.amdhsa_wavefront_size32 1
		.amdhsa_uses_dynamic_stack 0
		.amdhsa_enable_private_segment 0
		.amdhsa_system_sgpr_workgroup_id_x 1
		.amdhsa_system_sgpr_workgroup_id_y 0
		.amdhsa_system_sgpr_workgroup_id_z 0
		.amdhsa_system_sgpr_workgroup_info 0
		.amdhsa_system_vgpr_workitem_id 2
		.amdhsa_next_free_vgpr 62
		.amdhsa_next_free_sgpr 18
		.amdhsa_reserve_vcc 1
		.amdhsa_float_round_mode_32 0
		.amdhsa_float_round_mode_16_64 0
		.amdhsa_float_denorm_mode_32 3
		.amdhsa_float_denorm_mode_16_64 3
		.amdhsa_dx10_clamp 1
		.amdhsa_ieee_mode 1
		.amdhsa_fp16_overflow 0
		.amdhsa_workgroup_processor_mode 1
		.amdhsa_memory_ordered 1
		.amdhsa_forward_progress 0
		.amdhsa_shared_vgpr_count 0
		.amdhsa_exception_fp_ieee_invalid_op 0
		.amdhsa_exception_fp_denorm_src 0
		.amdhsa_exception_fp_ieee_div_zero 0
		.amdhsa_exception_fp_ieee_overflow 0
		.amdhsa_exception_fp_ieee_underflow 0
		.amdhsa_exception_fp_ieee_inexact 0
		.amdhsa_exception_int_div_zero 0
	.end_amdhsa_kernel
	.section	.text._ZN9rocsparseL19gebsrmvn_2xn_kernelILj128ELj15ELj4E21rocsparse_complex_numIdEEEvi20rocsparse_direction_NS_24const_host_device_scalarIT2_EEPKiS8_PKS5_SA_S6_PS5_21rocsparse_index_base_b,"axG",@progbits,_ZN9rocsparseL19gebsrmvn_2xn_kernelILj128ELj15ELj4E21rocsparse_complex_numIdEEEvi20rocsparse_direction_NS_24const_host_device_scalarIT2_EEPKiS8_PKS5_SA_S6_PS5_21rocsparse_index_base_b,comdat
.Lfunc_end293:
	.size	_ZN9rocsparseL19gebsrmvn_2xn_kernelILj128ELj15ELj4E21rocsparse_complex_numIdEEEvi20rocsparse_direction_NS_24const_host_device_scalarIT2_EEPKiS8_PKS5_SA_S6_PS5_21rocsparse_index_base_b, .Lfunc_end293-_ZN9rocsparseL19gebsrmvn_2xn_kernelILj128ELj15ELj4E21rocsparse_complex_numIdEEEvi20rocsparse_direction_NS_24const_host_device_scalarIT2_EEPKiS8_PKS5_SA_S6_PS5_21rocsparse_index_base_b
                                        ; -- End function
	.section	.AMDGPU.csdata,"",@progbits
; Kernel info:
; codeLenInByte = 2752
; NumSgprs: 20
; NumVgprs: 62
; ScratchSize: 0
; MemoryBound: 0
; FloatMode: 240
; IeeeMode: 1
; LDSByteSize: 2048 bytes/workgroup (compile time only)
; SGPRBlocks: 2
; VGPRBlocks: 7
; NumSGPRsForWavesPerEU: 20
; NumVGPRsForWavesPerEU: 62
; Occupancy: 16
; WaveLimiterHint : 1
; COMPUTE_PGM_RSRC2:SCRATCH_EN: 0
; COMPUTE_PGM_RSRC2:USER_SGPR: 15
; COMPUTE_PGM_RSRC2:TRAP_HANDLER: 0
; COMPUTE_PGM_RSRC2:TGID_X_EN: 1
; COMPUTE_PGM_RSRC2:TGID_Y_EN: 0
; COMPUTE_PGM_RSRC2:TGID_Z_EN: 0
; COMPUTE_PGM_RSRC2:TIDIG_COMP_CNT: 2
	.section	.text._ZN9rocsparseL19gebsrmvn_2xn_kernelILj128ELj15ELj8E21rocsparse_complex_numIdEEEvi20rocsparse_direction_NS_24const_host_device_scalarIT2_EEPKiS8_PKS5_SA_S6_PS5_21rocsparse_index_base_b,"axG",@progbits,_ZN9rocsparseL19gebsrmvn_2xn_kernelILj128ELj15ELj8E21rocsparse_complex_numIdEEEvi20rocsparse_direction_NS_24const_host_device_scalarIT2_EEPKiS8_PKS5_SA_S6_PS5_21rocsparse_index_base_b,comdat
	.globl	_ZN9rocsparseL19gebsrmvn_2xn_kernelILj128ELj15ELj8E21rocsparse_complex_numIdEEEvi20rocsparse_direction_NS_24const_host_device_scalarIT2_EEPKiS8_PKS5_SA_S6_PS5_21rocsparse_index_base_b ; -- Begin function _ZN9rocsparseL19gebsrmvn_2xn_kernelILj128ELj15ELj8E21rocsparse_complex_numIdEEEvi20rocsparse_direction_NS_24const_host_device_scalarIT2_EEPKiS8_PKS5_SA_S6_PS5_21rocsparse_index_base_b
	.p2align	8
	.type	_ZN9rocsparseL19gebsrmvn_2xn_kernelILj128ELj15ELj8E21rocsparse_complex_numIdEEEvi20rocsparse_direction_NS_24const_host_device_scalarIT2_EEPKiS8_PKS5_SA_S6_PS5_21rocsparse_index_base_b,@function
_ZN9rocsparseL19gebsrmvn_2xn_kernelILj128ELj15ELj8E21rocsparse_complex_numIdEEEvi20rocsparse_direction_NS_24const_host_device_scalarIT2_EEPKiS8_PKS5_SA_S6_PS5_21rocsparse_index_base_b: ; @_ZN9rocsparseL19gebsrmvn_2xn_kernelILj128ELj15ELj8E21rocsparse_complex_numIdEEEvi20rocsparse_direction_NS_24const_host_device_scalarIT2_EEPKiS8_PKS5_SA_S6_PS5_21rocsparse_index_base_b
; %bb.0:
	s_load_b64 s[12:13], s[2:3], 0x50
	s_load_b64 s[16:17], s[0:1], 0x4
	s_load_b128 s[8:11], s[2:3], 0x8
	v_bfe_u32 v1, v0, 10, 10
	s_mov_b64 s[0:1], src_shared_base
	s_load_b128 s[4:7], s[2:3], 0x38
	v_and_b32_e32 v12, 0x3ff, v0
	v_bfe_u32 v0, v0, 20, 10
	s_waitcnt lgkmcnt(0)
	s_bitcmp1_b32 s13, 0
	v_mul_u32_u24_e32 v1, s17, v1
	s_cselect_b32 s0, -1, 0
	s_delay_alu instid0(SALU_CYCLE_1)
	s_and_b32 vcc_lo, s0, exec_lo
	s_cselect_b32 s13, s1, s9
	s_lshr_b32 s14, s16, 16
	v_dual_mov_b32 v2, s4 :: v_dual_mov_b32 v3, s5
	s_mul_i32 s14, s14, s17
	v_mov_b32_e32 v6, s13
	v_mad_u32_u24 v1, s14, v12, v1
	s_delay_alu instid0(VALU_DEP_1) | instskip(SKIP_1) | instid1(VALU_DEP_2)
	v_add_lshl_u32 v4, v1, v0, 3
	v_dual_mov_b32 v0, s8 :: v_dual_mov_b32 v1, s9
	v_add_nc_u32_e32 v5, 0x400, v4
	ds_store_2addr_stride64_b64 v4, v[2:3], v[0:1] offset1:2
	v_dual_mov_b32 v2, s10 :: v_dual_mov_b32 v3, s11
	v_cndmask_b32_e64 v5, s8, v5, s0
	s_xor_b32 s10, s0, -1
	flat_load_b64 v[0:1], v[5:6]
	s_cbranch_vccnz .LBB294_2
; %bb.1:
	v_dual_mov_b32 v2, s8 :: v_dual_mov_b32 v3, s9
	flat_load_b64 v[2:3], v[2:3] offset:8
.LBB294_2:
	s_and_b32 s8, s0, exec_lo
	s_cselect_b32 s1, s1, s5
	v_cndmask_b32_e64 v4, s4, v4, s0
	v_dual_mov_b32 v5, s1 :: v_dual_mov_b32 v6, s6
	v_mov_b32_e32 v7, s7
	s_and_not1_b32 vcc_lo, exec_lo, s10
	flat_load_b64 v[4:5], v[4:5]
	s_cbranch_vccnz .LBB294_4
; %bb.3:
	v_dual_mov_b32 v7, s5 :: v_dual_mov_b32 v6, s4
	flat_load_b64 v[6:7], v[6:7] offset:8
.LBB294_4:
	s_waitcnt vmcnt(1) lgkmcnt(1)
	v_cmp_eq_f64_e32 vcc_lo, 0, v[0:1]
	v_cmp_eq_f64_e64 s0, 0, v[2:3]
	s_delay_alu instid0(VALU_DEP_1)
	s_and_b32 s4, vcc_lo, s0
	s_mov_b32 s0, -1
	s_and_saveexec_b32 s1, s4
	s_cbranch_execz .LBB294_6
; %bb.5:
	s_waitcnt vmcnt(0) lgkmcnt(0)
	v_cmp_neq_f64_e32 vcc_lo, 1.0, v[4:5]
	v_cmp_neq_f64_e64 s0, 0, v[6:7]
	s_delay_alu instid0(VALU_DEP_1) | instskip(NEXT) | instid1(SALU_CYCLE_1)
	s_or_b32 s0, vcc_lo, s0
	s_or_not1_b32 s0, s0, exec_lo
.LBB294_6:
	s_or_b32 exec_lo, exec_lo, s1
	s_and_saveexec_b32 s1, s0
	s_cbranch_execz .LBB294_29
; %bb.7:
	s_load_b64 s[0:1], s[2:3], 0x0
	v_lshrrev_b32_e32 v8, 3, v12
	s_delay_alu instid0(VALU_DEP_1) | instskip(SKIP_1) | instid1(VALU_DEP_1)
	v_lshl_or_b32 v8, s15, 4, v8
	s_waitcnt lgkmcnt(0)
	v_cmp_gt_i32_e32 vcc_lo, s0, v8
	s_and_b32 exec_lo, exec_lo, vcc_lo
	s_cbranch_execz .LBB294_29
; %bb.8:
	s_load_b256 s[4:11], s[2:3], 0x18
	v_ashrrev_i32_e32 v9, 31, v8
	v_and_b32_e32 v25, 7, v12
	s_cmp_lg_u32 s1, 0
	s_delay_alu instid0(VALU_DEP_2) | instskip(SKIP_1) | instid1(VALU_DEP_1)
	v_lshlrev_b64 v[9:10], 2, v[8:9]
	s_waitcnt lgkmcnt(0)
	v_add_co_u32 v9, vcc_lo, s4, v9
	s_delay_alu instid0(VALU_DEP_2) | instskip(SKIP_4) | instid1(VALU_DEP_2)
	v_add_co_ci_u32_e32 v10, vcc_lo, s5, v10, vcc_lo
	global_load_b64 v[10:11], v[9:10], off
	s_waitcnt vmcnt(0)
	v_subrev_nc_u32_e32 v9, s12, v10
	v_subrev_nc_u32_e32 v23, s12, v11
	v_add_nc_u32_e32 v9, v9, v25
	s_delay_alu instid0(VALU_DEP_1)
	v_cmp_lt_i32_e64 s0, v9, v23
	s_cbranch_scc0 .LBB294_16
; %bb.9:
	v_mov_b32_e32 v11, 0
	v_mov_b32_e32 v12, 0
	s_delay_alu instid0(VALU_DEP_1)
	v_dual_mov_b32 v14, v12 :: v_dual_mov_b32 v13, v11
	v_dual_mov_b32 v16, v12 :: v_dual_mov_b32 v15, v11
	;; [unrolled: 1-line block ×3, first 2 shown]
	s_and_saveexec_b32 s1, s0
	s_cbranch_execz .LBB294_15
; %bb.10:
	v_dual_mov_b32 v11, 0 :: v_dual_mov_b32 v20, 0
	v_dual_mov_b32 v12, 0 :: v_dual_mov_b32 v21, v9
	v_mul_lo_u32 v24, v9, 30
	s_mov_b32 s4, 0
	s_delay_alu instid0(VALU_DEP_2)
	v_dual_mov_b32 v14, v12 :: v_dual_mov_b32 v13, v11
	v_dual_mov_b32 v16, v12 :: v_dual_mov_b32 v15, v11
	;; [unrolled: 1-line block ×3, first 2 shown]
.LBB294_11:                             ; =>This Loop Header: Depth=1
                                        ;     Child Loop BB294_12 Depth 2
	v_ashrrev_i32_e32 v22, 31, v21
	s_mov_b32 s5, 0
	s_delay_alu instid0(VALU_DEP_1) | instskip(NEXT) | instid1(VALU_DEP_1)
	v_lshlrev_b64 v[26:27], 2, v[21:22]
	v_add_co_u32 v26, vcc_lo, s6, v26
	s_delay_alu instid0(VALU_DEP_2) | instskip(SKIP_3) | instid1(VALU_DEP_1)
	v_add_co_ci_u32_e32 v27, vcc_lo, s7, v27, vcc_lo
	global_load_b32 v19, v[26:27], off
	s_waitcnt vmcnt(0)
	v_subrev_nc_u32_e32 v19, s12, v19
	v_mul_lo_u32 v22, v19, 15
	v_mov_b32_e32 v19, v24
.LBB294_12:                             ;   Parent Loop BB294_11 Depth=1
                                        ; =>  This Inner Loop Header: Depth=2
	s_delay_alu instid0(VALU_DEP_2) | instskip(NEXT) | instid1(VALU_DEP_2)
	v_dual_mov_b32 v51, v20 :: v_dual_add_nc_u32 v50, s5, v22
	v_lshlrev_b64 v[26:27], 4, v[19:20]
	v_dual_mov_b32 v39, v20 :: v_dual_add_nc_u32 v38, 2, v19
	s_delay_alu instid0(VALU_DEP_3) | instskip(NEXT) | instid1(VALU_DEP_4)
	v_dual_mov_b32 v41, v20 :: v_dual_add_nc_u32 v40, 1, v50
	v_lshlrev_b64 v[28:29], 4, v[50:51]
	s_delay_alu instid0(VALU_DEP_4) | instskip(SKIP_2) | instid1(VALU_DEP_4)
	v_add_co_u32 v30, vcc_lo, s8, v26
	v_add_co_ci_u32_e32 v31, vcc_lo, s9, v27, vcc_lo
	v_lshlrev_b64 v[38:39], 4, v[38:39]
	v_add_co_u32 v34, vcc_lo, s10, v28
	v_add_co_ci_u32_e32 v35, vcc_lo, s11, v29, vcc_lo
	s_clause 0x1
	global_load_b128 v[26:29], v[30:31], off offset:16
	global_load_b128 v[30:33], v[30:31], off
	global_load_b128 v[34:37], v[34:35], off
	v_lshlrev_b64 v[40:41], 4, v[40:41]
	v_add_co_u32 v42, vcc_lo, s8, v38
	v_add_co_ci_u32_e32 v43, vcc_lo, s9, v39, vcc_lo
	v_dual_mov_b32 v52, v20 :: v_dual_add_nc_u32 v51, 4, v19
	s_delay_alu instid0(VALU_DEP_4)
	v_add_co_u32 v46, vcc_lo, s10, v40
	v_add_co_ci_u32_e32 v47, vcc_lo, s11, v41, vcc_lo
	s_clause 0x1
	global_load_b128 v[38:41], v[42:43], off offset:16
	global_load_b128 v[42:45], v[42:43], off
	global_load_b128 v[46:49], v[46:47], off
	v_dual_mov_b32 v54, v20 :: v_dual_add_nc_u32 v53, 2, v50
	v_lshlrev_b64 v[50:51], 4, v[51:52]
	v_add_nc_u32_e32 v19, 6, v19
	s_add_i32 s5, s5, 3
	s_delay_alu instid0(VALU_DEP_3) | instskip(SKIP_1) | instid1(VALU_DEP_3)
	v_lshlrev_b64 v[52:53], 4, v[53:54]
	s_cmp_eq_u32 s5, 15
	v_add_co_u32 v54, vcc_lo, s8, v50
	v_add_co_ci_u32_e32 v55, vcc_lo, s9, v51, vcc_lo
	s_delay_alu instid0(VALU_DEP_3) | instskip(NEXT) | instid1(VALU_DEP_4)
	v_add_co_u32 v58, vcc_lo, s10, v52
	v_add_co_ci_u32_e32 v59, vcc_lo, s11, v53, vcc_lo
	s_clause 0x1
	global_load_b128 v[50:53], v[54:55], off offset:16
	global_load_b128 v[54:57], v[54:55], off
	global_load_b128 v[58:61], v[58:59], off
	s_waitcnt vmcnt(6)
	v_fma_f64 v[13:14], v[30:31], v[34:35], v[13:14]
	v_fma_f64 v[11:12], v[32:33], v[34:35], v[11:12]
	;; [unrolled: 1-line block ×4, first 2 shown]
	s_delay_alu instid0(VALU_DEP_4) | instskip(NEXT) | instid1(VALU_DEP_4)
	v_fma_f64 v[13:14], -v[32:33], v[36:37], v[13:14]
	v_fma_f64 v[11:12], v[30:31], v[36:37], v[11:12]
	s_delay_alu instid0(VALU_DEP_4) | instskip(NEXT) | instid1(VALU_DEP_4)
	v_fma_f64 v[15:16], -v[28:29], v[36:37], v[15:16]
	v_fma_f64 v[17:18], v[26:27], v[36:37], v[17:18]
	s_waitcnt vmcnt(3)
	s_delay_alu instid0(VALU_DEP_4) | instskip(NEXT) | instid1(VALU_DEP_4)
	v_fma_f64 v[13:14], v[42:43], v[46:47], v[13:14]
	v_fma_f64 v[11:12], v[44:45], v[46:47], v[11:12]
	s_delay_alu instid0(VALU_DEP_4) | instskip(NEXT) | instid1(VALU_DEP_4)
	v_fma_f64 v[15:16], v[38:39], v[46:47], v[15:16]
	v_fma_f64 v[17:18], v[40:41], v[46:47], v[17:18]
	s_delay_alu instid0(VALU_DEP_4) | instskip(NEXT) | instid1(VALU_DEP_4)
	v_fma_f64 v[13:14], -v[44:45], v[48:49], v[13:14]
	v_fma_f64 v[11:12], v[42:43], v[48:49], v[11:12]
	s_delay_alu instid0(VALU_DEP_4) | instskip(NEXT) | instid1(VALU_DEP_4)
	v_fma_f64 v[15:16], -v[40:41], v[48:49], v[15:16]
	v_fma_f64 v[17:18], v[38:39], v[48:49], v[17:18]
	s_waitcnt vmcnt(0)
	s_delay_alu instid0(VALU_DEP_4) | instskip(NEXT) | instid1(VALU_DEP_4)
	v_fma_f64 v[13:14], v[54:55], v[58:59], v[13:14]
	v_fma_f64 v[11:12], v[56:57], v[58:59], v[11:12]
	s_delay_alu instid0(VALU_DEP_4) | instskip(NEXT) | instid1(VALU_DEP_4)
	v_fma_f64 v[15:16], v[50:51], v[58:59], v[15:16]
	v_fma_f64 v[17:18], v[52:53], v[58:59], v[17:18]
	s_delay_alu instid0(VALU_DEP_4) | instskip(NEXT) | instid1(VALU_DEP_4)
	v_fma_f64 v[13:14], -v[56:57], v[60:61], v[13:14]
	v_fma_f64 v[11:12], v[54:55], v[60:61], v[11:12]
	s_delay_alu instid0(VALU_DEP_4) | instskip(NEXT) | instid1(VALU_DEP_4)
	v_fma_f64 v[15:16], -v[52:53], v[60:61], v[15:16]
	v_fma_f64 v[17:18], v[50:51], v[60:61], v[17:18]
	s_cbranch_scc0 .LBB294_12
; %bb.13:                               ;   in Loop: Header=BB294_11 Depth=1
	v_add_nc_u32_e32 v21, 8, v21
	v_add_nc_u32_e32 v24, 0xf0, v24
	s_delay_alu instid0(VALU_DEP_2) | instskip(SKIP_1) | instid1(SALU_CYCLE_1)
	v_cmp_ge_i32_e32 vcc_lo, v21, v23
	s_or_b32 s4, vcc_lo, s4
	s_and_not1_b32 exec_lo, exec_lo, s4
	s_cbranch_execnz .LBB294_11
; %bb.14:
	s_or_b32 exec_lo, exec_lo, s4
.LBB294_15:
	s_delay_alu instid0(SALU_CYCLE_1)
	s_or_b32 exec_lo, exec_lo, s1
	s_cbranch_execz .LBB294_17
	s_branch .LBB294_24
.LBB294_16:
                                        ; implicit-def: $vgpr11_vgpr12
                                        ; implicit-def: $vgpr13_vgpr14
                                        ; implicit-def: $vgpr15_vgpr16
                                        ; implicit-def: $vgpr17_vgpr18
.LBB294_17:
	v_mov_b32_e32 v11, 0
	v_mov_b32_e32 v12, 0
	s_delay_alu instid0(VALU_DEP_1)
	v_dual_mov_b32 v14, v12 :: v_dual_mov_b32 v13, v11
	v_dual_mov_b32 v16, v12 :: v_dual_mov_b32 v15, v11
	;; [unrolled: 1-line block ×3, first 2 shown]
	s_and_saveexec_b32 s1, s0
	s_cbranch_execz .LBB294_23
; %bb.18:
	v_mul_lo_u32 v10, v10, 30
	v_dual_mov_b32 v11, 0 :: v_dual_mov_b32 v20, 0
	v_mov_b32_e32 v12, 0
	v_mul_lo_u32 v21, v9, 30
	s_mul_i32 s0, s12, 30
	s_delay_alu instid0(VALU_DEP_2) | instskip(SKIP_3) | instid1(VALU_DEP_3)
	v_dual_mov_b32 v14, v12 :: v_dual_mov_b32 v13, v11
	v_mad_u32_u24 v10, v25, 30, v10
	v_dual_mov_b32 v16, v12 :: v_dual_mov_b32 v15, v11
	v_dual_mov_b32 v18, v12 :: v_dual_mov_b32 v17, v11
	v_subrev_nc_u32_e32 v22, s0, v10
	s_mov_b32 s0, 0
.LBB294_19:                             ; =>This Loop Header: Depth=1
                                        ;     Child Loop BB294_20 Depth 2
	v_ashrrev_i32_e32 v10, 31, v9
	s_mov_b32 s4, 0
	s_delay_alu instid0(VALU_DEP_1) | instskip(NEXT) | instid1(VALU_DEP_1)
	v_lshlrev_b64 v[26:27], 2, v[9:10]
	v_add_co_u32 v26, vcc_lo, s6, v26
	s_delay_alu instid0(VALU_DEP_2) | instskip(SKIP_3) | instid1(VALU_DEP_1)
	v_add_co_ci_u32_e32 v27, vcc_lo, s7, v27, vcc_lo
	global_load_b32 v10, v[26:27], off
	s_waitcnt vmcnt(0)
	v_subrev_nc_u32_e32 v10, s12, v10
	v_mul_lo_u32 v10, v10, 15
.LBB294_20:                             ;   Parent Loop BB294_19 Depth=1
                                        ; =>  This Inner Loop Header: Depth=2
	v_add_nc_u32_e32 v19, s4, v22
	v_dual_mov_b32 v27, v20 :: v_dual_add_nc_u32 v24, s4, v21
	v_mov_b32_e32 v41, v20
	v_mov_b32_e32 v43, v20
	s_delay_alu instid0(VALU_DEP_4) | instskip(NEXT) | instid1(VALU_DEP_4)
	v_lshlrev_b64 v[28:29], 4, v[19:20]
	v_add_nc_u32_e32 v42, 16, v24
	v_add_nc_u32_e32 v19, s4, v10
	v_dual_mov_b32 v39, v20 :: v_dual_add_nc_u32 v26, 15, v24
	v_add_nc_u32_e32 v38, 1, v24
	v_add_co_u32 v28, vcc_lo, s8, v28
	s_delay_alu instid0(VALU_DEP_4) | instskip(NEXT) | instid1(VALU_DEP_4)
	v_lshlrev_b64 v[30:31], 4, v[19:20]
	v_lshlrev_b64 v[26:27], 4, v[26:27]
	v_add_co_ci_u32_e32 v29, vcc_lo, s9, v29, vcc_lo
	v_lshlrev_b64 v[38:39], 4, v[38:39]
	v_dual_mov_b32 v51, v20 :: v_dual_add_nc_u32 v40, 1, v19
	v_add_co_u32 v30, vcc_lo, s10, v30
	v_add_co_ci_u32_e32 v31, vcc_lo, s11, v31, vcc_lo
	v_add_co_u32 v34, vcc_lo, s8, v26
	v_add_co_ci_u32_e32 v35, vcc_lo, s9, v27, vcc_lo
	global_load_b128 v[26:29], v[28:29], off
	global_load_b128 v[30:33], v[30:31], off
	;; [unrolled: 1-line block ×3, first 2 shown]
	v_lshlrev_b64 v[42:43], 4, v[42:43]
	v_lshlrev_b64 v[40:41], 4, v[40:41]
	v_add_co_u32 v38, vcc_lo, s8, v38
	v_add_co_ci_u32_e32 v39, vcc_lo, s9, v39, vcc_lo
	s_delay_alu instid0(VALU_DEP_4)
	v_add_co_u32 v42, vcc_lo, s8, v42
	v_add_co_ci_u32_e32 v43, vcc_lo, s9, v43, vcc_lo
	v_add_co_u32 v46, vcc_lo, s10, v40
	v_add_co_ci_u32_e32 v47, vcc_lo, s11, v41, vcc_lo
	s_clause 0x1
	global_load_b128 v[38:41], v[38:39], off
	global_load_b128 v[42:45], v[42:43], off
	;; [unrolled: 1-line block ×3, first 2 shown]
	v_add_nc_u32_e32 v50, 2, v24
	v_add_nc_u32_e32 v19, 2, v19
	s_add_i32 s4, s4, 3
	s_delay_alu instid0(SALU_CYCLE_1) | instskip(NEXT) | instid1(VALU_DEP_2)
	s_cmp_eq_u32 s4, 15
	v_lshlrev_b64 v[50:51], 4, v[50:51]
	s_delay_alu instid0(VALU_DEP_2) | instskip(SKIP_1) | instid1(VALU_DEP_3)
	v_lshlrev_b64 v[52:53], 4, v[19:20]
	v_add_nc_u32_e32 v19, 17, v24
	v_add_co_u32 v50, vcc_lo, s8, v50
	s_delay_alu instid0(VALU_DEP_2) | instskip(SKIP_3) | instid1(VALU_DEP_4)
	v_lshlrev_b64 v[54:55], 4, v[19:20]
	v_add_co_ci_u32_e32 v51, vcc_lo, s9, v51, vcc_lo
	v_add_co_u32 v56, vcc_lo, s10, v52
	v_add_co_ci_u32_e32 v57, vcc_lo, s11, v53, vcc_lo
	v_add_co_u32 v58, vcc_lo, s8, v54
	v_add_co_ci_u32_e32 v59, vcc_lo, s9, v55, vcc_lo
	global_load_b128 v[50:53], v[50:51], off
	global_load_b128 v[54:57], v[56:57], off
	;; [unrolled: 1-line block ×3, first 2 shown]
	s_waitcnt vmcnt(7)
	v_fma_f64 v[13:14], v[26:27], v[30:31], v[13:14]
	v_fma_f64 v[11:12], v[28:29], v[30:31], v[11:12]
	s_waitcnt vmcnt(6)
	v_fma_f64 v[15:16], v[34:35], v[30:31], v[15:16]
	v_fma_f64 v[17:18], v[36:37], v[30:31], v[17:18]
	s_delay_alu instid0(VALU_DEP_4) | instskip(NEXT) | instid1(VALU_DEP_4)
	v_fma_f64 v[13:14], -v[28:29], v[32:33], v[13:14]
	v_fma_f64 v[11:12], v[26:27], v[32:33], v[11:12]
	s_delay_alu instid0(VALU_DEP_4) | instskip(NEXT) | instid1(VALU_DEP_4)
	v_fma_f64 v[15:16], -v[36:37], v[32:33], v[15:16]
	v_fma_f64 v[17:18], v[34:35], v[32:33], v[17:18]
	s_waitcnt vmcnt(3)
	s_delay_alu instid0(VALU_DEP_4) | instskip(NEXT) | instid1(VALU_DEP_4)
	v_fma_f64 v[13:14], v[38:39], v[46:47], v[13:14]
	v_fma_f64 v[11:12], v[40:41], v[46:47], v[11:12]
	s_delay_alu instid0(VALU_DEP_4) | instskip(NEXT) | instid1(VALU_DEP_4)
	v_fma_f64 v[15:16], v[42:43], v[46:47], v[15:16]
	v_fma_f64 v[17:18], v[44:45], v[46:47], v[17:18]
	s_delay_alu instid0(VALU_DEP_4) | instskip(NEXT) | instid1(VALU_DEP_4)
	v_fma_f64 v[13:14], -v[40:41], v[48:49], v[13:14]
	v_fma_f64 v[11:12], v[38:39], v[48:49], v[11:12]
	s_delay_alu instid0(VALU_DEP_4) | instskip(NEXT) | instid1(VALU_DEP_4)
	v_fma_f64 v[15:16], -v[44:45], v[48:49], v[15:16]
	v_fma_f64 v[17:18], v[42:43], v[48:49], v[17:18]
	s_waitcnt vmcnt(1)
	s_delay_alu instid0(VALU_DEP_4) | instskip(NEXT) | instid1(VALU_DEP_4)
	v_fma_f64 v[13:14], v[50:51], v[54:55], v[13:14]
	v_fma_f64 v[11:12], v[52:53], v[54:55], v[11:12]
	s_waitcnt vmcnt(0)
	s_delay_alu instid0(VALU_DEP_4) | instskip(NEXT) | instid1(VALU_DEP_4)
	v_fma_f64 v[15:16], v[58:59], v[54:55], v[15:16]
	v_fma_f64 v[17:18], v[60:61], v[54:55], v[17:18]
	s_delay_alu instid0(VALU_DEP_4) | instskip(NEXT) | instid1(VALU_DEP_4)
	v_fma_f64 v[13:14], -v[52:53], v[56:57], v[13:14]
	v_fma_f64 v[11:12], v[50:51], v[56:57], v[11:12]
	s_delay_alu instid0(VALU_DEP_4) | instskip(NEXT) | instid1(VALU_DEP_4)
	v_fma_f64 v[15:16], -v[60:61], v[56:57], v[15:16]
	v_fma_f64 v[17:18], v[58:59], v[56:57], v[17:18]
	s_cbranch_scc0 .LBB294_20
; %bb.21:                               ;   in Loop: Header=BB294_19 Depth=1
	v_add_nc_u32_e32 v9, 8, v9
	v_add_nc_u32_e32 v21, 0xf0, v21
	;; [unrolled: 1-line block ×3, first 2 shown]
	s_delay_alu instid0(VALU_DEP_3) | instskip(SKIP_1) | instid1(SALU_CYCLE_1)
	v_cmp_ge_i32_e32 vcc_lo, v9, v23
	s_or_b32 s0, vcc_lo, s0
	s_and_not1_b32 exec_lo, exec_lo, s0
	s_cbranch_execnz .LBB294_19
; %bb.22:
	s_or_b32 exec_lo, exec_lo, s0
.LBB294_23:
	s_delay_alu instid0(SALU_CYCLE_1)
	s_or_b32 exec_lo, exec_lo, s1
.LBB294_24:
	v_mbcnt_lo_u32_b32 v26, -1, 0
	s_delay_alu instid0(VALU_DEP_1) | instskip(NEXT) | instid1(VALU_DEP_1)
	v_xor_b32_e32 v9, 4, v26
	v_cmp_gt_i32_e32 vcc_lo, 32, v9
	v_cndmask_b32_e32 v9, v26, v9, vcc_lo
	s_delay_alu instid0(VALU_DEP_1)
	v_lshlrev_b32_e32 v24, 2, v9
	ds_bpermute_b32 v9, v24, v13
	ds_bpermute_b32 v10, v24, v14
	;; [unrolled: 1-line block ×4, first 2 shown]
	s_waitcnt lgkmcnt(2)
	v_add_f64 v[9:10], v[13:14], v[9:10]
	s_waitcnt lgkmcnt(0)
	v_add_f64 v[13:14], v[15:16], v[21:22]
	v_xor_b32_e32 v15, 2, v26
	s_delay_alu instid0(VALU_DEP_1)
	v_cmp_gt_i32_e32 vcc_lo, 32, v15
	v_cndmask_b32_e32 v15, v26, v15, vcc_lo
	ds_bpermute_b32 v19, v24, v11
	ds_bpermute_b32 v20, v24, v12
	;; [unrolled: 1-line block ×4, first 2 shown]
	s_waitcnt lgkmcnt(2)
	v_add_f64 v[11:12], v[11:12], v[19:20]
	s_waitcnt lgkmcnt(0)
	v_add_f64 v[17:18], v[17:18], v[23:24]
	v_lshlrev_b32_e32 v24, 2, v15
	ds_bpermute_b32 v15, v24, v9
	ds_bpermute_b32 v16, v24, v10
	;; [unrolled: 1-line block ×4, first 2 shown]
	s_waitcnt lgkmcnt(2)
	v_add_f64 v[9:10], v[9:10], v[15:16]
	ds_bpermute_b32 v19, v24, v11
	ds_bpermute_b32 v20, v24, v12
	;; [unrolled: 1-line block ×4, first 2 shown]
	s_waitcnt lgkmcnt(2)
	v_add_f64 v[15:16], v[11:12], v[19:20]
	v_add_f64 v[11:12], v[13:14], v[21:22]
	s_waitcnt lgkmcnt(0)
	v_add_f64 v[13:14], v[17:18], v[23:24]
	v_xor_b32_e32 v17, 1, v26
	s_delay_alu instid0(VALU_DEP_1) | instskip(SKIP_2) | instid1(VALU_DEP_2)
	v_cmp_gt_i32_e32 vcc_lo, 32, v17
	v_cndmask_b32_e32 v17, v26, v17, vcc_lo
	v_cmp_eq_u32_e32 vcc_lo, 7, v25
	v_lshlrev_b32_e32 v20, 2, v17
	ds_bpermute_b32 v23, v20, v9
	ds_bpermute_b32 v24, v20, v10
	;; [unrolled: 1-line block ×8, first 2 shown]
	s_and_b32 exec_lo, exec_lo, vcc_lo
	s_cbranch_execz .LBB294_29
; %bb.25:
	v_cmp_eq_f64_e32 vcc_lo, 0, v[4:5]
	v_cmp_eq_f64_e64 s0, 0, v[6:7]
	s_waitcnt lgkmcnt(6)
	v_add_f64 v[9:10], v[9:10], v[23:24]
	s_waitcnt lgkmcnt(4)
	v_add_f64 v[15:16], v[15:16], v[21:22]
	s_waitcnt lgkmcnt(2)
	v_add_f64 v[11:12], v[11:12], v[17:18]
	s_waitcnt lgkmcnt(0)
	v_add_f64 v[13:14], v[13:14], v[19:20]
	s_load_b64 s[2:3], s[2:3], 0x48
	s_and_b32 s0, vcc_lo, s0
	s_delay_alu instid0(SALU_CYCLE_1) | instskip(NEXT) | instid1(SALU_CYCLE_1)
	s_and_saveexec_b32 s1, s0
	s_xor_b32 s0, exec_lo, s1
	s_cbranch_execz .LBB294_27
; %bb.26:
	s_delay_alu instid0(VALU_DEP_3) | instskip(SKIP_1) | instid1(VALU_DEP_3)
	v_mul_f64 v[4:5], v[15:16], -v[2:3]
	v_mul_f64 v[6:7], v[0:1], v[15:16]
	v_mul_f64 v[15:16], v[13:14], -v[2:3]
	v_mul_f64 v[13:14], v[0:1], v[13:14]
	v_lshlrev_b32_e32 v8, 1, v8
	v_fma_f64 v[4:5], v[0:1], v[9:10], v[4:5]
	v_fma_f64 v[6:7], v[2:3], v[9:10], v[6:7]
	;; [unrolled: 1-line block ×4, first 2 shown]
	v_ashrrev_i32_e32 v9, 31, v8
                                        ; implicit-def: $vgpr15_vgpr16
                                        ; implicit-def: $vgpr11_vgpr12
                                        ; implicit-def: $vgpr13_vgpr14
	s_delay_alu instid0(VALU_DEP_1) | instskip(SKIP_1) | instid1(VALU_DEP_1)
	v_lshlrev_b64 v[8:9], 4, v[8:9]
	s_waitcnt lgkmcnt(0)
	v_add_co_u32 v8, vcc_lo, s2, v8
	s_delay_alu instid0(VALU_DEP_2)
	v_add_co_ci_u32_e32 v9, vcc_lo, s3, v9, vcc_lo
	s_clause 0x1
	global_store_b128 v[8:9], v[4:7], off
	global_store_b128 v[8:9], v[0:3], off offset:16
                                        ; implicit-def: $vgpr0_vgpr1
                                        ; implicit-def: $vgpr2_vgpr3
                                        ; implicit-def: $vgpr4_vgpr5
                                        ; implicit-def: $vgpr6_vgpr7
                                        ; implicit-def: $vgpr8
                                        ; implicit-def: $vgpr9_vgpr10
.LBB294_27:
	s_and_not1_saveexec_b32 s0, s0
	s_cbranch_execz .LBB294_29
; %bb.28:
	v_lshlrev_b32_e32 v17, 1, v8
	s_delay_alu instid0(VALU_DEP_4) | instskip(SKIP_1) | instid1(VALU_DEP_4)
	v_mul_f64 v[27:28], v[15:16], -v[2:3]
	v_mul_f64 v[15:16], v[0:1], v[15:16]
	v_mul_f64 v[29:30], v[13:14], -v[2:3]
	v_mul_f64 v[13:14], v[0:1], v[13:14]
	v_ashrrev_i32_e32 v18, 31, v17
	s_delay_alu instid0(VALU_DEP_1) | instskip(SKIP_1) | instid1(VALU_DEP_1)
	v_lshlrev_b64 v[17:18], 4, v[17:18]
	s_waitcnt lgkmcnt(0)
	v_add_co_u32 v25, vcc_lo, s2, v17
	s_delay_alu instid0(VALU_DEP_2)
	v_add_co_ci_u32_e32 v26, vcc_lo, s3, v18, vcc_lo
	s_clause 0x1
	global_load_b128 v[17:20], v[25:26], off
	global_load_b128 v[21:24], v[25:26], off offset:16
	v_fma_f64 v[27:28], v[0:1], v[9:10], v[27:28]
	v_fma_f64 v[8:9], v[2:3], v[9:10], v[15:16]
	v_fma_f64 v[0:1], v[0:1], v[11:12], v[29:30]
	v_fma_f64 v[2:3], v[2:3], v[11:12], v[13:14]
	s_waitcnt vmcnt(1)
	s_delay_alu instid0(VALU_DEP_4) | instskip(NEXT) | instid1(VALU_DEP_4)
	v_fma_f64 v[10:11], v[4:5], v[17:18], v[27:28]
	v_fma_f64 v[8:9], v[6:7], v[17:18], v[8:9]
	s_waitcnt vmcnt(0)
	s_delay_alu instid0(VALU_DEP_4) | instskip(NEXT) | instid1(VALU_DEP_4)
	v_fma_f64 v[12:13], v[4:5], v[21:22], v[0:1]
	v_fma_f64 v[14:15], v[6:7], v[21:22], v[2:3]
	s_delay_alu instid0(VALU_DEP_4) | instskip(NEXT) | instid1(VALU_DEP_4)
	v_fma_f64 v[0:1], -v[6:7], v[19:20], v[10:11]
	v_fma_f64 v[2:3], v[4:5], v[19:20], v[8:9]
	s_delay_alu instid0(VALU_DEP_4) | instskip(NEXT) | instid1(VALU_DEP_4)
	v_fma_f64 v[6:7], -v[6:7], v[23:24], v[12:13]
	v_fma_f64 v[8:9], v[4:5], v[23:24], v[14:15]
	s_clause 0x1
	global_store_b128 v[25:26], v[0:3], off
	global_store_b128 v[25:26], v[6:9], off offset:16
.LBB294_29:
	s_nop 0
	s_sendmsg sendmsg(MSG_DEALLOC_VGPRS)
	s_endpgm
	.section	.rodata,"a",@progbits
	.p2align	6, 0x0
	.amdhsa_kernel _ZN9rocsparseL19gebsrmvn_2xn_kernelILj128ELj15ELj8E21rocsparse_complex_numIdEEEvi20rocsparse_direction_NS_24const_host_device_scalarIT2_EEPKiS8_PKS5_SA_S6_PS5_21rocsparse_index_base_b
		.amdhsa_group_segment_fixed_size 2048
		.amdhsa_private_segment_fixed_size 0
		.amdhsa_kernarg_size 88
		.amdhsa_user_sgpr_count 15
		.amdhsa_user_sgpr_dispatch_ptr 1
		.amdhsa_user_sgpr_queue_ptr 0
		.amdhsa_user_sgpr_kernarg_segment_ptr 1
		.amdhsa_user_sgpr_dispatch_id 0
		.amdhsa_user_sgpr_private_segment_size 0
		.amdhsa_wavefront_size32 1
		.amdhsa_uses_dynamic_stack 0
		.amdhsa_enable_private_segment 0
		.amdhsa_system_sgpr_workgroup_id_x 1
		.amdhsa_system_sgpr_workgroup_id_y 0
		.amdhsa_system_sgpr_workgroup_id_z 0
		.amdhsa_system_sgpr_workgroup_info 0
		.amdhsa_system_vgpr_workitem_id 2
		.amdhsa_next_free_vgpr 62
		.amdhsa_next_free_sgpr 18
		.amdhsa_reserve_vcc 1
		.amdhsa_float_round_mode_32 0
		.amdhsa_float_round_mode_16_64 0
		.amdhsa_float_denorm_mode_32 3
		.amdhsa_float_denorm_mode_16_64 3
		.amdhsa_dx10_clamp 1
		.amdhsa_ieee_mode 1
		.amdhsa_fp16_overflow 0
		.amdhsa_workgroup_processor_mode 1
		.amdhsa_memory_ordered 1
		.amdhsa_forward_progress 0
		.amdhsa_shared_vgpr_count 0
		.amdhsa_exception_fp_ieee_invalid_op 0
		.amdhsa_exception_fp_denorm_src 0
		.amdhsa_exception_fp_ieee_div_zero 0
		.amdhsa_exception_fp_ieee_overflow 0
		.amdhsa_exception_fp_ieee_underflow 0
		.amdhsa_exception_fp_ieee_inexact 0
		.amdhsa_exception_int_div_zero 0
	.end_amdhsa_kernel
	.section	.text._ZN9rocsparseL19gebsrmvn_2xn_kernelILj128ELj15ELj8E21rocsparse_complex_numIdEEEvi20rocsparse_direction_NS_24const_host_device_scalarIT2_EEPKiS8_PKS5_SA_S6_PS5_21rocsparse_index_base_b,"axG",@progbits,_ZN9rocsparseL19gebsrmvn_2xn_kernelILj128ELj15ELj8E21rocsparse_complex_numIdEEEvi20rocsparse_direction_NS_24const_host_device_scalarIT2_EEPKiS8_PKS5_SA_S6_PS5_21rocsparse_index_base_b,comdat
.Lfunc_end294:
	.size	_ZN9rocsparseL19gebsrmvn_2xn_kernelILj128ELj15ELj8E21rocsparse_complex_numIdEEEvi20rocsparse_direction_NS_24const_host_device_scalarIT2_EEPKiS8_PKS5_SA_S6_PS5_21rocsparse_index_base_b, .Lfunc_end294-_ZN9rocsparseL19gebsrmvn_2xn_kernelILj128ELj15ELj8E21rocsparse_complex_numIdEEEvi20rocsparse_direction_NS_24const_host_device_scalarIT2_EEPKiS8_PKS5_SA_S6_PS5_21rocsparse_index_base_b
                                        ; -- End function
	.section	.AMDGPU.csdata,"",@progbits
; Kernel info:
; codeLenInByte = 2888
; NumSgprs: 20
; NumVgprs: 62
; ScratchSize: 0
; MemoryBound: 0
; FloatMode: 240
; IeeeMode: 1
; LDSByteSize: 2048 bytes/workgroup (compile time only)
; SGPRBlocks: 2
; VGPRBlocks: 7
; NumSGPRsForWavesPerEU: 20
; NumVGPRsForWavesPerEU: 62
; Occupancy: 16
; WaveLimiterHint : 1
; COMPUTE_PGM_RSRC2:SCRATCH_EN: 0
; COMPUTE_PGM_RSRC2:USER_SGPR: 15
; COMPUTE_PGM_RSRC2:TRAP_HANDLER: 0
; COMPUTE_PGM_RSRC2:TGID_X_EN: 1
; COMPUTE_PGM_RSRC2:TGID_Y_EN: 0
; COMPUTE_PGM_RSRC2:TGID_Z_EN: 0
; COMPUTE_PGM_RSRC2:TIDIG_COMP_CNT: 2
	.section	.text._ZN9rocsparseL19gebsrmvn_2xn_kernelILj128ELj15ELj16E21rocsparse_complex_numIdEEEvi20rocsparse_direction_NS_24const_host_device_scalarIT2_EEPKiS8_PKS5_SA_S6_PS5_21rocsparse_index_base_b,"axG",@progbits,_ZN9rocsparseL19gebsrmvn_2xn_kernelILj128ELj15ELj16E21rocsparse_complex_numIdEEEvi20rocsparse_direction_NS_24const_host_device_scalarIT2_EEPKiS8_PKS5_SA_S6_PS5_21rocsparse_index_base_b,comdat
	.globl	_ZN9rocsparseL19gebsrmvn_2xn_kernelILj128ELj15ELj16E21rocsparse_complex_numIdEEEvi20rocsparse_direction_NS_24const_host_device_scalarIT2_EEPKiS8_PKS5_SA_S6_PS5_21rocsparse_index_base_b ; -- Begin function _ZN9rocsparseL19gebsrmvn_2xn_kernelILj128ELj15ELj16E21rocsparse_complex_numIdEEEvi20rocsparse_direction_NS_24const_host_device_scalarIT2_EEPKiS8_PKS5_SA_S6_PS5_21rocsparse_index_base_b
	.p2align	8
	.type	_ZN9rocsparseL19gebsrmvn_2xn_kernelILj128ELj15ELj16E21rocsparse_complex_numIdEEEvi20rocsparse_direction_NS_24const_host_device_scalarIT2_EEPKiS8_PKS5_SA_S6_PS5_21rocsparse_index_base_b,@function
_ZN9rocsparseL19gebsrmvn_2xn_kernelILj128ELj15ELj16E21rocsparse_complex_numIdEEEvi20rocsparse_direction_NS_24const_host_device_scalarIT2_EEPKiS8_PKS5_SA_S6_PS5_21rocsparse_index_base_b: ; @_ZN9rocsparseL19gebsrmvn_2xn_kernelILj128ELj15ELj16E21rocsparse_complex_numIdEEEvi20rocsparse_direction_NS_24const_host_device_scalarIT2_EEPKiS8_PKS5_SA_S6_PS5_21rocsparse_index_base_b
; %bb.0:
	s_load_b64 s[12:13], s[2:3], 0x50
	s_load_b64 s[16:17], s[0:1], 0x4
	s_load_b128 s[8:11], s[2:3], 0x8
	v_bfe_u32 v1, v0, 10, 10
	s_mov_b64 s[0:1], src_shared_base
	s_load_b128 s[4:7], s[2:3], 0x38
	v_and_b32_e32 v10, 0x3ff, v0
	v_bfe_u32 v0, v0, 20, 10
	s_waitcnt lgkmcnt(0)
	s_bitcmp1_b32 s13, 0
	v_mul_u32_u24_e32 v1, s17, v1
	s_cselect_b32 s0, -1, 0
	s_delay_alu instid0(SALU_CYCLE_1)
	s_and_b32 vcc_lo, s0, exec_lo
	s_cselect_b32 s13, s1, s9
	s_lshr_b32 s14, s16, 16
	v_dual_mov_b32 v2, s4 :: v_dual_mov_b32 v3, s5
	s_mul_i32 s14, s14, s17
	v_mov_b32_e32 v6, s13
	v_mad_u32_u24 v1, s14, v10, v1
	s_delay_alu instid0(VALU_DEP_1) | instskip(SKIP_1) | instid1(VALU_DEP_2)
	v_add_lshl_u32 v4, v1, v0, 3
	v_dual_mov_b32 v0, s8 :: v_dual_mov_b32 v1, s9
	v_add_nc_u32_e32 v5, 0x400, v4
	ds_store_2addr_stride64_b64 v4, v[2:3], v[0:1] offset1:2
	v_dual_mov_b32 v2, s10 :: v_dual_mov_b32 v3, s11
	v_cndmask_b32_e64 v5, s8, v5, s0
	s_xor_b32 s10, s0, -1
	flat_load_b64 v[0:1], v[5:6]
	s_cbranch_vccnz .LBB295_2
; %bb.1:
	v_dual_mov_b32 v2, s8 :: v_dual_mov_b32 v3, s9
	flat_load_b64 v[2:3], v[2:3] offset:8
.LBB295_2:
	s_and_b32 s8, s0, exec_lo
	s_cselect_b32 s1, s1, s5
	v_cndmask_b32_e64 v4, s4, v4, s0
	v_dual_mov_b32 v5, s1 :: v_dual_mov_b32 v6, s6
	v_mov_b32_e32 v7, s7
	s_and_not1_b32 vcc_lo, exec_lo, s10
	flat_load_b64 v[4:5], v[4:5]
	s_cbranch_vccnz .LBB295_4
; %bb.3:
	v_dual_mov_b32 v7, s5 :: v_dual_mov_b32 v6, s4
	flat_load_b64 v[6:7], v[6:7] offset:8
.LBB295_4:
	s_waitcnt vmcnt(1) lgkmcnt(1)
	v_cmp_eq_f64_e32 vcc_lo, 0, v[0:1]
	v_cmp_eq_f64_e64 s0, 0, v[2:3]
	s_delay_alu instid0(VALU_DEP_1)
	s_and_b32 s4, vcc_lo, s0
	s_mov_b32 s0, -1
	s_and_saveexec_b32 s1, s4
	s_cbranch_execz .LBB295_6
; %bb.5:
	s_waitcnt vmcnt(0) lgkmcnt(0)
	v_cmp_neq_f64_e32 vcc_lo, 1.0, v[4:5]
	v_cmp_neq_f64_e64 s0, 0, v[6:7]
	s_delay_alu instid0(VALU_DEP_1) | instskip(NEXT) | instid1(SALU_CYCLE_1)
	s_or_b32 s0, vcc_lo, s0
	s_or_not1_b32 s0, s0, exec_lo
.LBB295_6:
	s_or_b32 exec_lo, exec_lo, s1
	s_and_saveexec_b32 s1, s0
	s_cbranch_execz .LBB295_29
; %bb.7:
	s_load_b64 s[0:1], s[2:3], 0x0
	v_lshrrev_b32_e32 v8, 4, v10
	s_delay_alu instid0(VALU_DEP_1) | instskip(SKIP_1) | instid1(VALU_DEP_1)
	v_lshl_or_b32 v8, s15, 3, v8
	s_waitcnt lgkmcnt(0)
	v_cmp_gt_i32_e32 vcc_lo, s0, v8
	s_and_b32 exec_lo, exec_lo, vcc_lo
	s_cbranch_execz .LBB295_29
; %bb.8:
	s_load_b256 s[4:11], s[2:3], 0x18
	v_ashrrev_i32_e32 v9, 31, v8
	v_and_b32_e32 v25, 15, v10
	s_cmp_lg_u32 s1, 0
	s_delay_alu instid0(VALU_DEP_2) | instskip(SKIP_1) | instid1(VALU_DEP_1)
	v_lshlrev_b64 v[11:12], 2, v[8:9]
	s_waitcnt lgkmcnt(0)
	v_add_co_u32 v11, vcc_lo, s4, v11
	s_delay_alu instid0(VALU_DEP_2) | instskip(SKIP_4) | instid1(VALU_DEP_2)
	v_add_co_ci_u32_e32 v12, vcc_lo, s5, v12, vcc_lo
	global_load_b64 v[12:13], v[11:12], off
	s_waitcnt vmcnt(0)
	v_subrev_nc_u32_e32 v9, s12, v12
	v_subrev_nc_u32_e32 v23, s12, v13
	v_add_nc_u32_e32 v11, v9, v25
	s_delay_alu instid0(VALU_DEP_1)
	v_cmp_lt_i32_e64 s0, v11, v23
	s_cbranch_scc0 .LBB295_16
; %bb.9:
	v_mov_b32_e32 v9, 0
	v_mov_b32_e32 v10, 0
	s_delay_alu instid0(VALU_DEP_1)
	v_dual_mov_b32 v14, v10 :: v_dual_mov_b32 v13, v9
	v_dual_mov_b32 v16, v10 :: v_dual_mov_b32 v15, v9
	;; [unrolled: 1-line block ×3, first 2 shown]
	s_and_saveexec_b32 s1, s0
	s_cbranch_execz .LBB295_15
; %bb.10:
	v_dual_mov_b32 v9, 0 :: v_dual_mov_b32 v20, 0
	v_dual_mov_b32 v10, 0 :: v_dual_mov_b32 v21, v11
	v_mul_lo_u32 v24, v11, 30
	s_mov_b32 s4, 0
	s_delay_alu instid0(VALU_DEP_2)
	v_dual_mov_b32 v14, v10 :: v_dual_mov_b32 v13, v9
	v_dual_mov_b32 v16, v10 :: v_dual_mov_b32 v15, v9
	;; [unrolled: 1-line block ×3, first 2 shown]
.LBB295_11:                             ; =>This Loop Header: Depth=1
                                        ;     Child Loop BB295_12 Depth 2
	v_ashrrev_i32_e32 v22, 31, v21
	s_mov_b32 s5, 0
	s_delay_alu instid0(VALU_DEP_1) | instskip(NEXT) | instid1(VALU_DEP_1)
	v_lshlrev_b64 v[26:27], 2, v[21:22]
	v_add_co_u32 v26, vcc_lo, s6, v26
	s_delay_alu instid0(VALU_DEP_2) | instskip(SKIP_3) | instid1(VALU_DEP_1)
	v_add_co_ci_u32_e32 v27, vcc_lo, s7, v27, vcc_lo
	global_load_b32 v19, v[26:27], off
	s_waitcnt vmcnt(0)
	v_subrev_nc_u32_e32 v19, s12, v19
	v_mul_lo_u32 v22, v19, 15
	v_mov_b32_e32 v19, v24
.LBB295_12:                             ;   Parent Loop BB295_11 Depth=1
                                        ; =>  This Inner Loop Header: Depth=2
	s_delay_alu instid0(VALU_DEP_2) | instskip(NEXT) | instid1(VALU_DEP_2)
	v_dual_mov_b32 v51, v20 :: v_dual_add_nc_u32 v50, s5, v22
	v_lshlrev_b64 v[26:27], 4, v[19:20]
	v_dual_mov_b32 v39, v20 :: v_dual_add_nc_u32 v38, 2, v19
	s_delay_alu instid0(VALU_DEP_3) | instskip(NEXT) | instid1(VALU_DEP_4)
	v_dual_mov_b32 v41, v20 :: v_dual_add_nc_u32 v40, 1, v50
	v_lshlrev_b64 v[28:29], 4, v[50:51]
	s_delay_alu instid0(VALU_DEP_4) | instskip(SKIP_2) | instid1(VALU_DEP_4)
	v_add_co_u32 v30, vcc_lo, s8, v26
	v_add_co_ci_u32_e32 v31, vcc_lo, s9, v27, vcc_lo
	v_lshlrev_b64 v[38:39], 4, v[38:39]
	v_add_co_u32 v34, vcc_lo, s10, v28
	v_add_co_ci_u32_e32 v35, vcc_lo, s11, v29, vcc_lo
	s_clause 0x1
	global_load_b128 v[26:29], v[30:31], off offset:16
	global_load_b128 v[30:33], v[30:31], off
	global_load_b128 v[34:37], v[34:35], off
	v_lshlrev_b64 v[40:41], 4, v[40:41]
	v_add_co_u32 v42, vcc_lo, s8, v38
	v_add_co_ci_u32_e32 v43, vcc_lo, s9, v39, vcc_lo
	v_dual_mov_b32 v52, v20 :: v_dual_add_nc_u32 v51, 4, v19
	s_delay_alu instid0(VALU_DEP_4)
	v_add_co_u32 v46, vcc_lo, s10, v40
	v_add_co_ci_u32_e32 v47, vcc_lo, s11, v41, vcc_lo
	s_clause 0x1
	global_load_b128 v[38:41], v[42:43], off offset:16
	global_load_b128 v[42:45], v[42:43], off
	global_load_b128 v[46:49], v[46:47], off
	v_dual_mov_b32 v54, v20 :: v_dual_add_nc_u32 v53, 2, v50
	v_lshlrev_b64 v[50:51], 4, v[51:52]
	v_add_nc_u32_e32 v19, 6, v19
	s_add_i32 s5, s5, 3
	s_delay_alu instid0(VALU_DEP_3) | instskip(SKIP_1) | instid1(VALU_DEP_3)
	v_lshlrev_b64 v[52:53], 4, v[53:54]
	s_cmp_eq_u32 s5, 15
	v_add_co_u32 v54, vcc_lo, s8, v50
	v_add_co_ci_u32_e32 v55, vcc_lo, s9, v51, vcc_lo
	s_delay_alu instid0(VALU_DEP_3) | instskip(NEXT) | instid1(VALU_DEP_4)
	v_add_co_u32 v58, vcc_lo, s10, v52
	v_add_co_ci_u32_e32 v59, vcc_lo, s11, v53, vcc_lo
	s_clause 0x1
	global_load_b128 v[50:53], v[54:55], off offset:16
	global_load_b128 v[54:57], v[54:55], off
	global_load_b128 v[58:61], v[58:59], off
	s_waitcnt vmcnt(6)
	v_fma_f64 v[13:14], v[30:31], v[34:35], v[13:14]
	v_fma_f64 v[9:10], v[32:33], v[34:35], v[9:10]
	;; [unrolled: 1-line block ×4, first 2 shown]
	s_delay_alu instid0(VALU_DEP_4) | instskip(NEXT) | instid1(VALU_DEP_4)
	v_fma_f64 v[13:14], -v[32:33], v[36:37], v[13:14]
	v_fma_f64 v[9:10], v[30:31], v[36:37], v[9:10]
	s_delay_alu instid0(VALU_DEP_4) | instskip(NEXT) | instid1(VALU_DEP_4)
	v_fma_f64 v[15:16], -v[28:29], v[36:37], v[15:16]
	v_fma_f64 v[17:18], v[26:27], v[36:37], v[17:18]
	s_waitcnt vmcnt(3)
	s_delay_alu instid0(VALU_DEP_4) | instskip(NEXT) | instid1(VALU_DEP_4)
	v_fma_f64 v[13:14], v[42:43], v[46:47], v[13:14]
	v_fma_f64 v[9:10], v[44:45], v[46:47], v[9:10]
	s_delay_alu instid0(VALU_DEP_4) | instskip(NEXT) | instid1(VALU_DEP_4)
	v_fma_f64 v[15:16], v[38:39], v[46:47], v[15:16]
	v_fma_f64 v[17:18], v[40:41], v[46:47], v[17:18]
	s_delay_alu instid0(VALU_DEP_4) | instskip(NEXT) | instid1(VALU_DEP_4)
	v_fma_f64 v[13:14], -v[44:45], v[48:49], v[13:14]
	v_fma_f64 v[9:10], v[42:43], v[48:49], v[9:10]
	s_delay_alu instid0(VALU_DEP_4) | instskip(NEXT) | instid1(VALU_DEP_4)
	v_fma_f64 v[15:16], -v[40:41], v[48:49], v[15:16]
	v_fma_f64 v[17:18], v[38:39], v[48:49], v[17:18]
	s_waitcnt vmcnt(0)
	s_delay_alu instid0(VALU_DEP_4) | instskip(NEXT) | instid1(VALU_DEP_4)
	v_fma_f64 v[13:14], v[54:55], v[58:59], v[13:14]
	v_fma_f64 v[9:10], v[56:57], v[58:59], v[9:10]
	s_delay_alu instid0(VALU_DEP_4) | instskip(NEXT) | instid1(VALU_DEP_4)
	v_fma_f64 v[15:16], v[50:51], v[58:59], v[15:16]
	v_fma_f64 v[17:18], v[52:53], v[58:59], v[17:18]
	s_delay_alu instid0(VALU_DEP_4) | instskip(NEXT) | instid1(VALU_DEP_4)
	v_fma_f64 v[13:14], -v[56:57], v[60:61], v[13:14]
	v_fma_f64 v[9:10], v[54:55], v[60:61], v[9:10]
	s_delay_alu instid0(VALU_DEP_4) | instskip(NEXT) | instid1(VALU_DEP_4)
	v_fma_f64 v[15:16], -v[52:53], v[60:61], v[15:16]
	v_fma_f64 v[17:18], v[50:51], v[60:61], v[17:18]
	s_cbranch_scc0 .LBB295_12
; %bb.13:                               ;   in Loop: Header=BB295_11 Depth=1
	v_add_nc_u32_e32 v21, 16, v21
	v_add_nc_u32_e32 v24, 0x1e0, v24
	s_delay_alu instid0(VALU_DEP_2) | instskip(SKIP_1) | instid1(SALU_CYCLE_1)
	v_cmp_ge_i32_e32 vcc_lo, v21, v23
	s_or_b32 s4, vcc_lo, s4
	s_and_not1_b32 exec_lo, exec_lo, s4
	s_cbranch_execnz .LBB295_11
; %bb.14:
	s_or_b32 exec_lo, exec_lo, s4
.LBB295_15:
	s_delay_alu instid0(SALU_CYCLE_1)
	s_or_b32 exec_lo, exec_lo, s1
	s_cbranch_execz .LBB295_17
	s_branch .LBB295_24
.LBB295_16:
                                        ; implicit-def: $vgpr9_vgpr10
                                        ; implicit-def: $vgpr13_vgpr14
                                        ; implicit-def: $vgpr15_vgpr16
                                        ; implicit-def: $vgpr17_vgpr18
.LBB295_17:
	v_mov_b32_e32 v9, 0
	v_mov_b32_e32 v10, 0
	s_delay_alu instid0(VALU_DEP_1)
	v_dual_mov_b32 v14, v10 :: v_dual_mov_b32 v13, v9
	v_dual_mov_b32 v16, v10 :: v_dual_mov_b32 v15, v9
	;; [unrolled: 1-line block ×3, first 2 shown]
	s_and_saveexec_b32 s1, s0
	s_cbranch_execz .LBB295_23
; %bb.18:
	v_mul_lo_u32 v12, v12, 30
	v_dual_mov_b32 v9, 0 :: v_dual_mov_b32 v20, 0
	v_mov_b32_e32 v10, 0
	v_mul_lo_u32 v21, v11, 30
	s_mul_i32 s0, s12, 30
	s_delay_alu instid0(VALU_DEP_2) | instskip(SKIP_3) | instid1(VALU_DEP_3)
	v_dual_mov_b32 v14, v10 :: v_dual_mov_b32 v13, v9
	v_mad_u32_u24 v12, v25, 30, v12
	v_dual_mov_b32 v16, v10 :: v_dual_mov_b32 v15, v9
	v_dual_mov_b32 v18, v10 :: v_dual_mov_b32 v17, v9
	v_subrev_nc_u32_e32 v22, s0, v12
	s_mov_b32 s0, 0
.LBB295_19:                             ; =>This Loop Header: Depth=1
                                        ;     Child Loop BB295_20 Depth 2
	v_ashrrev_i32_e32 v12, 31, v11
	s_mov_b32 s4, 0
	s_delay_alu instid0(VALU_DEP_1) | instskip(NEXT) | instid1(VALU_DEP_1)
	v_lshlrev_b64 v[26:27], 2, v[11:12]
	v_add_co_u32 v26, vcc_lo, s6, v26
	s_delay_alu instid0(VALU_DEP_2) | instskip(SKIP_3) | instid1(VALU_DEP_1)
	v_add_co_ci_u32_e32 v27, vcc_lo, s7, v27, vcc_lo
	global_load_b32 v12, v[26:27], off
	s_waitcnt vmcnt(0)
	v_subrev_nc_u32_e32 v12, s12, v12
	v_mul_lo_u32 v12, v12, 15
.LBB295_20:                             ;   Parent Loop BB295_19 Depth=1
                                        ; =>  This Inner Loop Header: Depth=2
	v_add_nc_u32_e32 v19, s4, v22
	v_dual_mov_b32 v27, v20 :: v_dual_add_nc_u32 v24, s4, v21
	v_mov_b32_e32 v41, v20
	v_mov_b32_e32 v43, v20
	s_delay_alu instid0(VALU_DEP_4) | instskip(NEXT) | instid1(VALU_DEP_4)
	v_lshlrev_b64 v[28:29], 4, v[19:20]
	v_add_nc_u32_e32 v42, 16, v24
	v_add_nc_u32_e32 v19, s4, v12
	v_dual_mov_b32 v39, v20 :: v_dual_add_nc_u32 v26, 15, v24
	v_add_nc_u32_e32 v38, 1, v24
	v_add_co_u32 v28, vcc_lo, s8, v28
	s_delay_alu instid0(VALU_DEP_4) | instskip(NEXT) | instid1(VALU_DEP_4)
	v_lshlrev_b64 v[30:31], 4, v[19:20]
	v_lshlrev_b64 v[26:27], 4, v[26:27]
	v_add_co_ci_u32_e32 v29, vcc_lo, s9, v29, vcc_lo
	v_lshlrev_b64 v[38:39], 4, v[38:39]
	v_dual_mov_b32 v51, v20 :: v_dual_add_nc_u32 v40, 1, v19
	v_add_co_u32 v30, vcc_lo, s10, v30
	v_add_co_ci_u32_e32 v31, vcc_lo, s11, v31, vcc_lo
	v_add_co_u32 v34, vcc_lo, s8, v26
	v_add_co_ci_u32_e32 v35, vcc_lo, s9, v27, vcc_lo
	global_load_b128 v[26:29], v[28:29], off
	global_load_b128 v[30:33], v[30:31], off
	;; [unrolled: 1-line block ×3, first 2 shown]
	v_lshlrev_b64 v[42:43], 4, v[42:43]
	v_lshlrev_b64 v[40:41], 4, v[40:41]
	v_add_co_u32 v38, vcc_lo, s8, v38
	v_add_co_ci_u32_e32 v39, vcc_lo, s9, v39, vcc_lo
	s_delay_alu instid0(VALU_DEP_4)
	v_add_co_u32 v42, vcc_lo, s8, v42
	v_add_co_ci_u32_e32 v43, vcc_lo, s9, v43, vcc_lo
	v_add_co_u32 v46, vcc_lo, s10, v40
	v_add_co_ci_u32_e32 v47, vcc_lo, s11, v41, vcc_lo
	s_clause 0x1
	global_load_b128 v[38:41], v[38:39], off
	global_load_b128 v[42:45], v[42:43], off
	;; [unrolled: 1-line block ×3, first 2 shown]
	v_add_nc_u32_e32 v50, 2, v24
	v_add_nc_u32_e32 v19, 2, v19
	s_add_i32 s4, s4, 3
	s_delay_alu instid0(SALU_CYCLE_1) | instskip(NEXT) | instid1(VALU_DEP_2)
	s_cmp_eq_u32 s4, 15
	v_lshlrev_b64 v[50:51], 4, v[50:51]
	s_delay_alu instid0(VALU_DEP_2) | instskip(SKIP_1) | instid1(VALU_DEP_3)
	v_lshlrev_b64 v[52:53], 4, v[19:20]
	v_add_nc_u32_e32 v19, 17, v24
	v_add_co_u32 v50, vcc_lo, s8, v50
	s_delay_alu instid0(VALU_DEP_2) | instskip(SKIP_3) | instid1(VALU_DEP_4)
	v_lshlrev_b64 v[54:55], 4, v[19:20]
	v_add_co_ci_u32_e32 v51, vcc_lo, s9, v51, vcc_lo
	v_add_co_u32 v56, vcc_lo, s10, v52
	v_add_co_ci_u32_e32 v57, vcc_lo, s11, v53, vcc_lo
	v_add_co_u32 v58, vcc_lo, s8, v54
	v_add_co_ci_u32_e32 v59, vcc_lo, s9, v55, vcc_lo
	global_load_b128 v[50:53], v[50:51], off
	global_load_b128 v[54:57], v[56:57], off
	global_load_b128 v[58:61], v[58:59], off
	s_waitcnt vmcnt(7)
	v_fma_f64 v[13:14], v[26:27], v[30:31], v[13:14]
	v_fma_f64 v[9:10], v[28:29], v[30:31], v[9:10]
	s_waitcnt vmcnt(6)
	v_fma_f64 v[15:16], v[34:35], v[30:31], v[15:16]
	v_fma_f64 v[17:18], v[36:37], v[30:31], v[17:18]
	s_delay_alu instid0(VALU_DEP_4) | instskip(NEXT) | instid1(VALU_DEP_4)
	v_fma_f64 v[13:14], -v[28:29], v[32:33], v[13:14]
	v_fma_f64 v[9:10], v[26:27], v[32:33], v[9:10]
	s_delay_alu instid0(VALU_DEP_4) | instskip(NEXT) | instid1(VALU_DEP_4)
	v_fma_f64 v[15:16], -v[36:37], v[32:33], v[15:16]
	v_fma_f64 v[17:18], v[34:35], v[32:33], v[17:18]
	s_waitcnt vmcnt(3)
	s_delay_alu instid0(VALU_DEP_4) | instskip(NEXT) | instid1(VALU_DEP_4)
	v_fma_f64 v[13:14], v[38:39], v[46:47], v[13:14]
	v_fma_f64 v[9:10], v[40:41], v[46:47], v[9:10]
	s_delay_alu instid0(VALU_DEP_4) | instskip(NEXT) | instid1(VALU_DEP_4)
	v_fma_f64 v[15:16], v[42:43], v[46:47], v[15:16]
	v_fma_f64 v[17:18], v[44:45], v[46:47], v[17:18]
	s_delay_alu instid0(VALU_DEP_4) | instskip(NEXT) | instid1(VALU_DEP_4)
	v_fma_f64 v[13:14], -v[40:41], v[48:49], v[13:14]
	v_fma_f64 v[9:10], v[38:39], v[48:49], v[9:10]
	s_delay_alu instid0(VALU_DEP_4) | instskip(NEXT) | instid1(VALU_DEP_4)
	v_fma_f64 v[15:16], -v[44:45], v[48:49], v[15:16]
	v_fma_f64 v[17:18], v[42:43], v[48:49], v[17:18]
	s_waitcnt vmcnt(1)
	s_delay_alu instid0(VALU_DEP_4) | instskip(NEXT) | instid1(VALU_DEP_4)
	v_fma_f64 v[13:14], v[50:51], v[54:55], v[13:14]
	v_fma_f64 v[9:10], v[52:53], v[54:55], v[9:10]
	s_waitcnt vmcnt(0)
	s_delay_alu instid0(VALU_DEP_4) | instskip(NEXT) | instid1(VALU_DEP_4)
	v_fma_f64 v[15:16], v[58:59], v[54:55], v[15:16]
	v_fma_f64 v[17:18], v[60:61], v[54:55], v[17:18]
	s_delay_alu instid0(VALU_DEP_4) | instskip(NEXT) | instid1(VALU_DEP_4)
	v_fma_f64 v[13:14], -v[52:53], v[56:57], v[13:14]
	v_fma_f64 v[9:10], v[50:51], v[56:57], v[9:10]
	s_delay_alu instid0(VALU_DEP_4) | instskip(NEXT) | instid1(VALU_DEP_4)
	v_fma_f64 v[15:16], -v[60:61], v[56:57], v[15:16]
	v_fma_f64 v[17:18], v[58:59], v[56:57], v[17:18]
	s_cbranch_scc0 .LBB295_20
; %bb.21:                               ;   in Loop: Header=BB295_19 Depth=1
	v_add_nc_u32_e32 v11, 16, v11
	v_add_nc_u32_e32 v21, 0x1e0, v21
	;; [unrolled: 1-line block ×3, first 2 shown]
	s_delay_alu instid0(VALU_DEP_3) | instskip(SKIP_1) | instid1(SALU_CYCLE_1)
	v_cmp_ge_i32_e32 vcc_lo, v11, v23
	s_or_b32 s0, vcc_lo, s0
	s_and_not1_b32 exec_lo, exec_lo, s0
	s_cbranch_execnz .LBB295_19
; %bb.22:
	s_or_b32 exec_lo, exec_lo, s0
.LBB295_23:
	s_delay_alu instid0(SALU_CYCLE_1)
	s_or_b32 exec_lo, exec_lo, s1
.LBB295_24:
	v_mbcnt_lo_u32_b32 v26, -1, 0
	s_delay_alu instid0(VALU_DEP_1) | instskip(NEXT) | instid1(VALU_DEP_1)
	v_xor_b32_e32 v11, 8, v26
	v_cmp_gt_i32_e32 vcc_lo, 32, v11
	v_cndmask_b32_e32 v11, v26, v11, vcc_lo
	s_delay_alu instid0(VALU_DEP_1)
	v_lshlrev_b32_e32 v24, 2, v11
	ds_bpermute_b32 v11, v24, v13
	ds_bpermute_b32 v12, v24, v14
	;; [unrolled: 1-line block ×8, first 2 shown]
	s_waitcnt lgkmcnt(6)
	v_add_f64 v[11:12], v[13:14], v[11:12]
	s_waitcnt lgkmcnt(4)
	v_add_f64 v[9:10], v[9:10], v[19:20]
	;; [unrolled: 2-line block ×4, first 2 shown]
	v_xor_b32_e32 v17, 4, v26
	s_delay_alu instid0(VALU_DEP_1) | instskip(SKIP_1) | instid1(VALU_DEP_1)
	v_cmp_gt_i32_e32 vcc_lo, 32, v17
	v_cndmask_b32_e32 v17, v26, v17, vcc_lo
	v_lshlrev_b32_e32 v24, 2, v17
	ds_bpermute_b32 v17, v24, v11
	ds_bpermute_b32 v18, v24, v12
	;; [unrolled: 1-line block ×8, first 2 shown]
	s_waitcnt lgkmcnt(6)
	v_add_f64 v[11:12], v[11:12], v[17:18]
	s_waitcnt lgkmcnt(4)
	v_add_f64 v[17:18], v[9:10], v[19:20]
	v_xor_b32_e32 v9, 2, v26
	s_waitcnt lgkmcnt(2)
	v_add_f64 v[13:14], v[13:14], v[21:22]
	s_waitcnt lgkmcnt(0)
	v_add_f64 v[19:20], v[15:16], v[23:24]
	v_cmp_gt_i32_e32 vcc_lo, 32, v9
	v_cndmask_b32_e32 v9, v26, v9, vcc_lo
	s_delay_alu instid0(VALU_DEP_1)
	v_lshlrev_b32_e32 v24, 2, v9
	ds_bpermute_b32 v9, v24, v11
	ds_bpermute_b32 v10, v24, v12
	;; [unrolled: 1-line block ×8, first 2 shown]
	s_waitcnt lgkmcnt(6)
	v_add_f64 v[9:10], v[11:12], v[9:10]
	s_waitcnt lgkmcnt(4)
	v_add_f64 v[15:16], v[17:18], v[15:16]
	v_xor_b32_e32 v17, 1, v26
	s_waitcnt lgkmcnt(2)
	v_add_f64 v[11:12], v[13:14], v[21:22]
	s_waitcnt lgkmcnt(0)
	v_add_f64 v[13:14], v[19:20], v[23:24]
	v_cmp_gt_i32_e32 vcc_lo, 32, v17
	v_cndmask_b32_e32 v17, v26, v17, vcc_lo
	v_cmp_eq_u32_e32 vcc_lo, 15, v25
	s_delay_alu instid0(VALU_DEP_2)
	v_lshlrev_b32_e32 v20, 2, v17
	ds_bpermute_b32 v23, v20, v9
	ds_bpermute_b32 v24, v20, v10
	;; [unrolled: 1-line block ×8, first 2 shown]
	s_and_b32 exec_lo, exec_lo, vcc_lo
	s_cbranch_execz .LBB295_29
; %bb.25:
	v_cmp_eq_f64_e32 vcc_lo, 0, v[4:5]
	v_cmp_eq_f64_e64 s0, 0, v[6:7]
	s_waitcnt lgkmcnt(6)
	v_add_f64 v[9:10], v[9:10], v[23:24]
	s_waitcnt lgkmcnt(4)
	v_add_f64 v[15:16], v[15:16], v[21:22]
	;; [unrolled: 2-line block ×4, first 2 shown]
	s_load_b64 s[2:3], s[2:3], 0x48
	s_and_b32 s0, vcc_lo, s0
	s_delay_alu instid0(SALU_CYCLE_1) | instskip(NEXT) | instid1(SALU_CYCLE_1)
	s_and_saveexec_b32 s1, s0
	s_xor_b32 s0, exec_lo, s1
	s_cbranch_execz .LBB295_27
; %bb.26:
	s_delay_alu instid0(VALU_DEP_3) | instskip(SKIP_1) | instid1(VALU_DEP_3)
	v_mul_f64 v[4:5], v[15:16], -v[2:3]
	v_mul_f64 v[6:7], v[0:1], v[15:16]
	v_mul_f64 v[15:16], v[13:14], -v[2:3]
	v_mul_f64 v[13:14], v[0:1], v[13:14]
	v_lshlrev_b32_e32 v8, 1, v8
	v_fma_f64 v[4:5], v[0:1], v[9:10], v[4:5]
	v_fma_f64 v[6:7], v[2:3], v[9:10], v[6:7]
	;; [unrolled: 1-line block ×4, first 2 shown]
	v_ashrrev_i32_e32 v9, 31, v8
                                        ; implicit-def: $vgpr15_vgpr16
                                        ; implicit-def: $vgpr11_vgpr12
                                        ; implicit-def: $vgpr13_vgpr14
	s_delay_alu instid0(VALU_DEP_1) | instskip(SKIP_1) | instid1(VALU_DEP_1)
	v_lshlrev_b64 v[8:9], 4, v[8:9]
	s_waitcnt lgkmcnt(0)
	v_add_co_u32 v8, vcc_lo, s2, v8
	s_delay_alu instid0(VALU_DEP_2)
	v_add_co_ci_u32_e32 v9, vcc_lo, s3, v9, vcc_lo
	s_clause 0x1
	global_store_b128 v[8:9], v[4:7], off
	global_store_b128 v[8:9], v[0:3], off offset:16
                                        ; implicit-def: $vgpr0_vgpr1
                                        ; implicit-def: $vgpr2_vgpr3
                                        ; implicit-def: $vgpr4_vgpr5
                                        ; implicit-def: $vgpr6_vgpr7
                                        ; implicit-def: $vgpr8
                                        ; implicit-def: $vgpr9_vgpr10
.LBB295_27:
	s_and_not1_saveexec_b32 s0, s0
	s_cbranch_execz .LBB295_29
; %bb.28:
	v_lshlrev_b32_e32 v17, 1, v8
	s_delay_alu instid0(VALU_DEP_4) | instskip(SKIP_1) | instid1(VALU_DEP_4)
	v_mul_f64 v[27:28], v[15:16], -v[2:3]
	v_mul_f64 v[15:16], v[0:1], v[15:16]
	v_mul_f64 v[29:30], v[13:14], -v[2:3]
	v_mul_f64 v[13:14], v[0:1], v[13:14]
	v_ashrrev_i32_e32 v18, 31, v17
	s_delay_alu instid0(VALU_DEP_1) | instskip(SKIP_1) | instid1(VALU_DEP_1)
	v_lshlrev_b64 v[17:18], 4, v[17:18]
	s_waitcnt lgkmcnt(0)
	v_add_co_u32 v25, vcc_lo, s2, v17
	s_delay_alu instid0(VALU_DEP_2)
	v_add_co_ci_u32_e32 v26, vcc_lo, s3, v18, vcc_lo
	s_clause 0x1
	global_load_b128 v[17:20], v[25:26], off
	global_load_b128 v[21:24], v[25:26], off offset:16
	v_fma_f64 v[27:28], v[0:1], v[9:10], v[27:28]
	v_fma_f64 v[8:9], v[2:3], v[9:10], v[15:16]
	;; [unrolled: 1-line block ×4, first 2 shown]
	s_waitcnt vmcnt(1)
	s_delay_alu instid0(VALU_DEP_4) | instskip(NEXT) | instid1(VALU_DEP_4)
	v_fma_f64 v[10:11], v[4:5], v[17:18], v[27:28]
	v_fma_f64 v[8:9], v[6:7], v[17:18], v[8:9]
	s_waitcnt vmcnt(0)
	s_delay_alu instid0(VALU_DEP_4) | instskip(NEXT) | instid1(VALU_DEP_4)
	v_fma_f64 v[12:13], v[4:5], v[21:22], v[0:1]
	v_fma_f64 v[14:15], v[6:7], v[21:22], v[2:3]
	s_delay_alu instid0(VALU_DEP_4) | instskip(NEXT) | instid1(VALU_DEP_4)
	v_fma_f64 v[0:1], -v[6:7], v[19:20], v[10:11]
	v_fma_f64 v[2:3], v[4:5], v[19:20], v[8:9]
	s_delay_alu instid0(VALU_DEP_4) | instskip(NEXT) | instid1(VALU_DEP_4)
	v_fma_f64 v[6:7], -v[6:7], v[23:24], v[12:13]
	v_fma_f64 v[8:9], v[4:5], v[23:24], v[14:15]
	s_clause 0x1
	global_store_b128 v[25:26], v[0:3], off
	global_store_b128 v[25:26], v[6:9], off offset:16
.LBB295_29:
	s_nop 0
	s_sendmsg sendmsg(MSG_DEALLOC_VGPRS)
	s_endpgm
	.section	.rodata,"a",@progbits
	.p2align	6, 0x0
	.amdhsa_kernel _ZN9rocsparseL19gebsrmvn_2xn_kernelILj128ELj15ELj16E21rocsparse_complex_numIdEEEvi20rocsparse_direction_NS_24const_host_device_scalarIT2_EEPKiS8_PKS5_SA_S6_PS5_21rocsparse_index_base_b
		.amdhsa_group_segment_fixed_size 2048
		.amdhsa_private_segment_fixed_size 0
		.amdhsa_kernarg_size 88
		.amdhsa_user_sgpr_count 15
		.amdhsa_user_sgpr_dispatch_ptr 1
		.amdhsa_user_sgpr_queue_ptr 0
		.amdhsa_user_sgpr_kernarg_segment_ptr 1
		.amdhsa_user_sgpr_dispatch_id 0
		.amdhsa_user_sgpr_private_segment_size 0
		.amdhsa_wavefront_size32 1
		.amdhsa_uses_dynamic_stack 0
		.amdhsa_enable_private_segment 0
		.amdhsa_system_sgpr_workgroup_id_x 1
		.amdhsa_system_sgpr_workgroup_id_y 0
		.amdhsa_system_sgpr_workgroup_id_z 0
		.amdhsa_system_sgpr_workgroup_info 0
		.amdhsa_system_vgpr_workitem_id 2
		.amdhsa_next_free_vgpr 62
		.amdhsa_next_free_sgpr 18
		.amdhsa_reserve_vcc 1
		.amdhsa_float_round_mode_32 0
		.amdhsa_float_round_mode_16_64 0
		.amdhsa_float_denorm_mode_32 3
		.amdhsa_float_denorm_mode_16_64 3
		.amdhsa_dx10_clamp 1
		.amdhsa_ieee_mode 1
		.amdhsa_fp16_overflow 0
		.amdhsa_workgroup_processor_mode 1
		.amdhsa_memory_ordered 1
		.amdhsa_forward_progress 0
		.amdhsa_shared_vgpr_count 0
		.amdhsa_exception_fp_ieee_invalid_op 0
		.amdhsa_exception_fp_denorm_src 0
		.amdhsa_exception_fp_ieee_div_zero 0
		.amdhsa_exception_fp_ieee_overflow 0
		.amdhsa_exception_fp_ieee_underflow 0
		.amdhsa_exception_fp_ieee_inexact 0
		.amdhsa_exception_int_div_zero 0
	.end_amdhsa_kernel
	.section	.text._ZN9rocsparseL19gebsrmvn_2xn_kernelILj128ELj15ELj16E21rocsparse_complex_numIdEEEvi20rocsparse_direction_NS_24const_host_device_scalarIT2_EEPKiS8_PKS5_SA_S6_PS5_21rocsparse_index_base_b,"axG",@progbits,_ZN9rocsparseL19gebsrmvn_2xn_kernelILj128ELj15ELj16E21rocsparse_complex_numIdEEEvi20rocsparse_direction_NS_24const_host_device_scalarIT2_EEPKiS8_PKS5_SA_S6_PS5_21rocsparse_index_base_b,comdat
.Lfunc_end295:
	.size	_ZN9rocsparseL19gebsrmvn_2xn_kernelILj128ELj15ELj16E21rocsparse_complex_numIdEEEvi20rocsparse_direction_NS_24const_host_device_scalarIT2_EEPKiS8_PKS5_SA_S6_PS5_21rocsparse_index_base_b, .Lfunc_end295-_ZN9rocsparseL19gebsrmvn_2xn_kernelILj128ELj15ELj16E21rocsparse_complex_numIdEEEvi20rocsparse_direction_NS_24const_host_device_scalarIT2_EEPKiS8_PKS5_SA_S6_PS5_21rocsparse_index_base_b
                                        ; -- End function
	.section	.AMDGPU.csdata,"",@progbits
; Kernel info:
; codeLenInByte = 3024
; NumSgprs: 20
; NumVgprs: 62
; ScratchSize: 0
; MemoryBound: 0
; FloatMode: 240
; IeeeMode: 1
; LDSByteSize: 2048 bytes/workgroup (compile time only)
; SGPRBlocks: 2
; VGPRBlocks: 7
; NumSGPRsForWavesPerEU: 20
; NumVGPRsForWavesPerEU: 62
; Occupancy: 16
; WaveLimiterHint : 1
; COMPUTE_PGM_RSRC2:SCRATCH_EN: 0
; COMPUTE_PGM_RSRC2:USER_SGPR: 15
; COMPUTE_PGM_RSRC2:TRAP_HANDLER: 0
; COMPUTE_PGM_RSRC2:TGID_X_EN: 1
; COMPUTE_PGM_RSRC2:TGID_Y_EN: 0
; COMPUTE_PGM_RSRC2:TGID_Z_EN: 0
; COMPUTE_PGM_RSRC2:TIDIG_COMP_CNT: 2
	.section	.text._ZN9rocsparseL19gebsrmvn_2xn_kernelILj128ELj15ELj32E21rocsparse_complex_numIdEEEvi20rocsparse_direction_NS_24const_host_device_scalarIT2_EEPKiS8_PKS5_SA_S6_PS5_21rocsparse_index_base_b,"axG",@progbits,_ZN9rocsparseL19gebsrmvn_2xn_kernelILj128ELj15ELj32E21rocsparse_complex_numIdEEEvi20rocsparse_direction_NS_24const_host_device_scalarIT2_EEPKiS8_PKS5_SA_S6_PS5_21rocsparse_index_base_b,comdat
	.globl	_ZN9rocsparseL19gebsrmvn_2xn_kernelILj128ELj15ELj32E21rocsparse_complex_numIdEEEvi20rocsparse_direction_NS_24const_host_device_scalarIT2_EEPKiS8_PKS5_SA_S6_PS5_21rocsparse_index_base_b ; -- Begin function _ZN9rocsparseL19gebsrmvn_2xn_kernelILj128ELj15ELj32E21rocsparse_complex_numIdEEEvi20rocsparse_direction_NS_24const_host_device_scalarIT2_EEPKiS8_PKS5_SA_S6_PS5_21rocsparse_index_base_b
	.p2align	8
	.type	_ZN9rocsparseL19gebsrmvn_2xn_kernelILj128ELj15ELj32E21rocsparse_complex_numIdEEEvi20rocsparse_direction_NS_24const_host_device_scalarIT2_EEPKiS8_PKS5_SA_S6_PS5_21rocsparse_index_base_b,@function
_ZN9rocsparseL19gebsrmvn_2xn_kernelILj128ELj15ELj32E21rocsparse_complex_numIdEEEvi20rocsparse_direction_NS_24const_host_device_scalarIT2_EEPKiS8_PKS5_SA_S6_PS5_21rocsparse_index_base_b: ; @_ZN9rocsparseL19gebsrmvn_2xn_kernelILj128ELj15ELj32E21rocsparse_complex_numIdEEEvi20rocsparse_direction_NS_24const_host_device_scalarIT2_EEPKiS8_PKS5_SA_S6_PS5_21rocsparse_index_base_b
; %bb.0:
	s_load_b64 s[12:13], s[2:3], 0x50
	s_load_b64 s[16:17], s[0:1], 0x4
	s_load_b128 s[8:11], s[2:3], 0x8
	v_bfe_u32 v1, v0, 10, 10
	s_mov_b64 s[0:1], src_shared_base
	s_load_b128 s[4:7], s[2:3], 0x38
	v_and_b32_e32 v10, 0x3ff, v0
	v_bfe_u32 v0, v0, 20, 10
	s_waitcnt lgkmcnt(0)
	s_bitcmp1_b32 s13, 0
	v_mul_u32_u24_e32 v1, s17, v1
	s_cselect_b32 s0, -1, 0
	s_delay_alu instid0(SALU_CYCLE_1)
	s_and_b32 vcc_lo, s0, exec_lo
	s_cselect_b32 s13, s1, s9
	s_lshr_b32 s14, s16, 16
	v_dual_mov_b32 v2, s4 :: v_dual_mov_b32 v3, s5
	s_mul_i32 s14, s14, s17
	v_mov_b32_e32 v6, s13
	v_mad_u32_u24 v1, s14, v10, v1
	s_delay_alu instid0(VALU_DEP_1) | instskip(SKIP_1) | instid1(VALU_DEP_2)
	v_add_lshl_u32 v4, v1, v0, 3
	v_dual_mov_b32 v0, s8 :: v_dual_mov_b32 v1, s9
	v_add_nc_u32_e32 v5, 0x400, v4
	ds_store_2addr_stride64_b64 v4, v[2:3], v[0:1] offset1:2
	v_dual_mov_b32 v2, s10 :: v_dual_mov_b32 v3, s11
	v_cndmask_b32_e64 v5, s8, v5, s0
	s_xor_b32 s10, s0, -1
	flat_load_b64 v[0:1], v[5:6]
	s_cbranch_vccnz .LBB296_2
; %bb.1:
	v_dual_mov_b32 v2, s8 :: v_dual_mov_b32 v3, s9
	flat_load_b64 v[2:3], v[2:3] offset:8
.LBB296_2:
	s_and_b32 s8, s0, exec_lo
	s_cselect_b32 s1, s1, s5
	v_cndmask_b32_e64 v4, s4, v4, s0
	v_dual_mov_b32 v5, s1 :: v_dual_mov_b32 v6, s6
	v_mov_b32_e32 v7, s7
	s_and_not1_b32 vcc_lo, exec_lo, s10
	flat_load_b64 v[4:5], v[4:5]
	s_cbranch_vccnz .LBB296_4
; %bb.3:
	v_dual_mov_b32 v7, s5 :: v_dual_mov_b32 v6, s4
	flat_load_b64 v[6:7], v[6:7] offset:8
.LBB296_4:
	s_waitcnt vmcnt(1) lgkmcnt(1)
	v_cmp_eq_f64_e32 vcc_lo, 0, v[0:1]
	v_cmp_eq_f64_e64 s0, 0, v[2:3]
	s_delay_alu instid0(VALU_DEP_1)
	s_and_b32 s4, vcc_lo, s0
	s_mov_b32 s0, -1
	s_and_saveexec_b32 s1, s4
	s_cbranch_execz .LBB296_6
; %bb.5:
	s_waitcnt vmcnt(0) lgkmcnt(0)
	v_cmp_neq_f64_e32 vcc_lo, 1.0, v[4:5]
	v_cmp_neq_f64_e64 s0, 0, v[6:7]
	s_delay_alu instid0(VALU_DEP_1) | instskip(NEXT) | instid1(SALU_CYCLE_1)
	s_or_b32 s0, vcc_lo, s0
	s_or_not1_b32 s0, s0, exec_lo
.LBB296_6:
	s_or_b32 exec_lo, exec_lo, s1
	s_and_saveexec_b32 s1, s0
	s_cbranch_execz .LBB296_29
; %bb.7:
	s_load_b64 s[0:1], s[2:3], 0x0
	v_lshrrev_b32_e32 v8, 5, v10
	s_delay_alu instid0(VALU_DEP_1) | instskip(SKIP_1) | instid1(VALU_DEP_1)
	v_lshl_or_b32 v8, s15, 2, v8
	s_waitcnt lgkmcnt(0)
	v_cmp_gt_i32_e32 vcc_lo, s0, v8
	s_and_b32 exec_lo, exec_lo, vcc_lo
	s_cbranch_execz .LBB296_29
; %bb.8:
	s_load_b256 s[4:11], s[2:3], 0x18
	v_ashrrev_i32_e32 v9, 31, v8
	v_and_b32_e32 v25, 31, v10
	s_cmp_lg_u32 s1, 0
	s_delay_alu instid0(VALU_DEP_2) | instskip(SKIP_1) | instid1(VALU_DEP_1)
	v_lshlrev_b64 v[11:12], 2, v[8:9]
	s_waitcnt lgkmcnt(0)
	v_add_co_u32 v11, vcc_lo, s4, v11
	s_delay_alu instid0(VALU_DEP_2) | instskip(SKIP_4) | instid1(VALU_DEP_2)
	v_add_co_ci_u32_e32 v12, vcc_lo, s5, v12, vcc_lo
	global_load_b64 v[18:19], v[11:12], off
	s_waitcnt vmcnt(0)
	v_subrev_nc_u32_e32 v9, s12, v18
	v_subrev_nc_u32_e32 v23, s12, v19
	v_add_nc_u32_e32 v17, v9, v25
	s_delay_alu instid0(VALU_DEP_1)
	v_cmp_lt_i32_e64 s0, v17, v23
	s_cbranch_scc0 .LBB296_16
; %bb.9:
	v_mov_b32_e32 v9, 0
	v_mov_b32_e32 v10, 0
	s_delay_alu instid0(VALU_DEP_1)
	v_dual_mov_b32 v12, v10 :: v_dual_mov_b32 v11, v9
	v_dual_mov_b32 v14, v10 :: v_dual_mov_b32 v13, v9
	;; [unrolled: 1-line block ×3, first 2 shown]
	s_and_saveexec_b32 s1, s0
	s_cbranch_execz .LBB296_15
; %bb.10:
	v_dual_mov_b32 v9, 0 :: v_dual_mov_b32 v20, 0
	v_dual_mov_b32 v10, 0 :: v_dual_mov_b32 v21, v17
	v_mul_lo_u32 v24, v17, 30
	s_mov_b32 s4, 0
	s_delay_alu instid0(VALU_DEP_2)
	v_dual_mov_b32 v12, v10 :: v_dual_mov_b32 v11, v9
	v_dual_mov_b32 v14, v10 :: v_dual_mov_b32 v13, v9
	;; [unrolled: 1-line block ×3, first 2 shown]
.LBB296_11:                             ; =>This Loop Header: Depth=1
                                        ;     Child Loop BB296_12 Depth 2
	v_ashrrev_i32_e32 v22, 31, v21
	s_mov_b32 s5, 0
	s_delay_alu instid0(VALU_DEP_1) | instskip(NEXT) | instid1(VALU_DEP_1)
	v_lshlrev_b64 v[26:27], 2, v[21:22]
	v_add_co_u32 v26, vcc_lo, s6, v26
	s_delay_alu instid0(VALU_DEP_2) | instskip(SKIP_3) | instid1(VALU_DEP_1)
	v_add_co_ci_u32_e32 v27, vcc_lo, s7, v27, vcc_lo
	global_load_b32 v19, v[26:27], off
	s_waitcnt vmcnt(0)
	v_subrev_nc_u32_e32 v19, s12, v19
	v_mul_lo_u32 v22, v19, 15
	v_mov_b32_e32 v19, v24
.LBB296_12:                             ;   Parent Loop BB296_11 Depth=1
                                        ; =>  This Inner Loop Header: Depth=2
	s_delay_alu instid0(VALU_DEP_2) | instskip(NEXT) | instid1(VALU_DEP_2)
	v_dual_mov_b32 v51, v20 :: v_dual_add_nc_u32 v50, s5, v22
	v_lshlrev_b64 v[26:27], 4, v[19:20]
	v_dual_mov_b32 v39, v20 :: v_dual_add_nc_u32 v38, 2, v19
	s_delay_alu instid0(VALU_DEP_3) | instskip(NEXT) | instid1(VALU_DEP_4)
	v_dual_mov_b32 v41, v20 :: v_dual_add_nc_u32 v40, 1, v50
	v_lshlrev_b64 v[28:29], 4, v[50:51]
	s_delay_alu instid0(VALU_DEP_4) | instskip(SKIP_2) | instid1(VALU_DEP_4)
	v_add_co_u32 v30, vcc_lo, s8, v26
	v_add_co_ci_u32_e32 v31, vcc_lo, s9, v27, vcc_lo
	v_lshlrev_b64 v[38:39], 4, v[38:39]
	v_add_co_u32 v34, vcc_lo, s10, v28
	v_add_co_ci_u32_e32 v35, vcc_lo, s11, v29, vcc_lo
	s_clause 0x1
	global_load_b128 v[26:29], v[30:31], off offset:16
	global_load_b128 v[30:33], v[30:31], off
	global_load_b128 v[34:37], v[34:35], off
	v_lshlrev_b64 v[40:41], 4, v[40:41]
	v_add_co_u32 v42, vcc_lo, s8, v38
	v_add_co_ci_u32_e32 v43, vcc_lo, s9, v39, vcc_lo
	v_dual_mov_b32 v52, v20 :: v_dual_add_nc_u32 v51, 4, v19
	s_delay_alu instid0(VALU_DEP_4)
	v_add_co_u32 v46, vcc_lo, s10, v40
	v_add_co_ci_u32_e32 v47, vcc_lo, s11, v41, vcc_lo
	s_clause 0x1
	global_load_b128 v[38:41], v[42:43], off offset:16
	global_load_b128 v[42:45], v[42:43], off
	global_load_b128 v[46:49], v[46:47], off
	v_dual_mov_b32 v54, v20 :: v_dual_add_nc_u32 v53, 2, v50
	v_lshlrev_b64 v[50:51], 4, v[51:52]
	v_add_nc_u32_e32 v19, 6, v19
	s_add_i32 s5, s5, 3
	s_delay_alu instid0(VALU_DEP_3) | instskip(SKIP_1) | instid1(VALU_DEP_3)
	v_lshlrev_b64 v[52:53], 4, v[53:54]
	s_cmp_eq_u32 s5, 15
	v_add_co_u32 v54, vcc_lo, s8, v50
	v_add_co_ci_u32_e32 v55, vcc_lo, s9, v51, vcc_lo
	s_delay_alu instid0(VALU_DEP_3) | instskip(NEXT) | instid1(VALU_DEP_4)
	v_add_co_u32 v58, vcc_lo, s10, v52
	v_add_co_ci_u32_e32 v59, vcc_lo, s11, v53, vcc_lo
	s_clause 0x1
	global_load_b128 v[50:53], v[54:55], off offset:16
	global_load_b128 v[54:57], v[54:55], off
	global_load_b128 v[58:61], v[58:59], off
	s_waitcnt vmcnt(6)
	v_fma_f64 v[11:12], v[30:31], v[34:35], v[11:12]
	v_fma_f64 v[9:10], v[32:33], v[34:35], v[9:10]
	;; [unrolled: 1-line block ×4, first 2 shown]
	s_delay_alu instid0(VALU_DEP_4) | instskip(NEXT) | instid1(VALU_DEP_4)
	v_fma_f64 v[11:12], -v[32:33], v[36:37], v[11:12]
	v_fma_f64 v[9:10], v[30:31], v[36:37], v[9:10]
	s_delay_alu instid0(VALU_DEP_4) | instskip(NEXT) | instid1(VALU_DEP_4)
	v_fma_f64 v[13:14], -v[28:29], v[36:37], v[13:14]
	v_fma_f64 v[15:16], v[26:27], v[36:37], v[15:16]
	s_waitcnt vmcnt(3)
	s_delay_alu instid0(VALU_DEP_4) | instskip(NEXT) | instid1(VALU_DEP_4)
	v_fma_f64 v[11:12], v[42:43], v[46:47], v[11:12]
	v_fma_f64 v[9:10], v[44:45], v[46:47], v[9:10]
	s_delay_alu instid0(VALU_DEP_4) | instskip(NEXT) | instid1(VALU_DEP_4)
	v_fma_f64 v[13:14], v[38:39], v[46:47], v[13:14]
	v_fma_f64 v[15:16], v[40:41], v[46:47], v[15:16]
	s_delay_alu instid0(VALU_DEP_4) | instskip(NEXT) | instid1(VALU_DEP_4)
	v_fma_f64 v[11:12], -v[44:45], v[48:49], v[11:12]
	v_fma_f64 v[9:10], v[42:43], v[48:49], v[9:10]
	s_delay_alu instid0(VALU_DEP_4) | instskip(NEXT) | instid1(VALU_DEP_4)
	v_fma_f64 v[13:14], -v[40:41], v[48:49], v[13:14]
	v_fma_f64 v[15:16], v[38:39], v[48:49], v[15:16]
	s_waitcnt vmcnt(0)
	s_delay_alu instid0(VALU_DEP_4) | instskip(NEXT) | instid1(VALU_DEP_4)
	v_fma_f64 v[11:12], v[54:55], v[58:59], v[11:12]
	v_fma_f64 v[9:10], v[56:57], v[58:59], v[9:10]
	s_delay_alu instid0(VALU_DEP_4) | instskip(NEXT) | instid1(VALU_DEP_4)
	v_fma_f64 v[13:14], v[50:51], v[58:59], v[13:14]
	v_fma_f64 v[15:16], v[52:53], v[58:59], v[15:16]
	s_delay_alu instid0(VALU_DEP_4) | instskip(NEXT) | instid1(VALU_DEP_4)
	v_fma_f64 v[11:12], -v[56:57], v[60:61], v[11:12]
	v_fma_f64 v[9:10], v[54:55], v[60:61], v[9:10]
	s_delay_alu instid0(VALU_DEP_4) | instskip(NEXT) | instid1(VALU_DEP_4)
	v_fma_f64 v[13:14], -v[52:53], v[60:61], v[13:14]
	v_fma_f64 v[15:16], v[50:51], v[60:61], v[15:16]
	s_cbranch_scc0 .LBB296_12
; %bb.13:                               ;   in Loop: Header=BB296_11 Depth=1
	v_add_nc_u32_e32 v21, 32, v21
	v_add_nc_u32_e32 v24, 0x3c0, v24
	s_delay_alu instid0(VALU_DEP_2) | instskip(SKIP_1) | instid1(SALU_CYCLE_1)
	v_cmp_ge_i32_e32 vcc_lo, v21, v23
	s_or_b32 s4, vcc_lo, s4
	s_and_not1_b32 exec_lo, exec_lo, s4
	s_cbranch_execnz .LBB296_11
; %bb.14:
	s_or_b32 exec_lo, exec_lo, s4
.LBB296_15:
	s_delay_alu instid0(SALU_CYCLE_1)
	s_or_b32 exec_lo, exec_lo, s1
	s_cbranch_execz .LBB296_17
	s_branch .LBB296_24
.LBB296_16:
                                        ; implicit-def: $vgpr9_vgpr10
                                        ; implicit-def: $vgpr11_vgpr12
                                        ; implicit-def: $vgpr13_vgpr14
                                        ; implicit-def: $vgpr15_vgpr16
.LBB296_17:
	v_mov_b32_e32 v9, 0
	v_mov_b32_e32 v10, 0
	s_delay_alu instid0(VALU_DEP_1)
	v_dual_mov_b32 v12, v10 :: v_dual_mov_b32 v11, v9
	v_dual_mov_b32 v14, v10 :: v_dual_mov_b32 v13, v9
	;; [unrolled: 1-line block ×3, first 2 shown]
	s_and_saveexec_b32 s1, s0
	s_cbranch_execz .LBB296_23
; %bb.18:
	v_mul_lo_u32 v11, v18, 30
	v_mov_b32_e32 v9, 0
	v_dual_mov_b32 v10, 0 :: v_dual_mov_b32 v19, 0
	v_mul_lo_u32 v20, v17, 30
	s_mul_i32 s0, s12, 30
	s_delay_alu instid0(VALU_DEP_2) | instskip(SKIP_2) | instid1(VALU_DEP_2)
	v_dual_mov_b32 v14, v10 :: v_dual_mov_b32 v13, v9
	v_mad_u32_u24 v15, v25, 30, v11
	v_dual_mov_b32 v12, v10 :: v_dual_mov_b32 v11, v9
	v_subrev_nc_u32_e32 v21, s0, v15
	v_dual_mov_b32 v16, v10 :: v_dual_mov_b32 v15, v9
	s_mov_b32 s0, 0
.LBB296_19:                             ; =>This Loop Header: Depth=1
                                        ;     Child Loop BB296_20 Depth 2
	v_ashrrev_i32_e32 v18, 31, v17
	s_mov_b32 s4, 0
	s_delay_alu instid0(VALU_DEP_1) | instskip(NEXT) | instid1(VALU_DEP_1)
	v_lshlrev_b64 v[26:27], 2, v[17:18]
	v_add_co_u32 v26, vcc_lo, s6, v26
	s_delay_alu instid0(VALU_DEP_2) | instskip(SKIP_3) | instid1(VALU_DEP_1)
	v_add_co_ci_u32_e32 v27, vcc_lo, s7, v27, vcc_lo
	global_load_b32 v18, v[26:27], off
	s_waitcnt vmcnt(0)
	v_subrev_nc_u32_e32 v18, s12, v18
	v_mul_lo_u32 v22, v18, 15
.LBB296_20:                             ;   Parent Loop BB296_19 Depth=1
                                        ; =>  This Inner Loop Header: Depth=2
	v_dual_mov_b32 v27, v19 :: v_dual_add_nc_u32 v18, s4, v21
	v_dual_mov_b32 v39, v19 :: v_dual_add_nc_u32 v24, s4, v20
	v_mov_b32_e32 v41, v19
	s_delay_alu instid0(VALU_DEP_3) | instskip(SKIP_1) | instid1(VALU_DEP_4)
	v_lshlrev_b64 v[28:29], 4, v[18:19]
	v_add_nc_u32_e32 v18, s4, v22
	v_dual_mov_b32 v43, v19 :: v_dual_add_nc_u32 v26, 15, v24
	v_dual_mov_b32 v51, v19 :: v_dual_add_nc_u32 v38, 1, v24
	s_delay_alu instid0(VALU_DEP_3) | instskip(NEXT) | instid1(VALU_DEP_3)
	v_lshlrev_b64 v[30:31], 4, v[18:19]
	v_lshlrev_b64 v[26:27], 4, v[26:27]
	v_add_co_u32 v28, vcc_lo, s8, v28
	v_add_co_ci_u32_e32 v29, vcc_lo, s9, v29, vcc_lo
	s_delay_alu instid0(VALU_DEP_4)
	v_add_co_u32 v30, vcc_lo, s10, v30
	v_add_co_ci_u32_e32 v31, vcc_lo, s11, v31, vcc_lo
	v_add_co_u32 v34, vcc_lo, s8, v26
	v_add_co_ci_u32_e32 v35, vcc_lo, s9, v27, vcc_lo
	global_load_b128 v[26:29], v[28:29], off
	global_load_b128 v[30:33], v[30:31], off
	;; [unrolled: 1-line block ×3, first 2 shown]
	v_add_nc_u32_e32 v42, 16, v24
	v_lshlrev_b64 v[38:39], 4, v[38:39]
	v_add_nc_u32_e32 v40, 1, v18
	v_add_nc_u32_e32 v50, 2, v24
	;; [unrolled: 1-line block ×3, first 2 shown]
	v_lshlrev_b64 v[42:43], 4, v[42:43]
	s_add_i32 s4, s4, 3
	v_lshlrev_b64 v[40:41], 4, v[40:41]
	v_add_co_u32 v38, vcc_lo, s8, v38
	v_add_co_ci_u32_e32 v39, vcc_lo, s9, v39, vcc_lo
	s_delay_alu instid0(VALU_DEP_4)
	v_add_co_u32 v42, vcc_lo, s8, v42
	v_add_co_ci_u32_e32 v43, vcc_lo, s9, v43, vcc_lo
	v_add_co_u32 v46, vcc_lo, s10, v40
	v_add_co_ci_u32_e32 v47, vcc_lo, s11, v41, vcc_lo
	s_clause 0x1
	global_load_b128 v[38:41], v[38:39], off
	global_load_b128 v[42:45], v[42:43], off
	;; [unrolled: 1-line block ×3, first 2 shown]
	v_lshlrev_b64 v[50:51], 4, v[50:51]
	v_lshlrev_b64 v[52:53], 4, v[18:19]
	v_add_nc_u32_e32 v18, 17, v24
	s_cmp_eq_u32 s4, 15
	s_delay_alu instid0(VALU_DEP_3) | instskip(NEXT) | instid1(VALU_DEP_2)
	v_add_co_u32 v50, vcc_lo, s8, v50
	v_lshlrev_b64 v[54:55], 4, v[18:19]
	v_add_co_ci_u32_e32 v51, vcc_lo, s9, v51, vcc_lo
	v_add_co_u32 v56, vcc_lo, s10, v52
	v_add_co_ci_u32_e32 v57, vcc_lo, s11, v53, vcc_lo
	s_delay_alu instid0(VALU_DEP_4)
	v_add_co_u32 v58, vcc_lo, s8, v54
	v_add_co_ci_u32_e32 v59, vcc_lo, s9, v55, vcc_lo
	global_load_b128 v[50:53], v[50:51], off
	global_load_b128 v[54:57], v[56:57], off
	;; [unrolled: 1-line block ×3, first 2 shown]
	s_waitcnt vmcnt(7)
	v_fma_f64 v[11:12], v[26:27], v[30:31], v[11:12]
	v_fma_f64 v[9:10], v[28:29], v[30:31], v[9:10]
	s_waitcnt vmcnt(6)
	v_fma_f64 v[13:14], v[34:35], v[30:31], v[13:14]
	v_fma_f64 v[15:16], v[36:37], v[30:31], v[15:16]
	s_delay_alu instid0(VALU_DEP_4) | instskip(NEXT) | instid1(VALU_DEP_4)
	v_fma_f64 v[11:12], -v[28:29], v[32:33], v[11:12]
	v_fma_f64 v[9:10], v[26:27], v[32:33], v[9:10]
	s_delay_alu instid0(VALU_DEP_4) | instskip(NEXT) | instid1(VALU_DEP_4)
	v_fma_f64 v[13:14], -v[36:37], v[32:33], v[13:14]
	v_fma_f64 v[15:16], v[34:35], v[32:33], v[15:16]
	s_waitcnt vmcnt(3)
	s_delay_alu instid0(VALU_DEP_4) | instskip(NEXT) | instid1(VALU_DEP_4)
	v_fma_f64 v[11:12], v[38:39], v[46:47], v[11:12]
	v_fma_f64 v[9:10], v[40:41], v[46:47], v[9:10]
	s_delay_alu instid0(VALU_DEP_4) | instskip(NEXT) | instid1(VALU_DEP_4)
	v_fma_f64 v[13:14], v[42:43], v[46:47], v[13:14]
	v_fma_f64 v[15:16], v[44:45], v[46:47], v[15:16]
	s_delay_alu instid0(VALU_DEP_4) | instskip(NEXT) | instid1(VALU_DEP_4)
	v_fma_f64 v[11:12], -v[40:41], v[48:49], v[11:12]
	v_fma_f64 v[9:10], v[38:39], v[48:49], v[9:10]
	s_delay_alu instid0(VALU_DEP_4) | instskip(NEXT) | instid1(VALU_DEP_4)
	v_fma_f64 v[13:14], -v[44:45], v[48:49], v[13:14]
	v_fma_f64 v[15:16], v[42:43], v[48:49], v[15:16]
	s_waitcnt vmcnt(1)
	s_delay_alu instid0(VALU_DEP_4) | instskip(NEXT) | instid1(VALU_DEP_4)
	v_fma_f64 v[11:12], v[50:51], v[54:55], v[11:12]
	v_fma_f64 v[9:10], v[52:53], v[54:55], v[9:10]
	s_waitcnt vmcnt(0)
	s_delay_alu instid0(VALU_DEP_4) | instskip(NEXT) | instid1(VALU_DEP_4)
	v_fma_f64 v[13:14], v[58:59], v[54:55], v[13:14]
	v_fma_f64 v[15:16], v[60:61], v[54:55], v[15:16]
	s_delay_alu instid0(VALU_DEP_4) | instskip(NEXT) | instid1(VALU_DEP_4)
	v_fma_f64 v[11:12], -v[52:53], v[56:57], v[11:12]
	v_fma_f64 v[9:10], v[50:51], v[56:57], v[9:10]
	s_delay_alu instid0(VALU_DEP_4) | instskip(NEXT) | instid1(VALU_DEP_4)
	v_fma_f64 v[13:14], -v[60:61], v[56:57], v[13:14]
	v_fma_f64 v[15:16], v[58:59], v[56:57], v[15:16]
	s_cbranch_scc0 .LBB296_20
; %bb.21:                               ;   in Loop: Header=BB296_19 Depth=1
	v_add_nc_u32_e32 v17, 32, v17
	v_add_nc_u32_e32 v20, 0x3c0, v20
	;; [unrolled: 1-line block ×3, first 2 shown]
	s_delay_alu instid0(VALU_DEP_3) | instskip(SKIP_1) | instid1(SALU_CYCLE_1)
	v_cmp_ge_i32_e32 vcc_lo, v17, v23
	s_or_b32 s0, vcc_lo, s0
	s_and_not1_b32 exec_lo, exec_lo, s0
	s_cbranch_execnz .LBB296_19
; %bb.22:
	s_or_b32 exec_lo, exec_lo, s0
.LBB296_23:
	s_delay_alu instid0(SALU_CYCLE_1)
	s_or_b32 exec_lo, exec_lo, s1
.LBB296_24:
	v_mbcnt_lo_u32_b32 v26, -1, 0
	s_delay_alu instid0(VALU_DEP_1) | instskip(NEXT) | instid1(VALU_DEP_1)
	v_xor_b32_e32 v17, 16, v26
	v_cmp_gt_i32_e32 vcc_lo, 32, v17
	v_cndmask_b32_e32 v17, v26, v17, vcc_lo
	s_delay_alu instid0(VALU_DEP_1)
	v_lshlrev_b32_e32 v24, 2, v17
	ds_bpermute_b32 v17, v24, v11
	ds_bpermute_b32 v18, v24, v12
	;; [unrolled: 1-line block ×8, first 2 shown]
	s_waitcnt lgkmcnt(6)
	v_add_f64 v[11:12], v[11:12], v[17:18]
	v_xor_b32_e32 v17, 8, v26
	s_waitcnt lgkmcnt(4)
	v_add_f64 v[9:10], v[9:10], v[19:20]
	s_waitcnt lgkmcnt(2)
	v_add_f64 v[13:14], v[13:14], v[21:22]
	;; [unrolled: 2-line block ×3, first 2 shown]
	v_cmp_gt_i32_e32 vcc_lo, 32, v17
	v_cndmask_b32_e32 v17, v26, v17, vcc_lo
	s_delay_alu instid0(VALU_DEP_1)
	v_lshlrev_b32_e32 v24, 2, v17
	ds_bpermute_b32 v17, v24, v11
	ds_bpermute_b32 v18, v24, v12
	;; [unrolled: 1-line block ×8, first 2 shown]
	s_waitcnt lgkmcnt(6)
	v_add_f64 v[11:12], v[11:12], v[17:18]
	v_xor_b32_e32 v17, 4, v26
	s_waitcnt lgkmcnt(4)
	v_add_f64 v[9:10], v[9:10], v[19:20]
	s_waitcnt lgkmcnt(2)
	v_add_f64 v[13:14], v[13:14], v[21:22]
	;; [unrolled: 2-line block ×3, first 2 shown]
	v_cmp_gt_i32_e32 vcc_lo, 32, v17
	v_cndmask_b32_e32 v17, v26, v17, vcc_lo
	s_delay_alu instid0(VALU_DEP_1)
	v_lshlrev_b32_e32 v24, 2, v17
	ds_bpermute_b32 v17, v24, v11
	ds_bpermute_b32 v18, v24, v12
	;; [unrolled: 1-line block ×8, first 2 shown]
	s_waitcnt lgkmcnt(6)
	v_add_f64 v[11:12], v[11:12], v[17:18]
	s_waitcnt lgkmcnt(4)
	v_add_f64 v[17:18], v[9:10], v[19:20]
	v_xor_b32_e32 v9, 2, v26
	s_waitcnt lgkmcnt(2)
	v_add_f64 v[13:14], v[13:14], v[21:22]
	s_waitcnt lgkmcnt(0)
	v_add_f64 v[19:20], v[15:16], v[23:24]
	v_cmp_gt_i32_e32 vcc_lo, 32, v9
	v_cndmask_b32_e32 v9, v26, v9, vcc_lo
	s_delay_alu instid0(VALU_DEP_1)
	v_lshlrev_b32_e32 v24, 2, v9
	ds_bpermute_b32 v9, v24, v11
	ds_bpermute_b32 v10, v24, v12
	;; [unrolled: 1-line block ×8, first 2 shown]
	s_waitcnt lgkmcnt(6)
	v_add_f64 v[9:10], v[11:12], v[9:10]
	s_waitcnt lgkmcnt(4)
	v_add_f64 v[15:16], v[17:18], v[15:16]
	v_xor_b32_e32 v17, 1, v26
	s_waitcnt lgkmcnt(2)
	v_add_f64 v[11:12], v[13:14], v[21:22]
	s_waitcnt lgkmcnt(0)
	v_add_f64 v[13:14], v[19:20], v[23:24]
	v_cmp_gt_i32_e32 vcc_lo, 32, v17
	v_cndmask_b32_e32 v17, v26, v17, vcc_lo
	v_cmp_eq_u32_e32 vcc_lo, 31, v25
	s_delay_alu instid0(VALU_DEP_2)
	v_lshlrev_b32_e32 v20, 2, v17
	ds_bpermute_b32 v23, v20, v9
	ds_bpermute_b32 v24, v20, v10
	ds_bpermute_b32 v21, v20, v15
	ds_bpermute_b32 v22, v20, v16
	ds_bpermute_b32 v17, v20, v11
	ds_bpermute_b32 v18, v20, v12
	ds_bpermute_b32 v19, v20, v13
	ds_bpermute_b32 v20, v20, v14
	s_and_b32 exec_lo, exec_lo, vcc_lo
	s_cbranch_execz .LBB296_29
; %bb.25:
	v_cmp_eq_f64_e32 vcc_lo, 0, v[4:5]
	v_cmp_eq_f64_e64 s0, 0, v[6:7]
	s_waitcnt lgkmcnt(6)
	v_add_f64 v[9:10], v[9:10], v[23:24]
	s_waitcnt lgkmcnt(4)
	v_add_f64 v[15:16], v[15:16], v[21:22]
	;; [unrolled: 2-line block ×4, first 2 shown]
	s_load_b64 s[2:3], s[2:3], 0x48
	s_and_b32 s0, vcc_lo, s0
	s_delay_alu instid0(SALU_CYCLE_1) | instskip(NEXT) | instid1(SALU_CYCLE_1)
	s_and_saveexec_b32 s1, s0
	s_xor_b32 s0, exec_lo, s1
	s_cbranch_execz .LBB296_27
; %bb.26:
	s_delay_alu instid0(VALU_DEP_3) | instskip(SKIP_1) | instid1(VALU_DEP_3)
	v_mul_f64 v[4:5], v[15:16], -v[2:3]
	v_mul_f64 v[6:7], v[0:1], v[15:16]
	v_mul_f64 v[15:16], v[13:14], -v[2:3]
	v_mul_f64 v[13:14], v[0:1], v[13:14]
	v_lshlrev_b32_e32 v8, 1, v8
	v_fma_f64 v[4:5], v[0:1], v[9:10], v[4:5]
	v_fma_f64 v[6:7], v[2:3], v[9:10], v[6:7]
	;; [unrolled: 1-line block ×4, first 2 shown]
	v_ashrrev_i32_e32 v9, 31, v8
                                        ; implicit-def: $vgpr15_vgpr16
                                        ; implicit-def: $vgpr11_vgpr12
                                        ; implicit-def: $vgpr13_vgpr14
	s_delay_alu instid0(VALU_DEP_1) | instskip(SKIP_1) | instid1(VALU_DEP_1)
	v_lshlrev_b64 v[8:9], 4, v[8:9]
	s_waitcnt lgkmcnt(0)
	v_add_co_u32 v8, vcc_lo, s2, v8
	s_delay_alu instid0(VALU_DEP_2)
	v_add_co_ci_u32_e32 v9, vcc_lo, s3, v9, vcc_lo
	s_clause 0x1
	global_store_b128 v[8:9], v[4:7], off
	global_store_b128 v[8:9], v[0:3], off offset:16
                                        ; implicit-def: $vgpr0_vgpr1
                                        ; implicit-def: $vgpr2_vgpr3
                                        ; implicit-def: $vgpr4_vgpr5
                                        ; implicit-def: $vgpr6_vgpr7
                                        ; implicit-def: $vgpr8
                                        ; implicit-def: $vgpr9_vgpr10
.LBB296_27:
	s_and_not1_saveexec_b32 s0, s0
	s_cbranch_execz .LBB296_29
; %bb.28:
	v_lshlrev_b32_e32 v17, 1, v8
	s_delay_alu instid0(VALU_DEP_4) | instskip(SKIP_1) | instid1(VALU_DEP_4)
	v_mul_f64 v[27:28], v[15:16], -v[2:3]
	v_mul_f64 v[15:16], v[0:1], v[15:16]
	v_mul_f64 v[29:30], v[13:14], -v[2:3]
	v_mul_f64 v[13:14], v[0:1], v[13:14]
	v_ashrrev_i32_e32 v18, 31, v17
	s_delay_alu instid0(VALU_DEP_1) | instskip(SKIP_1) | instid1(VALU_DEP_1)
	v_lshlrev_b64 v[17:18], 4, v[17:18]
	s_waitcnt lgkmcnt(0)
	v_add_co_u32 v25, vcc_lo, s2, v17
	s_delay_alu instid0(VALU_DEP_2)
	v_add_co_ci_u32_e32 v26, vcc_lo, s3, v18, vcc_lo
	s_clause 0x1
	global_load_b128 v[17:20], v[25:26], off
	global_load_b128 v[21:24], v[25:26], off offset:16
	v_fma_f64 v[27:28], v[0:1], v[9:10], v[27:28]
	v_fma_f64 v[8:9], v[2:3], v[9:10], v[15:16]
	;; [unrolled: 1-line block ×4, first 2 shown]
	s_waitcnt vmcnt(1)
	s_delay_alu instid0(VALU_DEP_4) | instskip(NEXT) | instid1(VALU_DEP_4)
	v_fma_f64 v[10:11], v[4:5], v[17:18], v[27:28]
	v_fma_f64 v[8:9], v[6:7], v[17:18], v[8:9]
	s_waitcnt vmcnt(0)
	s_delay_alu instid0(VALU_DEP_4) | instskip(NEXT) | instid1(VALU_DEP_4)
	v_fma_f64 v[12:13], v[4:5], v[21:22], v[0:1]
	v_fma_f64 v[14:15], v[6:7], v[21:22], v[2:3]
	s_delay_alu instid0(VALU_DEP_4) | instskip(NEXT) | instid1(VALU_DEP_4)
	v_fma_f64 v[0:1], -v[6:7], v[19:20], v[10:11]
	v_fma_f64 v[2:3], v[4:5], v[19:20], v[8:9]
	s_delay_alu instid0(VALU_DEP_4) | instskip(NEXT) | instid1(VALU_DEP_4)
	v_fma_f64 v[6:7], -v[6:7], v[23:24], v[12:13]
	v_fma_f64 v[8:9], v[4:5], v[23:24], v[14:15]
	s_clause 0x1
	global_store_b128 v[25:26], v[0:3], off
	global_store_b128 v[25:26], v[6:9], off offset:16
.LBB296_29:
	s_nop 0
	s_sendmsg sendmsg(MSG_DEALLOC_VGPRS)
	s_endpgm
	.section	.rodata,"a",@progbits
	.p2align	6, 0x0
	.amdhsa_kernel _ZN9rocsparseL19gebsrmvn_2xn_kernelILj128ELj15ELj32E21rocsparse_complex_numIdEEEvi20rocsparse_direction_NS_24const_host_device_scalarIT2_EEPKiS8_PKS5_SA_S6_PS5_21rocsparse_index_base_b
		.amdhsa_group_segment_fixed_size 2048
		.amdhsa_private_segment_fixed_size 0
		.amdhsa_kernarg_size 88
		.amdhsa_user_sgpr_count 15
		.amdhsa_user_sgpr_dispatch_ptr 1
		.amdhsa_user_sgpr_queue_ptr 0
		.amdhsa_user_sgpr_kernarg_segment_ptr 1
		.amdhsa_user_sgpr_dispatch_id 0
		.amdhsa_user_sgpr_private_segment_size 0
		.amdhsa_wavefront_size32 1
		.amdhsa_uses_dynamic_stack 0
		.amdhsa_enable_private_segment 0
		.amdhsa_system_sgpr_workgroup_id_x 1
		.amdhsa_system_sgpr_workgroup_id_y 0
		.amdhsa_system_sgpr_workgroup_id_z 0
		.amdhsa_system_sgpr_workgroup_info 0
		.amdhsa_system_vgpr_workitem_id 2
		.amdhsa_next_free_vgpr 62
		.amdhsa_next_free_sgpr 18
		.amdhsa_reserve_vcc 1
		.amdhsa_float_round_mode_32 0
		.amdhsa_float_round_mode_16_64 0
		.amdhsa_float_denorm_mode_32 3
		.amdhsa_float_denorm_mode_16_64 3
		.amdhsa_dx10_clamp 1
		.amdhsa_ieee_mode 1
		.amdhsa_fp16_overflow 0
		.amdhsa_workgroup_processor_mode 1
		.amdhsa_memory_ordered 1
		.amdhsa_forward_progress 0
		.amdhsa_shared_vgpr_count 0
		.amdhsa_exception_fp_ieee_invalid_op 0
		.amdhsa_exception_fp_denorm_src 0
		.amdhsa_exception_fp_ieee_div_zero 0
		.amdhsa_exception_fp_ieee_overflow 0
		.amdhsa_exception_fp_ieee_underflow 0
		.amdhsa_exception_fp_ieee_inexact 0
		.amdhsa_exception_int_div_zero 0
	.end_amdhsa_kernel
	.section	.text._ZN9rocsparseL19gebsrmvn_2xn_kernelILj128ELj15ELj32E21rocsparse_complex_numIdEEEvi20rocsparse_direction_NS_24const_host_device_scalarIT2_EEPKiS8_PKS5_SA_S6_PS5_21rocsparse_index_base_b,"axG",@progbits,_ZN9rocsparseL19gebsrmvn_2xn_kernelILj128ELj15ELj32E21rocsparse_complex_numIdEEEvi20rocsparse_direction_NS_24const_host_device_scalarIT2_EEPKiS8_PKS5_SA_S6_PS5_21rocsparse_index_base_b,comdat
.Lfunc_end296:
	.size	_ZN9rocsparseL19gebsrmvn_2xn_kernelILj128ELj15ELj32E21rocsparse_complex_numIdEEEvi20rocsparse_direction_NS_24const_host_device_scalarIT2_EEPKiS8_PKS5_SA_S6_PS5_21rocsparse_index_base_b, .Lfunc_end296-_ZN9rocsparseL19gebsrmvn_2xn_kernelILj128ELj15ELj32E21rocsparse_complex_numIdEEEvi20rocsparse_direction_NS_24const_host_device_scalarIT2_EEPKiS8_PKS5_SA_S6_PS5_21rocsparse_index_base_b
                                        ; -- End function
	.section	.AMDGPU.csdata,"",@progbits
; Kernel info:
; codeLenInByte = 3156
; NumSgprs: 20
; NumVgprs: 62
; ScratchSize: 0
; MemoryBound: 0
; FloatMode: 240
; IeeeMode: 1
; LDSByteSize: 2048 bytes/workgroup (compile time only)
; SGPRBlocks: 2
; VGPRBlocks: 7
; NumSGPRsForWavesPerEU: 20
; NumVGPRsForWavesPerEU: 62
; Occupancy: 16
; WaveLimiterHint : 1
; COMPUTE_PGM_RSRC2:SCRATCH_EN: 0
; COMPUTE_PGM_RSRC2:USER_SGPR: 15
; COMPUTE_PGM_RSRC2:TRAP_HANDLER: 0
; COMPUTE_PGM_RSRC2:TGID_X_EN: 1
; COMPUTE_PGM_RSRC2:TGID_Y_EN: 0
; COMPUTE_PGM_RSRC2:TGID_Z_EN: 0
; COMPUTE_PGM_RSRC2:TIDIG_COMP_CNT: 2
	.section	.text._ZN9rocsparseL19gebsrmvn_2xn_kernelILj128ELj15ELj64E21rocsparse_complex_numIdEEEvi20rocsparse_direction_NS_24const_host_device_scalarIT2_EEPKiS8_PKS5_SA_S6_PS5_21rocsparse_index_base_b,"axG",@progbits,_ZN9rocsparseL19gebsrmvn_2xn_kernelILj128ELj15ELj64E21rocsparse_complex_numIdEEEvi20rocsparse_direction_NS_24const_host_device_scalarIT2_EEPKiS8_PKS5_SA_S6_PS5_21rocsparse_index_base_b,comdat
	.globl	_ZN9rocsparseL19gebsrmvn_2xn_kernelILj128ELj15ELj64E21rocsparse_complex_numIdEEEvi20rocsparse_direction_NS_24const_host_device_scalarIT2_EEPKiS8_PKS5_SA_S6_PS5_21rocsparse_index_base_b ; -- Begin function _ZN9rocsparseL19gebsrmvn_2xn_kernelILj128ELj15ELj64E21rocsparse_complex_numIdEEEvi20rocsparse_direction_NS_24const_host_device_scalarIT2_EEPKiS8_PKS5_SA_S6_PS5_21rocsparse_index_base_b
	.p2align	8
	.type	_ZN9rocsparseL19gebsrmvn_2xn_kernelILj128ELj15ELj64E21rocsparse_complex_numIdEEEvi20rocsparse_direction_NS_24const_host_device_scalarIT2_EEPKiS8_PKS5_SA_S6_PS5_21rocsparse_index_base_b,@function
_ZN9rocsparseL19gebsrmvn_2xn_kernelILj128ELj15ELj64E21rocsparse_complex_numIdEEEvi20rocsparse_direction_NS_24const_host_device_scalarIT2_EEPKiS8_PKS5_SA_S6_PS5_21rocsparse_index_base_b: ; @_ZN9rocsparseL19gebsrmvn_2xn_kernelILj128ELj15ELj64E21rocsparse_complex_numIdEEEvi20rocsparse_direction_NS_24const_host_device_scalarIT2_EEPKiS8_PKS5_SA_S6_PS5_21rocsparse_index_base_b
; %bb.0:
	s_load_b64 s[12:13], s[2:3], 0x50
	s_load_b64 s[16:17], s[0:1], 0x4
	s_load_b128 s[8:11], s[2:3], 0x8
	v_bfe_u32 v1, v0, 10, 10
	s_mov_b64 s[0:1], src_shared_base
	s_load_b128 s[4:7], s[2:3], 0x38
	v_and_b32_e32 v10, 0x3ff, v0
	v_bfe_u32 v0, v0, 20, 10
	s_waitcnt lgkmcnt(0)
	s_bitcmp1_b32 s13, 0
	v_mul_u32_u24_e32 v1, s17, v1
	s_cselect_b32 s0, -1, 0
	s_delay_alu instid0(SALU_CYCLE_1)
	s_and_b32 vcc_lo, s0, exec_lo
	s_cselect_b32 s13, s1, s9
	s_lshr_b32 s14, s16, 16
	v_dual_mov_b32 v2, s4 :: v_dual_mov_b32 v3, s5
	s_mul_i32 s14, s14, s17
	v_mov_b32_e32 v6, s13
	v_mad_u32_u24 v1, s14, v10, v1
	s_delay_alu instid0(VALU_DEP_1) | instskip(SKIP_1) | instid1(VALU_DEP_2)
	v_add_lshl_u32 v4, v1, v0, 3
	v_dual_mov_b32 v0, s8 :: v_dual_mov_b32 v1, s9
	v_add_nc_u32_e32 v5, 0x400, v4
	ds_store_2addr_stride64_b64 v4, v[2:3], v[0:1] offset1:2
	v_dual_mov_b32 v2, s10 :: v_dual_mov_b32 v3, s11
	v_cndmask_b32_e64 v5, s8, v5, s0
	s_xor_b32 s10, s0, -1
	flat_load_b64 v[0:1], v[5:6]
	s_cbranch_vccnz .LBB297_2
; %bb.1:
	v_dual_mov_b32 v2, s8 :: v_dual_mov_b32 v3, s9
	flat_load_b64 v[2:3], v[2:3] offset:8
.LBB297_2:
	s_and_b32 s8, s0, exec_lo
	s_cselect_b32 s1, s1, s5
	v_cndmask_b32_e64 v4, s4, v4, s0
	v_dual_mov_b32 v5, s1 :: v_dual_mov_b32 v6, s6
	v_mov_b32_e32 v7, s7
	s_and_not1_b32 vcc_lo, exec_lo, s10
	flat_load_b64 v[4:5], v[4:5]
	s_cbranch_vccnz .LBB297_4
; %bb.3:
	v_dual_mov_b32 v7, s5 :: v_dual_mov_b32 v6, s4
	flat_load_b64 v[6:7], v[6:7] offset:8
.LBB297_4:
	s_waitcnt vmcnt(1) lgkmcnt(1)
	v_cmp_eq_f64_e32 vcc_lo, 0, v[0:1]
	v_cmp_eq_f64_e64 s0, 0, v[2:3]
	s_delay_alu instid0(VALU_DEP_1)
	s_and_b32 s4, vcc_lo, s0
	s_mov_b32 s0, -1
	s_and_saveexec_b32 s1, s4
	s_cbranch_execz .LBB297_6
; %bb.5:
	s_waitcnt vmcnt(0) lgkmcnt(0)
	v_cmp_neq_f64_e32 vcc_lo, 1.0, v[4:5]
	v_cmp_neq_f64_e64 s0, 0, v[6:7]
	s_delay_alu instid0(VALU_DEP_1) | instskip(NEXT) | instid1(SALU_CYCLE_1)
	s_or_b32 s0, vcc_lo, s0
	s_or_not1_b32 s0, s0, exec_lo
.LBB297_6:
	s_or_b32 exec_lo, exec_lo, s1
	s_and_saveexec_b32 s1, s0
	s_cbranch_execz .LBB297_29
; %bb.7:
	s_load_b64 s[0:1], s[2:3], 0x0
	v_lshrrev_b32_e32 v8, 6, v10
	s_delay_alu instid0(VALU_DEP_1) | instskip(SKIP_1) | instid1(VALU_DEP_1)
	v_lshl_or_b32 v8, s15, 1, v8
	s_waitcnt lgkmcnt(0)
	v_cmp_gt_i32_e32 vcc_lo, s0, v8
	s_and_b32 exec_lo, exec_lo, vcc_lo
	s_cbranch_execz .LBB297_29
; %bb.8:
	s_load_b256 s[4:11], s[2:3], 0x18
	v_ashrrev_i32_e32 v9, 31, v8
	v_and_b32_e32 v25, 63, v10
	s_cmp_lg_u32 s1, 0
	s_delay_alu instid0(VALU_DEP_2) | instskip(SKIP_1) | instid1(VALU_DEP_1)
	v_lshlrev_b64 v[11:12], 2, v[8:9]
	s_waitcnt lgkmcnt(0)
	v_add_co_u32 v11, vcc_lo, s4, v11
	s_delay_alu instid0(VALU_DEP_2) | instskip(SKIP_4) | instid1(VALU_DEP_2)
	v_add_co_ci_u32_e32 v12, vcc_lo, s5, v12, vcc_lo
	global_load_b64 v[18:19], v[11:12], off
	s_waitcnt vmcnt(0)
	v_subrev_nc_u32_e32 v9, s12, v18
	v_subrev_nc_u32_e32 v23, s12, v19
	v_add_nc_u32_e32 v17, v9, v25
	s_delay_alu instid0(VALU_DEP_1)
	v_cmp_lt_i32_e64 s0, v17, v23
	s_cbranch_scc0 .LBB297_16
; %bb.9:
	v_mov_b32_e32 v9, 0
	v_mov_b32_e32 v10, 0
	s_delay_alu instid0(VALU_DEP_1)
	v_dual_mov_b32 v12, v10 :: v_dual_mov_b32 v11, v9
	v_dual_mov_b32 v14, v10 :: v_dual_mov_b32 v13, v9
	;; [unrolled: 1-line block ×3, first 2 shown]
	s_and_saveexec_b32 s1, s0
	s_cbranch_execz .LBB297_15
; %bb.10:
	v_dual_mov_b32 v9, 0 :: v_dual_mov_b32 v20, 0
	v_dual_mov_b32 v10, 0 :: v_dual_mov_b32 v21, v17
	v_mul_lo_u32 v24, v17, 30
	s_mov_b32 s4, 0
	s_delay_alu instid0(VALU_DEP_2)
	v_dual_mov_b32 v12, v10 :: v_dual_mov_b32 v11, v9
	v_dual_mov_b32 v14, v10 :: v_dual_mov_b32 v13, v9
	;; [unrolled: 1-line block ×3, first 2 shown]
.LBB297_11:                             ; =>This Loop Header: Depth=1
                                        ;     Child Loop BB297_12 Depth 2
	v_ashrrev_i32_e32 v22, 31, v21
	s_mov_b32 s5, 0
	s_delay_alu instid0(VALU_DEP_1) | instskip(NEXT) | instid1(VALU_DEP_1)
	v_lshlrev_b64 v[26:27], 2, v[21:22]
	v_add_co_u32 v26, vcc_lo, s6, v26
	s_delay_alu instid0(VALU_DEP_2) | instskip(SKIP_3) | instid1(VALU_DEP_1)
	v_add_co_ci_u32_e32 v27, vcc_lo, s7, v27, vcc_lo
	global_load_b32 v19, v[26:27], off
	s_waitcnt vmcnt(0)
	v_subrev_nc_u32_e32 v19, s12, v19
	v_mul_lo_u32 v22, v19, 15
	v_mov_b32_e32 v19, v24
.LBB297_12:                             ;   Parent Loop BB297_11 Depth=1
                                        ; =>  This Inner Loop Header: Depth=2
	s_delay_alu instid0(VALU_DEP_2) | instskip(NEXT) | instid1(VALU_DEP_2)
	v_dual_mov_b32 v51, v20 :: v_dual_add_nc_u32 v50, s5, v22
	v_lshlrev_b64 v[26:27], 4, v[19:20]
	v_dual_mov_b32 v39, v20 :: v_dual_add_nc_u32 v38, 2, v19
	s_delay_alu instid0(VALU_DEP_3) | instskip(NEXT) | instid1(VALU_DEP_4)
	v_dual_mov_b32 v41, v20 :: v_dual_add_nc_u32 v40, 1, v50
	v_lshlrev_b64 v[28:29], 4, v[50:51]
	s_delay_alu instid0(VALU_DEP_4) | instskip(SKIP_2) | instid1(VALU_DEP_4)
	v_add_co_u32 v30, vcc_lo, s8, v26
	v_add_co_ci_u32_e32 v31, vcc_lo, s9, v27, vcc_lo
	v_lshlrev_b64 v[38:39], 4, v[38:39]
	v_add_co_u32 v34, vcc_lo, s10, v28
	v_add_co_ci_u32_e32 v35, vcc_lo, s11, v29, vcc_lo
	s_clause 0x1
	global_load_b128 v[26:29], v[30:31], off offset:16
	global_load_b128 v[30:33], v[30:31], off
	global_load_b128 v[34:37], v[34:35], off
	v_lshlrev_b64 v[40:41], 4, v[40:41]
	v_add_co_u32 v42, vcc_lo, s8, v38
	v_add_co_ci_u32_e32 v43, vcc_lo, s9, v39, vcc_lo
	v_dual_mov_b32 v52, v20 :: v_dual_add_nc_u32 v51, 4, v19
	s_delay_alu instid0(VALU_DEP_4)
	v_add_co_u32 v46, vcc_lo, s10, v40
	v_add_co_ci_u32_e32 v47, vcc_lo, s11, v41, vcc_lo
	s_clause 0x1
	global_load_b128 v[38:41], v[42:43], off offset:16
	global_load_b128 v[42:45], v[42:43], off
	global_load_b128 v[46:49], v[46:47], off
	v_dual_mov_b32 v54, v20 :: v_dual_add_nc_u32 v53, 2, v50
	v_lshlrev_b64 v[50:51], 4, v[51:52]
	v_add_nc_u32_e32 v19, 6, v19
	s_add_i32 s5, s5, 3
	s_delay_alu instid0(VALU_DEP_3) | instskip(SKIP_1) | instid1(VALU_DEP_3)
	v_lshlrev_b64 v[52:53], 4, v[53:54]
	s_cmp_eq_u32 s5, 15
	v_add_co_u32 v54, vcc_lo, s8, v50
	v_add_co_ci_u32_e32 v55, vcc_lo, s9, v51, vcc_lo
	s_delay_alu instid0(VALU_DEP_3) | instskip(NEXT) | instid1(VALU_DEP_4)
	v_add_co_u32 v58, vcc_lo, s10, v52
	v_add_co_ci_u32_e32 v59, vcc_lo, s11, v53, vcc_lo
	s_clause 0x1
	global_load_b128 v[50:53], v[54:55], off offset:16
	global_load_b128 v[54:57], v[54:55], off
	global_load_b128 v[58:61], v[58:59], off
	s_waitcnt vmcnt(6)
	v_fma_f64 v[11:12], v[30:31], v[34:35], v[11:12]
	v_fma_f64 v[9:10], v[32:33], v[34:35], v[9:10]
	;; [unrolled: 1-line block ×4, first 2 shown]
	s_delay_alu instid0(VALU_DEP_4) | instskip(NEXT) | instid1(VALU_DEP_4)
	v_fma_f64 v[11:12], -v[32:33], v[36:37], v[11:12]
	v_fma_f64 v[9:10], v[30:31], v[36:37], v[9:10]
	s_delay_alu instid0(VALU_DEP_4) | instskip(NEXT) | instid1(VALU_DEP_4)
	v_fma_f64 v[13:14], -v[28:29], v[36:37], v[13:14]
	v_fma_f64 v[15:16], v[26:27], v[36:37], v[15:16]
	s_waitcnt vmcnt(3)
	s_delay_alu instid0(VALU_DEP_4) | instskip(NEXT) | instid1(VALU_DEP_4)
	v_fma_f64 v[11:12], v[42:43], v[46:47], v[11:12]
	v_fma_f64 v[9:10], v[44:45], v[46:47], v[9:10]
	s_delay_alu instid0(VALU_DEP_4) | instskip(NEXT) | instid1(VALU_DEP_4)
	v_fma_f64 v[13:14], v[38:39], v[46:47], v[13:14]
	v_fma_f64 v[15:16], v[40:41], v[46:47], v[15:16]
	s_delay_alu instid0(VALU_DEP_4) | instskip(NEXT) | instid1(VALU_DEP_4)
	v_fma_f64 v[11:12], -v[44:45], v[48:49], v[11:12]
	v_fma_f64 v[9:10], v[42:43], v[48:49], v[9:10]
	s_delay_alu instid0(VALU_DEP_4) | instskip(NEXT) | instid1(VALU_DEP_4)
	v_fma_f64 v[13:14], -v[40:41], v[48:49], v[13:14]
	v_fma_f64 v[15:16], v[38:39], v[48:49], v[15:16]
	s_waitcnt vmcnt(0)
	s_delay_alu instid0(VALU_DEP_4) | instskip(NEXT) | instid1(VALU_DEP_4)
	v_fma_f64 v[11:12], v[54:55], v[58:59], v[11:12]
	v_fma_f64 v[9:10], v[56:57], v[58:59], v[9:10]
	s_delay_alu instid0(VALU_DEP_4) | instskip(NEXT) | instid1(VALU_DEP_4)
	v_fma_f64 v[13:14], v[50:51], v[58:59], v[13:14]
	v_fma_f64 v[15:16], v[52:53], v[58:59], v[15:16]
	s_delay_alu instid0(VALU_DEP_4) | instskip(NEXT) | instid1(VALU_DEP_4)
	v_fma_f64 v[11:12], -v[56:57], v[60:61], v[11:12]
	v_fma_f64 v[9:10], v[54:55], v[60:61], v[9:10]
	s_delay_alu instid0(VALU_DEP_4) | instskip(NEXT) | instid1(VALU_DEP_4)
	v_fma_f64 v[13:14], -v[52:53], v[60:61], v[13:14]
	v_fma_f64 v[15:16], v[50:51], v[60:61], v[15:16]
	s_cbranch_scc0 .LBB297_12
; %bb.13:                               ;   in Loop: Header=BB297_11 Depth=1
	v_add_nc_u32_e32 v21, 64, v21
	v_add_nc_u32_e32 v24, 0x780, v24
	s_delay_alu instid0(VALU_DEP_2) | instskip(SKIP_1) | instid1(SALU_CYCLE_1)
	v_cmp_ge_i32_e32 vcc_lo, v21, v23
	s_or_b32 s4, vcc_lo, s4
	s_and_not1_b32 exec_lo, exec_lo, s4
	s_cbranch_execnz .LBB297_11
; %bb.14:
	s_or_b32 exec_lo, exec_lo, s4
.LBB297_15:
	s_delay_alu instid0(SALU_CYCLE_1)
	s_or_b32 exec_lo, exec_lo, s1
	s_cbranch_execz .LBB297_17
	s_branch .LBB297_24
.LBB297_16:
                                        ; implicit-def: $vgpr9_vgpr10
                                        ; implicit-def: $vgpr11_vgpr12
                                        ; implicit-def: $vgpr13_vgpr14
                                        ; implicit-def: $vgpr15_vgpr16
.LBB297_17:
	v_mov_b32_e32 v9, 0
	v_mov_b32_e32 v10, 0
	s_delay_alu instid0(VALU_DEP_1)
	v_dual_mov_b32 v12, v10 :: v_dual_mov_b32 v11, v9
	v_dual_mov_b32 v14, v10 :: v_dual_mov_b32 v13, v9
	;; [unrolled: 1-line block ×3, first 2 shown]
	s_and_saveexec_b32 s1, s0
	s_cbranch_execz .LBB297_23
; %bb.18:
	v_mul_lo_u32 v11, v18, 30
	v_mov_b32_e32 v9, 0
	v_dual_mov_b32 v10, 0 :: v_dual_mov_b32 v19, 0
	v_mul_lo_u32 v20, v17, 30
	s_mul_i32 s0, s12, 30
	s_delay_alu instid0(VALU_DEP_2) | instskip(SKIP_2) | instid1(VALU_DEP_2)
	v_dual_mov_b32 v14, v10 :: v_dual_mov_b32 v13, v9
	v_mad_u32_u24 v15, v25, 30, v11
	v_dual_mov_b32 v12, v10 :: v_dual_mov_b32 v11, v9
	v_subrev_nc_u32_e32 v21, s0, v15
	v_dual_mov_b32 v16, v10 :: v_dual_mov_b32 v15, v9
	s_mov_b32 s0, 0
.LBB297_19:                             ; =>This Loop Header: Depth=1
                                        ;     Child Loop BB297_20 Depth 2
	v_ashrrev_i32_e32 v18, 31, v17
	s_mov_b32 s4, 0
	s_delay_alu instid0(VALU_DEP_1) | instskip(NEXT) | instid1(VALU_DEP_1)
	v_lshlrev_b64 v[26:27], 2, v[17:18]
	v_add_co_u32 v26, vcc_lo, s6, v26
	s_delay_alu instid0(VALU_DEP_2) | instskip(SKIP_3) | instid1(VALU_DEP_1)
	v_add_co_ci_u32_e32 v27, vcc_lo, s7, v27, vcc_lo
	global_load_b32 v18, v[26:27], off
	s_waitcnt vmcnt(0)
	v_subrev_nc_u32_e32 v18, s12, v18
	v_mul_lo_u32 v22, v18, 15
.LBB297_20:                             ;   Parent Loop BB297_19 Depth=1
                                        ; =>  This Inner Loop Header: Depth=2
	v_dual_mov_b32 v27, v19 :: v_dual_add_nc_u32 v18, s4, v21
	v_dual_mov_b32 v39, v19 :: v_dual_add_nc_u32 v24, s4, v20
	v_mov_b32_e32 v41, v19
	s_delay_alu instid0(VALU_DEP_3) | instskip(SKIP_1) | instid1(VALU_DEP_4)
	v_lshlrev_b64 v[28:29], 4, v[18:19]
	v_add_nc_u32_e32 v18, s4, v22
	v_dual_mov_b32 v43, v19 :: v_dual_add_nc_u32 v26, 15, v24
	v_dual_mov_b32 v51, v19 :: v_dual_add_nc_u32 v38, 1, v24
	s_delay_alu instid0(VALU_DEP_3) | instskip(NEXT) | instid1(VALU_DEP_3)
	v_lshlrev_b64 v[30:31], 4, v[18:19]
	v_lshlrev_b64 v[26:27], 4, v[26:27]
	v_add_co_u32 v28, vcc_lo, s8, v28
	v_add_co_ci_u32_e32 v29, vcc_lo, s9, v29, vcc_lo
	s_delay_alu instid0(VALU_DEP_4)
	v_add_co_u32 v30, vcc_lo, s10, v30
	v_add_co_ci_u32_e32 v31, vcc_lo, s11, v31, vcc_lo
	v_add_co_u32 v34, vcc_lo, s8, v26
	v_add_co_ci_u32_e32 v35, vcc_lo, s9, v27, vcc_lo
	global_load_b128 v[26:29], v[28:29], off
	global_load_b128 v[30:33], v[30:31], off
	;; [unrolled: 1-line block ×3, first 2 shown]
	v_add_nc_u32_e32 v42, 16, v24
	v_lshlrev_b64 v[38:39], 4, v[38:39]
	v_add_nc_u32_e32 v40, 1, v18
	v_add_nc_u32_e32 v50, 2, v24
	;; [unrolled: 1-line block ×3, first 2 shown]
	v_lshlrev_b64 v[42:43], 4, v[42:43]
	s_add_i32 s4, s4, 3
	v_lshlrev_b64 v[40:41], 4, v[40:41]
	v_add_co_u32 v38, vcc_lo, s8, v38
	v_add_co_ci_u32_e32 v39, vcc_lo, s9, v39, vcc_lo
	s_delay_alu instid0(VALU_DEP_4)
	v_add_co_u32 v42, vcc_lo, s8, v42
	v_add_co_ci_u32_e32 v43, vcc_lo, s9, v43, vcc_lo
	v_add_co_u32 v46, vcc_lo, s10, v40
	v_add_co_ci_u32_e32 v47, vcc_lo, s11, v41, vcc_lo
	s_clause 0x1
	global_load_b128 v[38:41], v[38:39], off
	global_load_b128 v[42:45], v[42:43], off
	;; [unrolled: 1-line block ×3, first 2 shown]
	v_lshlrev_b64 v[50:51], 4, v[50:51]
	v_lshlrev_b64 v[52:53], 4, v[18:19]
	v_add_nc_u32_e32 v18, 17, v24
	s_cmp_eq_u32 s4, 15
	s_delay_alu instid0(VALU_DEP_3) | instskip(NEXT) | instid1(VALU_DEP_2)
	v_add_co_u32 v50, vcc_lo, s8, v50
	v_lshlrev_b64 v[54:55], 4, v[18:19]
	v_add_co_ci_u32_e32 v51, vcc_lo, s9, v51, vcc_lo
	v_add_co_u32 v56, vcc_lo, s10, v52
	v_add_co_ci_u32_e32 v57, vcc_lo, s11, v53, vcc_lo
	s_delay_alu instid0(VALU_DEP_4)
	v_add_co_u32 v58, vcc_lo, s8, v54
	v_add_co_ci_u32_e32 v59, vcc_lo, s9, v55, vcc_lo
	global_load_b128 v[50:53], v[50:51], off
	global_load_b128 v[54:57], v[56:57], off
	;; [unrolled: 1-line block ×3, first 2 shown]
	s_waitcnt vmcnt(7)
	v_fma_f64 v[11:12], v[26:27], v[30:31], v[11:12]
	v_fma_f64 v[9:10], v[28:29], v[30:31], v[9:10]
	s_waitcnt vmcnt(6)
	v_fma_f64 v[13:14], v[34:35], v[30:31], v[13:14]
	v_fma_f64 v[15:16], v[36:37], v[30:31], v[15:16]
	s_delay_alu instid0(VALU_DEP_4) | instskip(NEXT) | instid1(VALU_DEP_4)
	v_fma_f64 v[11:12], -v[28:29], v[32:33], v[11:12]
	v_fma_f64 v[9:10], v[26:27], v[32:33], v[9:10]
	s_delay_alu instid0(VALU_DEP_4) | instskip(NEXT) | instid1(VALU_DEP_4)
	v_fma_f64 v[13:14], -v[36:37], v[32:33], v[13:14]
	v_fma_f64 v[15:16], v[34:35], v[32:33], v[15:16]
	s_waitcnt vmcnt(3)
	s_delay_alu instid0(VALU_DEP_4) | instskip(NEXT) | instid1(VALU_DEP_4)
	v_fma_f64 v[11:12], v[38:39], v[46:47], v[11:12]
	v_fma_f64 v[9:10], v[40:41], v[46:47], v[9:10]
	s_delay_alu instid0(VALU_DEP_4) | instskip(NEXT) | instid1(VALU_DEP_4)
	v_fma_f64 v[13:14], v[42:43], v[46:47], v[13:14]
	v_fma_f64 v[15:16], v[44:45], v[46:47], v[15:16]
	s_delay_alu instid0(VALU_DEP_4) | instskip(NEXT) | instid1(VALU_DEP_4)
	v_fma_f64 v[11:12], -v[40:41], v[48:49], v[11:12]
	v_fma_f64 v[9:10], v[38:39], v[48:49], v[9:10]
	s_delay_alu instid0(VALU_DEP_4) | instskip(NEXT) | instid1(VALU_DEP_4)
	v_fma_f64 v[13:14], -v[44:45], v[48:49], v[13:14]
	v_fma_f64 v[15:16], v[42:43], v[48:49], v[15:16]
	s_waitcnt vmcnt(1)
	s_delay_alu instid0(VALU_DEP_4) | instskip(NEXT) | instid1(VALU_DEP_4)
	v_fma_f64 v[11:12], v[50:51], v[54:55], v[11:12]
	v_fma_f64 v[9:10], v[52:53], v[54:55], v[9:10]
	s_waitcnt vmcnt(0)
	s_delay_alu instid0(VALU_DEP_4) | instskip(NEXT) | instid1(VALU_DEP_4)
	v_fma_f64 v[13:14], v[58:59], v[54:55], v[13:14]
	v_fma_f64 v[15:16], v[60:61], v[54:55], v[15:16]
	s_delay_alu instid0(VALU_DEP_4) | instskip(NEXT) | instid1(VALU_DEP_4)
	v_fma_f64 v[11:12], -v[52:53], v[56:57], v[11:12]
	v_fma_f64 v[9:10], v[50:51], v[56:57], v[9:10]
	s_delay_alu instid0(VALU_DEP_4) | instskip(NEXT) | instid1(VALU_DEP_4)
	v_fma_f64 v[13:14], -v[60:61], v[56:57], v[13:14]
	v_fma_f64 v[15:16], v[58:59], v[56:57], v[15:16]
	s_cbranch_scc0 .LBB297_20
; %bb.21:                               ;   in Loop: Header=BB297_19 Depth=1
	v_add_nc_u32_e32 v17, 64, v17
	v_add_nc_u32_e32 v20, 0x780, v20
	v_add_nc_u32_e32 v21, 0x780, v21
	s_delay_alu instid0(VALU_DEP_3) | instskip(SKIP_1) | instid1(SALU_CYCLE_1)
	v_cmp_ge_i32_e32 vcc_lo, v17, v23
	s_or_b32 s0, vcc_lo, s0
	s_and_not1_b32 exec_lo, exec_lo, s0
	s_cbranch_execnz .LBB297_19
; %bb.22:
	s_or_b32 exec_lo, exec_lo, s0
.LBB297_23:
	s_delay_alu instid0(SALU_CYCLE_1)
	s_or_b32 exec_lo, exec_lo, s1
.LBB297_24:
	v_mbcnt_lo_u32_b32 v26, -1, 0
	s_delay_alu instid0(VALU_DEP_1) | instskip(NEXT) | instid1(VALU_DEP_1)
	v_or_b32_e32 v17, 32, v26
	v_cmp_gt_i32_e32 vcc_lo, 32, v17
	v_cndmask_b32_e32 v17, v26, v17, vcc_lo
	s_delay_alu instid0(VALU_DEP_1)
	v_lshlrev_b32_e32 v24, 2, v17
	ds_bpermute_b32 v17, v24, v11
	ds_bpermute_b32 v18, v24, v12
	ds_bpermute_b32 v19, v24, v9
	ds_bpermute_b32 v20, v24, v10
	ds_bpermute_b32 v21, v24, v13
	ds_bpermute_b32 v22, v24, v14
	ds_bpermute_b32 v23, v24, v15
	ds_bpermute_b32 v24, v24, v16
	s_waitcnt lgkmcnt(6)
	v_add_f64 v[11:12], v[11:12], v[17:18]
	v_xor_b32_e32 v17, 16, v26
	s_waitcnt lgkmcnt(4)
	v_add_f64 v[9:10], v[9:10], v[19:20]
	s_waitcnt lgkmcnt(2)
	v_add_f64 v[13:14], v[13:14], v[21:22]
	s_waitcnt lgkmcnt(0)
	v_add_f64 v[15:16], v[15:16], v[23:24]
	v_cmp_gt_i32_e32 vcc_lo, 32, v17
	v_cndmask_b32_e32 v17, v26, v17, vcc_lo
	s_delay_alu instid0(VALU_DEP_1)
	v_lshlrev_b32_e32 v24, 2, v17
	ds_bpermute_b32 v17, v24, v11
	ds_bpermute_b32 v18, v24, v12
	ds_bpermute_b32 v19, v24, v9
	ds_bpermute_b32 v20, v24, v10
	ds_bpermute_b32 v21, v24, v13
	ds_bpermute_b32 v22, v24, v14
	ds_bpermute_b32 v23, v24, v15
	ds_bpermute_b32 v24, v24, v16
	s_waitcnt lgkmcnt(6)
	v_add_f64 v[11:12], v[11:12], v[17:18]
	v_xor_b32_e32 v17, 8, v26
	s_waitcnt lgkmcnt(4)
	v_add_f64 v[9:10], v[9:10], v[19:20]
	s_waitcnt lgkmcnt(2)
	v_add_f64 v[13:14], v[13:14], v[21:22]
	s_waitcnt lgkmcnt(0)
	v_add_f64 v[15:16], v[15:16], v[23:24]
	;; [unrolled: 21-line block ×3, first 2 shown]
	v_cmp_gt_i32_e32 vcc_lo, 32, v17
	v_cndmask_b32_e32 v17, v26, v17, vcc_lo
	s_delay_alu instid0(VALU_DEP_1)
	v_lshlrev_b32_e32 v24, 2, v17
	ds_bpermute_b32 v17, v24, v11
	ds_bpermute_b32 v18, v24, v12
	;; [unrolled: 1-line block ×8, first 2 shown]
	s_waitcnt lgkmcnt(6)
	v_add_f64 v[11:12], v[11:12], v[17:18]
	s_waitcnt lgkmcnt(4)
	v_add_f64 v[17:18], v[9:10], v[19:20]
	v_xor_b32_e32 v9, 2, v26
	s_waitcnt lgkmcnt(2)
	v_add_f64 v[13:14], v[13:14], v[21:22]
	s_waitcnt lgkmcnt(0)
	v_add_f64 v[19:20], v[15:16], v[23:24]
	v_cmp_gt_i32_e32 vcc_lo, 32, v9
	v_cndmask_b32_e32 v9, v26, v9, vcc_lo
	s_delay_alu instid0(VALU_DEP_1)
	v_lshlrev_b32_e32 v24, 2, v9
	ds_bpermute_b32 v9, v24, v11
	ds_bpermute_b32 v10, v24, v12
	;; [unrolled: 1-line block ×8, first 2 shown]
	s_waitcnt lgkmcnt(6)
	v_add_f64 v[9:10], v[11:12], v[9:10]
	s_waitcnt lgkmcnt(4)
	v_add_f64 v[15:16], v[17:18], v[15:16]
	v_xor_b32_e32 v17, 1, v26
	s_waitcnt lgkmcnt(2)
	v_add_f64 v[11:12], v[13:14], v[21:22]
	s_waitcnt lgkmcnt(0)
	v_add_f64 v[13:14], v[19:20], v[23:24]
	v_cmp_gt_i32_e32 vcc_lo, 32, v17
	v_cndmask_b32_e32 v17, v26, v17, vcc_lo
	v_cmp_eq_u32_e32 vcc_lo, 63, v25
	s_delay_alu instid0(VALU_DEP_2)
	v_lshlrev_b32_e32 v20, 2, v17
	ds_bpermute_b32 v23, v20, v9
	ds_bpermute_b32 v24, v20, v10
	;; [unrolled: 1-line block ×8, first 2 shown]
	s_and_b32 exec_lo, exec_lo, vcc_lo
	s_cbranch_execz .LBB297_29
; %bb.25:
	v_cmp_eq_f64_e32 vcc_lo, 0, v[4:5]
	v_cmp_eq_f64_e64 s0, 0, v[6:7]
	s_waitcnt lgkmcnt(6)
	v_add_f64 v[9:10], v[9:10], v[23:24]
	s_waitcnt lgkmcnt(4)
	v_add_f64 v[15:16], v[15:16], v[21:22]
	;; [unrolled: 2-line block ×4, first 2 shown]
	s_load_b64 s[2:3], s[2:3], 0x48
	s_and_b32 s0, vcc_lo, s0
	s_delay_alu instid0(SALU_CYCLE_1) | instskip(NEXT) | instid1(SALU_CYCLE_1)
	s_and_saveexec_b32 s1, s0
	s_xor_b32 s0, exec_lo, s1
	s_cbranch_execz .LBB297_27
; %bb.26:
	s_delay_alu instid0(VALU_DEP_3) | instskip(SKIP_1) | instid1(VALU_DEP_3)
	v_mul_f64 v[4:5], v[15:16], -v[2:3]
	v_mul_f64 v[6:7], v[0:1], v[15:16]
	v_mul_f64 v[15:16], v[13:14], -v[2:3]
	v_mul_f64 v[13:14], v[0:1], v[13:14]
	v_lshlrev_b32_e32 v8, 1, v8
	v_fma_f64 v[4:5], v[0:1], v[9:10], v[4:5]
	v_fma_f64 v[6:7], v[2:3], v[9:10], v[6:7]
	;; [unrolled: 1-line block ×4, first 2 shown]
	v_ashrrev_i32_e32 v9, 31, v8
                                        ; implicit-def: $vgpr15_vgpr16
                                        ; implicit-def: $vgpr11_vgpr12
                                        ; implicit-def: $vgpr13_vgpr14
	s_delay_alu instid0(VALU_DEP_1) | instskip(SKIP_1) | instid1(VALU_DEP_1)
	v_lshlrev_b64 v[8:9], 4, v[8:9]
	s_waitcnt lgkmcnt(0)
	v_add_co_u32 v8, vcc_lo, s2, v8
	s_delay_alu instid0(VALU_DEP_2)
	v_add_co_ci_u32_e32 v9, vcc_lo, s3, v9, vcc_lo
	s_clause 0x1
	global_store_b128 v[8:9], v[4:7], off
	global_store_b128 v[8:9], v[0:3], off offset:16
                                        ; implicit-def: $vgpr0_vgpr1
                                        ; implicit-def: $vgpr2_vgpr3
                                        ; implicit-def: $vgpr4_vgpr5
                                        ; implicit-def: $vgpr6_vgpr7
                                        ; implicit-def: $vgpr8
                                        ; implicit-def: $vgpr9_vgpr10
.LBB297_27:
	s_and_not1_saveexec_b32 s0, s0
	s_cbranch_execz .LBB297_29
; %bb.28:
	v_lshlrev_b32_e32 v17, 1, v8
	s_delay_alu instid0(VALU_DEP_4) | instskip(SKIP_1) | instid1(VALU_DEP_4)
	v_mul_f64 v[27:28], v[15:16], -v[2:3]
	v_mul_f64 v[15:16], v[0:1], v[15:16]
	v_mul_f64 v[29:30], v[13:14], -v[2:3]
	v_mul_f64 v[13:14], v[0:1], v[13:14]
	v_ashrrev_i32_e32 v18, 31, v17
	s_delay_alu instid0(VALU_DEP_1) | instskip(SKIP_1) | instid1(VALU_DEP_1)
	v_lshlrev_b64 v[17:18], 4, v[17:18]
	s_waitcnt lgkmcnt(0)
	v_add_co_u32 v25, vcc_lo, s2, v17
	s_delay_alu instid0(VALU_DEP_2)
	v_add_co_ci_u32_e32 v26, vcc_lo, s3, v18, vcc_lo
	s_clause 0x1
	global_load_b128 v[17:20], v[25:26], off
	global_load_b128 v[21:24], v[25:26], off offset:16
	v_fma_f64 v[27:28], v[0:1], v[9:10], v[27:28]
	v_fma_f64 v[8:9], v[2:3], v[9:10], v[15:16]
	;; [unrolled: 1-line block ×4, first 2 shown]
	s_waitcnt vmcnt(1)
	s_delay_alu instid0(VALU_DEP_4) | instskip(NEXT) | instid1(VALU_DEP_4)
	v_fma_f64 v[10:11], v[4:5], v[17:18], v[27:28]
	v_fma_f64 v[8:9], v[6:7], v[17:18], v[8:9]
	s_waitcnt vmcnt(0)
	s_delay_alu instid0(VALU_DEP_4) | instskip(NEXT) | instid1(VALU_DEP_4)
	v_fma_f64 v[12:13], v[4:5], v[21:22], v[0:1]
	v_fma_f64 v[14:15], v[6:7], v[21:22], v[2:3]
	s_delay_alu instid0(VALU_DEP_4) | instskip(NEXT) | instid1(VALU_DEP_4)
	v_fma_f64 v[0:1], -v[6:7], v[19:20], v[10:11]
	v_fma_f64 v[2:3], v[4:5], v[19:20], v[8:9]
	s_delay_alu instid0(VALU_DEP_4) | instskip(NEXT) | instid1(VALU_DEP_4)
	v_fma_f64 v[6:7], -v[6:7], v[23:24], v[12:13]
	v_fma_f64 v[8:9], v[4:5], v[23:24], v[14:15]
	s_clause 0x1
	global_store_b128 v[25:26], v[0:3], off
	global_store_b128 v[25:26], v[6:9], off offset:16
.LBB297_29:
	s_nop 0
	s_sendmsg sendmsg(MSG_DEALLOC_VGPRS)
	s_endpgm
	.section	.rodata,"a",@progbits
	.p2align	6, 0x0
	.amdhsa_kernel _ZN9rocsparseL19gebsrmvn_2xn_kernelILj128ELj15ELj64E21rocsparse_complex_numIdEEEvi20rocsparse_direction_NS_24const_host_device_scalarIT2_EEPKiS8_PKS5_SA_S6_PS5_21rocsparse_index_base_b
		.amdhsa_group_segment_fixed_size 2048
		.amdhsa_private_segment_fixed_size 0
		.amdhsa_kernarg_size 88
		.amdhsa_user_sgpr_count 15
		.amdhsa_user_sgpr_dispatch_ptr 1
		.amdhsa_user_sgpr_queue_ptr 0
		.amdhsa_user_sgpr_kernarg_segment_ptr 1
		.amdhsa_user_sgpr_dispatch_id 0
		.amdhsa_user_sgpr_private_segment_size 0
		.amdhsa_wavefront_size32 1
		.amdhsa_uses_dynamic_stack 0
		.amdhsa_enable_private_segment 0
		.amdhsa_system_sgpr_workgroup_id_x 1
		.amdhsa_system_sgpr_workgroup_id_y 0
		.amdhsa_system_sgpr_workgroup_id_z 0
		.amdhsa_system_sgpr_workgroup_info 0
		.amdhsa_system_vgpr_workitem_id 2
		.amdhsa_next_free_vgpr 62
		.amdhsa_next_free_sgpr 18
		.amdhsa_reserve_vcc 1
		.amdhsa_float_round_mode_32 0
		.amdhsa_float_round_mode_16_64 0
		.amdhsa_float_denorm_mode_32 3
		.amdhsa_float_denorm_mode_16_64 3
		.amdhsa_dx10_clamp 1
		.amdhsa_ieee_mode 1
		.amdhsa_fp16_overflow 0
		.amdhsa_workgroup_processor_mode 1
		.amdhsa_memory_ordered 1
		.amdhsa_forward_progress 0
		.amdhsa_shared_vgpr_count 0
		.amdhsa_exception_fp_ieee_invalid_op 0
		.amdhsa_exception_fp_denorm_src 0
		.amdhsa_exception_fp_ieee_div_zero 0
		.amdhsa_exception_fp_ieee_overflow 0
		.amdhsa_exception_fp_ieee_underflow 0
		.amdhsa_exception_fp_ieee_inexact 0
		.amdhsa_exception_int_div_zero 0
	.end_amdhsa_kernel
	.section	.text._ZN9rocsparseL19gebsrmvn_2xn_kernelILj128ELj15ELj64E21rocsparse_complex_numIdEEEvi20rocsparse_direction_NS_24const_host_device_scalarIT2_EEPKiS8_PKS5_SA_S6_PS5_21rocsparse_index_base_b,"axG",@progbits,_ZN9rocsparseL19gebsrmvn_2xn_kernelILj128ELj15ELj64E21rocsparse_complex_numIdEEEvi20rocsparse_direction_NS_24const_host_device_scalarIT2_EEPKiS8_PKS5_SA_S6_PS5_21rocsparse_index_base_b,comdat
.Lfunc_end297:
	.size	_ZN9rocsparseL19gebsrmvn_2xn_kernelILj128ELj15ELj64E21rocsparse_complex_numIdEEEvi20rocsparse_direction_NS_24const_host_device_scalarIT2_EEPKiS8_PKS5_SA_S6_PS5_21rocsparse_index_base_b, .Lfunc_end297-_ZN9rocsparseL19gebsrmvn_2xn_kernelILj128ELj15ELj64E21rocsparse_complex_numIdEEEvi20rocsparse_direction_NS_24const_host_device_scalarIT2_EEPKiS8_PKS5_SA_S6_PS5_21rocsparse_index_base_b
                                        ; -- End function
	.section	.AMDGPU.csdata,"",@progbits
; Kernel info:
; codeLenInByte = 3288
; NumSgprs: 20
; NumVgprs: 62
; ScratchSize: 0
; MemoryBound: 0
; FloatMode: 240
; IeeeMode: 1
; LDSByteSize: 2048 bytes/workgroup (compile time only)
; SGPRBlocks: 2
; VGPRBlocks: 7
; NumSGPRsForWavesPerEU: 20
; NumVGPRsForWavesPerEU: 62
; Occupancy: 16
; WaveLimiterHint : 1
; COMPUTE_PGM_RSRC2:SCRATCH_EN: 0
; COMPUTE_PGM_RSRC2:USER_SGPR: 15
; COMPUTE_PGM_RSRC2:TRAP_HANDLER: 0
; COMPUTE_PGM_RSRC2:TGID_X_EN: 1
; COMPUTE_PGM_RSRC2:TGID_Y_EN: 0
; COMPUTE_PGM_RSRC2:TGID_Z_EN: 0
; COMPUTE_PGM_RSRC2:TIDIG_COMP_CNT: 2
	.section	.text._ZN9rocsparseL19gebsrmvn_2xn_kernelILj128ELj16ELj4E21rocsparse_complex_numIdEEEvi20rocsparse_direction_NS_24const_host_device_scalarIT2_EEPKiS8_PKS5_SA_S6_PS5_21rocsparse_index_base_b,"axG",@progbits,_ZN9rocsparseL19gebsrmvn_2xn_kernelILj128ELj16ELj4E21rocsparse_complex_numIdEEEvi20rocsparse_direction_NS_24const_host_device_scalarIT2_EEPKiS8_PKS5_SA_S6_PS5_21rocsparse_index_base_b,comdat
	.globl	_ZN9rocsparseL19gebsrmvn_2xn_kernelILj128ELj16ELj4E21rocsparse_complex_numIdEEEvi20rocsparse_direction_NS_24const_host_device_scalarIT2_EEPKiS8_PKS5_SA_S6_PS5_21rocsparse_index_base_b ; -- Begin function _ZN9rocsparseL19gebsrmvn_2xn_kernelILj128ELj16ELj4E21rocsparse_complex_numIdEEEvi20rocsparse_direction_NS_24const_host_device_scalarIT2_EEPKiS8_PKS5_SA_S6_PS5_21rocsparse_index_base_b
	.p2align	8
	.type	_ZN9rocsparseL19gebsrmvn_2xn_kernelILj128ELj16ELj4E21rocsparse_complex_numIdEEEvi20rocsparse_direction_NS_24const_host_device_scalarIT2_EEPKiS8_PKS5_SA_S6_PS5_21rocsparse_index_base_b,@function
_ZN9rocsparseL19gebsrmvn_2xn_kernelILj128ELj16ELj4E21rocsparse_complex_numIdEEEvi20rocsparse_direction_NS_24const_host_device_scalarIT2_EEPKiS8_PKS5_SA_S6_PS5_21rocsparse_index_base_b: ; @_ZN9rocsparseL19gebsrmvn_2xn_kernelILj128ELj16ELj4E21rocsparse_complex_numIdEEEvi20rocsparse_direction_NS_24const_host_device_scalarIT2_EEPKiS8_PKS5_SA_S6_PS5_21rocsparse_index_base_b
; %bb.0:
	s_load_b64 s[12:13], s[2:3], 0x50
	s_load_b64 s[16:17], s[0:1], 0x4
	s_load_b128 s[8:11], s[2:3], 0x8
	v_bfe_u32 v1, v0, 10, 10
	s_mov_b64 s[0:1], src_shared_base
	s_load_b128 s[4:7], s[2:3], 0x38
	v_and_b32_e32 v10, 0x3ff, v0
	v_bfe_u32 v0, v0, 20, 10
	s_waitcnt lgkmcnt(0)
	s_bitcmp1_b32 s13, 0
	v_mul_u32_u24_e32 v1, s17, v1
	s_cselect_b32 s0, -1, 0
	s_delay_alu instid0(SALU_CYCLE_1)
	s_and_b32 vcc_lo, s0, exec_lo
	s_cselect_b32 s13, s1, s9
	s_lshr_b32 s14, s16, 16
	v_dual_mov_b32 v2, s4 :: v_dual_mov_b32 v3, s5
	s_mul_i32 s14, s14, s17
	v_mov_b32_e32 v6, s13
	v_mad_u32_u24 v1, s14, v10, v1
	s_delay_alu instid0(VALU_DEP_1) | instskip(SKIP_1) | instid1(VALU_DEP_2)
	v_add_lshl_u32 v4, v1, v0, 3
	v_dual_mov_b32 v0, s8 :: v_dual_mov_b32 v1, s9
	v_add_nc_u32_e32 v5, 0x400, v4
	ds_store_2addr_stride64_b64 v4, v[2:3], v[0:1] offset1:2
	v_dual_mov_b32 v2, s10 :: v_dual_mov_b32 v3, s11
	v_cndmask_b32_e64 v5, s8, v5, s0
	s_xor_b32 s10, s0, -1
	flat_load_b64 v[0:1], v[5:6]
	s_cbranch_vccnz .LBB298_2
; %bb.1:
	v_dual_mov_b32 v2, s8 :: v_dual_mov_b32 v3, s9
	flat_load_b64 v[2:3], v[2:3] offset:8
.LBB298_2:
	s_and_b32 s8, s0, exec_lo
	s_cselect_b32 s1, s1, s5
	v_cndmask_b32_e64 v4, s4, v4, s0
	v_dual_mov_b32 v5, s1 :: v_dual_mov_b32 v6, s6
	v_mov_b32_e32 v7, s7
	s_and_not1_b32 vcc_lo, exec_lo, s10
	flat_load_b64 v[4:5], v[4:5]
	s_cbranch_vccnz .LBB298_4
; %bb.3:
	v_dual_mov_b32 v7, s5 :: v_dual_mov_b32 v6, s4
	flat_load_b64 v[6:7], v[6:7] offset:8
.LBB298_4:
	s_waitcnt vmcnt(1) lgkmcnt(1)
	v_cmp_eq_f64_e32 vcc_lo, 0, v[0:1]
	v_cmp_eq_f64_e64 s0, 0, v[2:3]
	s_delay_alu instid0(VALU_DEP_1)
	s_and_b32 s4, vcc_lo, s0
	s_mov_b32 s0, -1
	s_and_saveexec_b32 s1, s4
	s_cbranch_execz .LBB298_6
; %bb.5:
	s_waitcnt vmcnt(0) lgkmcnt(0)
	v_cmp_neq_f64_e32 vcc_lo, 1.0, v[4:5]
	v_cmp_neq_f64_e64 s0, 0, v[6:7]
	s_delay_alu instid0(VALU_DEP_1) | instskip(NEXT) | instid1(SALU_CYCLE_1)
	s_or_b32 s0, vcc_lo, s0
	s_or_not1_b32 s0, s0, exec_lo
.LBB298_6:
	s_or_b32 exec_lo, exec_lo, s1
	s_and_saveexec_b32 s1, s0
	s_cbranch_execz .LBB298_29
; %bb.7:
	s_load_b64 s[0:1], s[2:3], 0x0
	v_lshrrev_b32_e32 v8, 2, v10
	s_delay_alu instid0(VALU_DEP_1) | instskip(SKIP_1) | instid1(VALU_DEP_1)
	v_lshl_or_b32 v8, s15, 5, v8
	s_waitcnt lgkmcnt(0)
	v_cmp_gt_i32_e32 vcc_lo, s0, v8
	s_and_b32 exec_lo, exec_lo, vcc_lo
	s_cbranch_execz .LBB298_29
; %bb.8:
	s_load_b256 s[4:11], s[2:3], 0x18
	v_ashrrev_i32_e32 v9, 31, v8
	v_and_b32_e32 v26, 3, v10
	s_cmp_lg_u32 s1, 0
	s_delay_alu instid0(VALU_DEP_2) | instskip(SKIP_1) | instid1(VALU_DEP_1)
	v_lshlrev_b64 v[11:12], 2, v[8:9]
	s_waitcnt lgkmcnt(0)
	v_add_co_u32 v11, vcc_lo, s4, v11
	s_delay_alu instid0(VALU_DEP_2) | instskip(SKIP_4) | instid1(VALU_DEP_2)
	v_add_co_ci_u32_e32 v12, vcc_lo, s5, v12, vcc_lo
	global_load_b64 v[11:12], v[11:12], off
	s_waitcnt vmcnt(0)
	v_subrev_nc_u32_e32 v9, s12, v11
	v_subrev_nc_u32_e32 v27, s12, v12
	v_add_nc_u32_e32 v9, v9, v26
	s_delay_alu instid0(VALU_DEP_1)
	v_cmp_lt_i32_e64 s0, v9, v27
	s_cbranch_scc0 .LBB298_16
; %bb.9:
	v_mov_b32_e32 v11, 0
	v_mov_b32_e32 v12, 0
	s_delay_alu instid0(VALU_DEP_1)
	v_dual_mov_b32 v18, v12 :: v_dual_mov_b32 v17, v11
	v_dual_mov_b32 v14, v12 :: v_dual_mov_b32 v13, v11
	v_dual_mov_b32 v16, v12 :: v_dual_mov_b32 v15, v11
	s_and_saveexec_b32 s1, s0
	s_cbranch_execz .LBB298_15
; %bb.10:
	v_dual_mov_b32 v11, 0 :: v_dual_mov_b32 v22, 0
	v_dual_mov_b32 v12, 0 :: v_dual_lshlrev_b32 v19, 5, v9
	v_mov_b32_e32 v23, v9
	s_add_u32 s13, s8, 16
	s_addc_u32 s15, s9, 0
	s_delay_alu instid0(VALU_DEP_2)
	v_or_b32_e32 v10, 6, v19
	v_dual_mov_b32 v18, v12 :: v_dual_mov_b32 v17, v11
	v_dual_mov_b32 v14, v12 :: v_dual_mov_b32 v13, v11
	;; [unrolled: 1-line block ×3, first 2 shown]
	s_mov_b32 s14, 0
.LBB298_11:                             ; =>This Loop Header: Depth=1
                                        ;     Child Loop BB298_12 Depth 2
	v_ashrrev_i32_e32 v24, 31, v23
	s_mov_b64 s[4:5], 0
	s_delay_alu instid0(VALU_DEP_1) | instskip(NEXT) | instid1(VALU_DEP_1)
	v_lshlrev_b64 v[20:21], 2, v[23:24]
	v_add_co_u32 v20, vcc_lo, s6, v20
	s_delay_alu instid0(VALU_DEP_2) | instskip(SKIP_3) | instid1(VALU_DEP_1)
	v_add_co_ci_u32_e32 v21, vcc_lo, s7, v21, vcc_lo
	global_load_b32 v20, v[20:21], off
	s_waitcnt vmcnt(0)
	v_subrev_nc_u32_e32 v21, s12, v20
	v_dual_mov_b32 v20, v22 :: v_dual_lshlrev_b32 v21, 4, v21
	s_delay_alu instid0(VALU_DEP_1) | instskip(NEXT) | instid1(VALU_DEP_2)
	v_lshlrev_b64 v[24:25], 4, v[19:20]
	v_lshlrev_b64 v[20:21], 4, v[21:22]
	s_delay_alu instid0(VALU_DEP_2) | instskip(NEXT) | instid1(VALU_DEP_3)
	v_add_co_u32 v24, vcc_lo, s13, v24
	v_add_co_ci_u32_e32 v25, vcc_lo, s15, v25, vcc_lo
	s_delay_alu instid0(VALU_DEP_3) | instskip(NEXT) | instid1(VALU_DEP_4)
	v_add_co_u32 v28, vcc_lo, s10, v20
	v_add_co_ci_u32_e32 v29, vcc_lo, s11, v21, vcc_lo
	v_mov_b32_e32 v20, v10
.LBB298_12:                             ;   Parent Loop BB298_11 Depth=1
                                        ; =>  This Inner Loop Header: Depth=2
	s_delay_alu instid0(VALU_DEP_3) | instskip(NEXT) | instid1(VALU_DEP_3)
	v_add_co_u32 v58, vcc_lo, v28, s4
	v_add_co_ci_u32_e32 v59, vcc_lo, s5, v29, vcc_lo
	s_delay_alu instid0(VALU_DEP_3)
	v_add_nc_u32_e32 v21, -4, v20
	s_clause 0x1
	global_load_b128 v[30:33], v[24:25], off
	global_load_b128 v[34:37], v[24:25], off offset:-16
	s_clause 0x1
	global_load_b128 v[38:41], v[58:59], off
	global_load_b128 v[42:45], v[58:59], off offset:16
	s_add_u32 s4, s4, 64
	s_addc_u32 s5, s5, 0
	s_cmpk_eq_i32 s4, 0x100
	v_lshlrev_b64 v[46:47], 4, v[21:22]
	v_add_nc_u32_e32 v21, -2, v20
	s_delay_alu instid0(VALU_DEP_2) | instskip(NEXT) | instid1(VALU_DEP_3)
	v_add_co_u32 v50, vcc_lo, s8, v46
	v_add_co_ci_u32_e32 v51, vcc_lo, s9, v47, vcc_lo
	s_clause 0x1
	global_load_b128 v[46:49], v[50:51], off
	global_load_b128 v[50:53], v[50:51], off offset:16
	v_lshlrev_b64 v[60:61], 4, v[21:22]
	global_load_b128 v[54:57], v[58:59], off offset:48
	v_mov_b32_e32 v21, v22
	v_add_co_u32 v66, vcc_lo, s8, v60
	v_add_co_ci_u32_e32 v67, vcc_lo, s9, v61, vcc_lo
	global_load_b128 v[58:61], v[58:59], off offset:32
	s_clause 0x1
	global_load_b128 v[62:65], v[66:67], off
	global_load_b128 v[66:69], v[66:67], off offset:16
	v_lshlrev_b64 v[70:71], 4, v[20:21]
	v_add_nc_u32_e32 v20, 8, v20
	s_delay_alu instid0(VALU_DEP_2) | instskip(NEXT) | instid1(VALU_DEP_3)
	v_add_co_u32 v74, vcc_lo, s8, v70
	v_add_co_ci_u32_e32 v75, vcc_lo, s9, v71, vcc_lo
	s_clause 0x1
	global_load_b128 v[70:73], v[74:75], off
	global_load_b128 v[74:77], v[74:75], off offset:16
	v_add_co_u32 v24, vcc_lo, 0x80, v24
	v_add_co_ci_u32_e32 v25, vcc_lo, 0, v25, vcc_lo
	s_waitcnt vmcnt(9)
	v_fma_f64 v[17:18], v[34:35], v[38:39], v[17:18]
	v_fma_f64 v[11:12], v[36:37], v[38:39], v[11:12]
	;; [unrolled: 1-line block ×4, first 2 shown]
	s_delay_alu instid0(VALU_DEP_4) | instskip(NEXT) | instid1(VALU_DEP_4)
	v_fma_f64 v[17:18], -v[36:37], v[40:41], v[17:18]
	v_fma_f64 v[11:12], v[34:35], v[40:41], v[11:12]
	s_delay_alu instid0(VALU_DEP_4) | instskip(NEXT) | instid1(VALU_DEP_4)
	v_fma_f64 v[13:14], -v[32:33], v[40:41], v[13:14]
	v_fma_f64 v[15:16], v[30:31], v[40:41], v[15:16]
	s_waitcnt vmcnt(7)
	s_delay_alu instid0(VALU_DEP_4) | instskip(NEXT) | instid1(VALU_DEP_4)
	v_fma_f64 v[17:18], v[46:47], v[42:43], v[17:18]
	v_fma_f64 v[11:12], v[48:49], v[42:43], v[11:12]
	s_waitcnt vmcnt(6)
	s_delay_alu instid0(VALU_DEP_4) | instskip(NEXT) | instid1(VALU_DEP_4)
	v_fma_f64 v[13:14], v[50:51], v[42:43], v[13:14]
	v_fma_f64 v[15:16], v[52:53], v[42:43], v[15:16]
	s_delay_alu instid0(VALU_DEP_4) | instskip(NEXT) | instid1(VALU_DEP_4)
	v_fma_f64 v[17:18], -v[48:49], v[44:45], v[17:18]
	v_fma_f64 v[11:12], v[46:47], v[44:45], v[11:12]
	s_delay_alu instid0(VALU_DEP_4) | instskip(NEXT) | instid1(VALU_DEP_4)
	v_fma_f64 v[13:14], -v[52:53], v[44:45], v[13:14]
	v_fma_f64 v[15:16], v[50:51], v[44:45], v[15:16]
	s_waitcnt vmcnt(3)
	s_delay_alu instid0(VALU_DEP_4) | instskip(NEXT) | instid1(VALU_DEP_4)
	v_fma_f64 v[17:18], v[62:63], v[58:59], v[17:18]
	v_fma_f64 v[11:12], v[64:65], v[58:59], v[11:12]
	s_waitcnt vmcnt(2)
	s_delay_alu instid0(VALU_DEP_4) | instskip(NEXT) | instid1(VALU_DEP_4)
	v_fma_f64 v[13:14], v[66:67], v[58:59], v[13:14]
	v_fma_f64 v[15:16], v[68:69], v[58:59], v[15:16]
	;; [unrolled: 14-line block ×3, first 2 shown]
	s_delay_alu instid0(VALU_DEP_4) | instskip(NEXT) | instid1(VALU_DEP_4)
	v_fma_f64 v[17:18], -v[72:73], v[56:57], v[17:18]
	v_fma_f64 v[11:12], v[70:71], v[56:57], v[11:12]
	s_delay_alu instid0(VALU_DEP_4) | instskip(NEXT) | instid1(VALU_DEP_4)
	v_fma_f64 v[13:14], -v[76:77], v[56:57], v[13:14]
	v_fma_f64 v[15:16], v[74:75], v[56:57], v[15:16]
	s_cbranch_scc0 .LBB298_12
; %bb.13:                               ;   in Loop: Header=BB298_11 Depth=1
	v_add_nc_u32_e32 v23, 4, v23
	v_add_nc_u32_e32 v10, 0x80, v10
	;; [unrolled: 1-line block ×3, first 2 shown]
	s_delay_alu instid0(VALU_DEP_3) | instskip(SKIP_1) | instid1(SALU_CYCLE_1)
	v_cmp_ge_i32_e32 vcc_lo, v23, v27
	s_or_b32 s14, vcc_lo, s14
	s_and_not1_b32 exec_lo, exec_lo, s14
	s_cbranch_execnz .LBB298_11
; %bb.14:
	s_or_b32 exec_lo, exec_lo, s14
.LBB298_15:
	s_delay_alu instid0(SALU_CYCLE_1)
	s_or_b32 exec_lo, exec_lo, s1
	s_cbranch_execz .LBB298_17
	s_branch .LBB298_24
.LBB298_16:
                                        ; implicit-def: $vgpr11_vgpr12
                                        ; implicit-def: $vgpr17_vgpr18
                                        ; implicit-def: $vgpr13_vgpr14
                                        ; implicit-def: $vgpr15_vgpr16
.LBB298_17:
	v_mov_b32_e32 v11, 0
	v_mov_b32_e32 v12, 0
	s_delay_alu instid0(VALU_DEP_1)
	v_dual_mov_b32 v18, v12 :: v_dual_mov_b32 v17, v11
	v_dual_mov_b32 v14, v12 :: v_dual_mov_b32 v13, v11
	;; [unrolled: 1-line block ×3, first 2 shown]
	s_and_saveexec_b32 s4, s0
	s_cbranch_execz .LBB298_23
; %bb.18:
	v_dual_mov_b32 v11, 0 :: v_dual_mov_b32 v20, 0
	v_dual_mov_b32 v12, 0 :: v_dual_lshlrev_b32 v19, 5, v9
	s_mov_b32 s5, 0
	s_delay_alu instid0(VALU_DEP_1)
	v_dual_mov_b32 v18, v12 :: v_dual_mov_b32 v17, v11
	v_dual_mov_b32 v14, v12 :: v_dual_mov_b32 v13, v11
	;; [unrolled: 1-line block ×3, first 2 shown]
.LBB298_19:                             ; =>This Loop Header: Depth=1
                                        ;     Child Loop BB298_20 Depth 2
	v_ashrrev_i32_e32 v10, 31, v9
	v_lshlrev_b64 v[23:24], 4, v[19:20]
	s_mov_b64 s[0:1], 0
	s_delay_alu instid0(VALU_DEP_2) | instskip(NEXT) | instid1(VALU_DEP_1)
	v_lshlrev_b64 v[21:22], 2, v[9:10]
	v_add_co_u32 v21, vcc_lo, s6, v21
	s_delay_alu instid0(VALU_DEP_2) | instskip(SKIP_3) | instid1(VALU_DEP_1)
	v_add_co_ci_u32_e32 v22, vcc_lo, s7, v22, vcc_lo
	global_load_b32 v10, v[21:22], off
	s_waitcnt vmcnt(0)
	v_subrev_nc_u32_e32 v10, s12, v10
	v_dual_mov_b32 v22, v20 :: v_dual_lshlrev_b32 v21, 4, v10
	v_add_co_u32 v10, vcc_lo, s8, v23
	s_delay_alu instid0(VALU_DEP_2) | instskip(SKIP_1) | instid1(VALU_DEP_2)
	v_lshlrev_b64 v[28:29], 4, v[21:22]
	v_add_co_ci_u32_e32 v21, vcc_lo, s9, v24, vcc_lo
	v_add_co_u32 v22, vcc_lo, s10, v28
	s_delay_alu instid0(VALU_DEP_3)
	v_add_co_ci_u32_e32 v23, vcc_lo, s11, v29, vcc_lo
.LBB298_20:                             ;   Parent Loop BB298_19 Depth=1
                                        ; =>  This Inner Loop Header: Depth=2
	v_add_co_u32 v24, vcc_lo, v10, s0
	s_delay_alu instid0(VALU_DEP_4) | instskip(NEXT) | instid1(VALU_DEP_4)
	v_add_co_ci_u32_e32 v25, vcc_lo, s1, v21, vcc_lo
	v_add_co_u32 v68, vcc_lo, v22, s0
	s_delay_alu instid0(VALU_DEP_4)
	v_add_co_ci_u32_e32 v69, vcc_lo, s1, v23, vcc_lo
	s_add_u32 s0, s0, 64
	global_load_b128 v[28:31], v[24:25], off
	global_load_b128 v[32:35], v[68:69], off
	s_clause 0x1
	global_load_b128 v[36:39], v[24:25], off offset:256
	global_load_b128 v[40:43], v[24:25], off offset:16
	global_load_b128 v[44:47], v[68:69], off offset:16
	s_clause 0x1
	global_load_b128 v[48:51], v[24:25], off offset:272
	global_load_b128 v[52:55], v[24:25], off offset:32
	global_load_b128 v[56:59], v[68:69], off offset:32
	;; [unrolled: 4-line block ×3, first 2 shown]
	global_load_b128 v[72:75], v[24:25], off offset:304
	s_addc_u32 s1, s1, 0
	s_cmpk_eq_i32 s0, 0x100
	s_waitcnt vmcnt(10)
	v_fma_f64 v[17:18], v[28:29], v[32:33], v[17:18]
	v_fma_f64 v[11:12], v[30:31], v[32:33], v[11:12]
	s_waitcnt vmcnt(9)
	v_fma_f64 v[13:14], v[36:37], v[32:33], v[13:14]
	v_fma_f64 v[15:16], v[38:39], v[32:33], v[15:16]
	s_delay_alu instid0(VALU_DEP_4) | instskip(NEXT) | instid1(VALU_DEP_4)
	v_fma_f64 v[17:18], -v[30:31], v[34:35], v[17:18]
	v_fma_f64 v[11:12], v[28:29], v[34:35], v[11:12]
	s_delay_alu instid0(VALU_DEP_4) | instskip(NEXT) | instid1(VALU_DEP_4)
	v_fma_f64 v[13:14], -v[38:39], v[34:35], v[13:14]
	v_fma_f64 v[15:16], v[36:37], v[34:35], v[15:16]
	s_waitcnt vmcnt(7)
	s_delay_alu instid0(VALU_DEP_4) | instskip(NEXT) | instid1(VALU_DEP_4)
	v_fma_f64 v[17:18], v[40:41], v[44:45], v[17:18]
	v_fma_f64 v[11:12], v[42:43], v[44:45], v[11:12]
	s_waitcnt vmcnt(6)
	s_delay_alu instid0(VALU_DEP_4) | instskip(NEXT) | instid1(VALU_DEP_4)
	v_fma_f64 v[13:14], v[48:49], v[44:45], v[13:14]
	v_fma_f64 v[15:16], v[50:51], v[44:45], v[15:16]
	s_delay_alu instid0(VALU_DEP_4) | instskip(NEXT) | instid1(VALU_DEP_4)
	v_fma_f64 v[17:18], -v[42:43], v[46:47], v[17:18]
	v_fma_f64 v[11:12], v[40:41], v[46:47], v[11:12]
	s_delay_alu instid0(VALU_DEP_4) | instskip(NEXT) | instid1(VALU_DEP_4)
	v_fma_f64 v[13:14], -v[50:51], v[46:47], v[13:14]
	v_fma_f64 v[15:16], v[48:49], v[46:47], v[15:16]
	s_waitcnt vmcnt(4)
	s_delay_alu instid0(VALU_DEP_4) | instskip(NEXT) | instid1(VALU_DEP_4)
	v_fma_f64 v[17:18], v[52:53], v[56:57], v[17:18]
	v_fma_f64 v[11:12], v[54:55], v[56:57], v[11:12]
	s_waitcnt vmcnt(3)
	s_delay_alu instid0(VALU_DEP_4) | instskip(NEXT) | instid1(VALU_DEP_4)
	;; [unrolled: 14-line block ×3, first 2 shown]
	v_fma_f64 v[13:14], v[72:73], v[68:69], v[13:14]
	v_fma_f64 v[15:16], v[74:75], v[68:69], v[15:16]
	s_delay_alu instid0(VALU_DEP_4) | instskip(NEXT) | instid1(VALU_DEP_4)
	v_fma_f64 v[17:18], -v[66:67], v[70:71], v[17:18]
	v_fma_f64 v[11:12], v[64:65], v[70:71], v[11:12]
	s_delay_alu instid0(VALU_DEP_4) | instskip(NEXT) | instid1(VALU_DEP_4)
	v_fma_f64 v[13:14], -v[74:75], v[70:71], v[13:14]
	v_fma_f64 v[15:16], v[72:73], v[70:71], v[15:16]
	s_cbranch_scc0 .LBB298_20
; %bb.21:                               ;   in Loop: Header=BB298_19 Depth=1
	v_add_nc_u32_e32 v9, 4, v9
	v_add_nc_u32_e32 v19, 0x80, v19
	s_delay_alu instid0(VALU_DEP_2) | instskip(SKIP_1) | instid1(SALU_CYCLE_1)
	v_cmp_ge_i32_e32 vcc_lo, v9, v27
	s_or_b32 s5, vcc_lo, s5
	s_and_not1_b32 exec_lo, exec_lo, s5
	s_cbranch_execnz .LBB298_19
; %bb.22:
	s_or_b32 exec_lo, exec_lo, s5
.LBB298_23:
	s_delay_alu instid0(SALU_CYCLE_1)
	s_or_b32 exec_lo, exec_lo, s4
.LBB298_24:
	v_mbcnt_lo_u32_b32 v25, -1, 0
	s_delay_alu instid0(VALU_DEP_1) | instskip(NEXT) | instid1(VALU_DEP_1)
	v_xor_b32_e32 v9, 2, v25
	v_cmp_gt_i32_e32 vcc_lo, 32, v9
	v_cndmask_b32_e32 v9, v25, v9, vcc_lo
	s_delay_alu instid0(VALU_DEP_1)
	v_lshlrev_b32_e32 v24, 2, v9
	ds_bpermute_b32 v9, v24, v17
	ds_bpermute_b32 v10, v24, v18
	ds_bpermute_b32 v19, v24, v11
	ds_bpermute_b32 v20, v24, v12
	ds_bpermute_b32 v21, v24, v13
	ds_bpermute_b32 v22, v24, v14
	ds_bpermute_b32 v23, v24, v15
	ds_bpermute_b32 v24, v24, v16
	s_waitcnt lgkmcnt(6)
	v_add_f64 v[9:10], v[17:18], v[9:10]
	s_waitcnt lgkmcnt(4)
	v_add_f64 v[17:18], v[11:12], v[19:20]
	;; [unrolled: 2-line block ×4, first 2 shown]
	v_xor_b32_e32 v15, 1, v25
	s_delay_alu instid0(VALU_DEP_1) | instskip(SKIP_2) | instid1(VALU_DEP_2)
	v_cmp_gt_i32_e32 vcc_lo, 32, v15
	v_cndmask_b32_e32 v15, v25, v15, vcc_lo
	v_cmp_eq_u32_e32 vcc_lo, 3, v26
	v_lshlrev_b32_e32 v22, 2, v15
	ds_bpermute_b32 v23, v22, v9
	ds_bpermute_b32 v24, v22, v10
	;; [unrolled: 1-line block ×8, first 2 shown]
	s_and_b32 exec_lo, exec_lo, vcc_lo
	s_cbranch_execz .LBB298_29
; %bb.25:
	v_cmp_eq_f64_e32 vcc_lo, 0, v[4:5]
	v_cmp_eq_f64_e64 s0, 0, v[6:7]
	s_waitcnt lgkmcnt(6)
	v_add_f64 v[9:10], v[9:10], v[23:24]
	s_waitcnt lgkmcnt(4)
	v_add_f64 v[15:16], v[17:18], v[15:16]
	;; [unrolled: 2-line block ×4, first 2 shown]
	s_load_b64 s[2:3], s[2:3], 0x48
	s_and_b32 s0, vcc_lo, s0
	s_delay_alu instid0(SALU_CYCLE_1) | instskip(NEXT) | instid1(SALU_CYCLE_1)
	s_and_saveexec_b32 s1, s0
	s_xor_b32 s0, exec_lo, s1
	s_cbranch_execz .LBB298_27
; %bb.26:
	s_delay_alu instid0(VALU_DEP_3) | instskip(SKIP_1) | instid1(VALU_DEP_3)
	v_mul_f64 v[4:5], v[15:16], -v[2:3]
	v_mul_f64 v[6:7], v[0:1], v[15:16]
	v_mul_f64 v[15:16], v[13:14], -v[2:3]
	v_mul_f64 v[13:14], v[0:1], v[13:14]
	v_lshlrev_b32_e32 v8, 1, v8
	v_fma_f64 v[4:5], v[0:1], v[9:10], v[4:5]
	v_fma_f64 v[6:7], v[2:3], v[9:10], v[6:7]
	;; [unrolled: 1-line block ×4, first 2 shown]
	v_ashrrev_i32_e32 v9, 31, v8
                                        ; implicit-def: $vgpr15_vgpr16
                                        ; implicit-def: $vgpr11_vgpr12
                                        ; implicit-def: $vgpr13_vgpr14
	s_delay_alu instid0(VALU_DEP_1) | instskip(SKIP_1) | instid1(VALU_DEP_1)
	v_lshlrev_b64 v[8:9], 4, v[8:9]
	s_waitcnt lgkmcnt(0)
	v_add_co_u32 v8, vcc_lo, s2, v8
	s_delay_alu instid0(VALU_DEP_2)
	v_add_co_ci_u32_e32 v9, vcc_lo, s3, v9, vcc_lo
	s_clause 0x1
	global_store_b128 v[8:9], v[4:7], off
	global_store_b128 v[8:9], v[0:3], off offset:16
                                        ; implicit-def: $vgpr0_vgpr1
                                        ; implicit-def: $vgpr2_vgpr3
                                        ; implicit-def: $vgpr4_vgpr5
                                        ; implicit-def: $vgpr6_vgpr7
                                        ; implicit-def: $vgpr8
                                        ; implicit-def: $vgpr9_vgpr10
.LBB298_27:
	s_and_not1_saveexec_b32 s0, s0
	s_cbranch_execz .LBB298_29
; %bb.28:
	v_lshlrev_b32_e32 v17, 1, v8
	s_delay_alu instid0(VALU_DEP_4) | instskip(SKIP_1) | instid1(VALU_DEP_4)
	v_mul_f64 v[27:28], v[15:16], -v[2:3]
	v_mul_f64 v[15:16], v[0:1], v[15:16]
	v_mul_f64 v[29:30], v[13:14], -v[2:3]
	v_mul_f64 v[13:14], v[0:1], v[13:14]
	v_ashrrev_i32_e32 v18, 31, v17
	s_delay_alu instid0(VALU_DEP_1) | instskip(SKIP_1) | instid1(VALU_DEP_1)
	v_lshlrev_b64 v[17:18], 4, v[17:18]
	s_waitcnt lgkmcnt(0)
	v_add_co_u32 v25, vcc_lo, s2, v17
	s_delay_alu instid0(VALU_DEP_2)
	v_add_co_ci_u32_e32 v26, vcc_lo, s3, v18, vcc_lo
	s_clause 0x1
	global_load_b128 v[17:20], v[25:26], off
	global_load_b128 v[21:24], v[25:26], off offset:16
	v_fma_f64 v[27:28], v[0:1], v[9:10], v[27:28]
	v_fma_f64 v[8:9], v[2:3], v[9:10], v[15:16]
	;; [unrolled: 1-line block ×4, first 2 shown]
	s_waitcnt vmcnt(1)
	s_delay_alu instid0(VALU_DEP_4) | instskip(NEXT) | instid1(VALU_DEP_4)
	v_fma_f64 v[10:11], v[4:5], v[17:18], v[27:28]
	v_fma_f64 v[8:9], v[6:7], v[17:18], v[8:9]
	s_waitcnt vmcnt(0)
	s_delay_alu instid0(VALU_DEP_4) | instskip(NEXT) | instid1(VALU_DEP_4)
	v_fma_f64 v[12:13], v[4:5], v[21:22], v[0:1]
	v_fma_f64 v[14:15], v[6:7], v[21:22], v[2:3]
	s_delay_alu instid0(VALU_DEP_4) | instskip(NEXT) | instid1(VALU_DEP_4)
	v_fma_f64 v[0:1], -v[6:7], v[19:20], v[10:11]
	v_fma_f64 v[2:3], v[4:5], v[19:20], v[8:9]
	s_delay_alu instid0(VALU_DEP_4) | instskip(NEXT) | instid1(VALU_DEP_4)
	v_fma_f64 v[6:7], -v[6:7], v[23:24], v[12:13]
	v_fma_f64 v[8:9], v[4:5], v[23:24], v[14:15]
	s_clause 0x1
	global_store_b128 v[25:26], v[0:3], off
	global_store_b128 v[25:26], v[6:9], off offset:16
.LBB298_29:
	s_nop 0
	s_sendmsg sendmsg(MSG_DEALLOC_VGPRS)
	s_endpgm
	.section	.rodata,"a",@progbits
	.p2align	6, 0x0
	.amdhsa_kernel _ZN9rocsparseL19gebsrmvn_2xn_kernelILj128ELj16ELj4E21rocsparse_complex_numIdEEEvi20rocsparse_direction_NS_24const_host_device_scalarIT2_EEPKiS8_PKS5_SA_S6_PS5_21rocsparse_index_base_b
		.amdhsa_group_segment_fixed_size 2048
		.amdhsa_private_segment_fixed_size 0
		.amdhsa_kernarg_size 88
		.amdhsa_user_sgpr_count 15
		.amdhsa_user_sgpr_dispatch_ptr 1
		.amdhsa_user_sgpr_queue_ptr 0
		.amdhsa_user_sgpr_kernarg_segment_ptr 1
		.amdhsa_user_sgpr_dispatch_id 0
		.amdhsa_user_sgpr_private_segment_size 0
		.amdhsa_wavefront_size32 1
		.amdhsa_uses_dynamic_stack 0
		.amdhsa_enable_private_segment 0
		.amdhsa_system_sgpr_workgroup_id_x 1
		.amdhsa_system_sgpr_workgroup_id_y 0
		.amdhsa_system_sgpr_workgroup_id_z 0
		.amdhsa_system_sgpr_workgroup_info 0
		.amdhsa_system_vgpr_workitem_id 2
		.amdhsa_next_free_vgpr 78
		.amdhsa_next_free_sgpr 18
		.amdhsa_reserve_vcc 1
		.amdhsa_float_round_mode_32 0
		.amdhsa_float_round_mode_16_64 0
		.amdhsa_float_denorm_mode_32 3
		.amdhsa_float_denorm_mode_16_64 3
		.amdhsa_dx10_clamp 1
		.amdhsa_ieee_mode 1
		.amdhsa_fp16_overflow 0
		.amdhsa_workgroup_processor_mode 1
		.amdhsa_memory_ordered 1
		.amdhsa_forward_progress 0
		.amdhsa_shared_vgpr_count 0
		.amdhsa_exception_fp_ieee_invalid_op 0
		.amdhsa_exception_fp_denorm_src 0
		.amdhsa_exception_fp_ieee_div_zero 0
		.amdhsa_exception_fp_ieee_overflow 0
		.amdhsa_exception_fp_ieee_underflow 0
		.amdhsa_exception_fp_ieee_inexact 0
		.amdhsa_exception_int_div_zero 0
	.end_amdhsa_kernel
	.section	.text._ZN9rocsparseL19gebsrmvn_2xn_kernelILj128ELj16ELj4E21rocsparse_complex_numIdEEEvi20rocsparse_direction_NS_24const_host_device_scalarIT2_EEPKiS8_PKS5_SA_S6_PS5_21rocsparse_index_base_b,"axG",@progbits,_ZN9rocsparseL19gebsrmvn_2xn_kernelILj128ELj16ELj4E21rocsparse_complex_numIdEEEvi20rocsparse_direction_NS_24const_host_device_scalarIT2_EEPKiS8_PKS5_SA_S6_PS5_21rocsparse_index_base_b,comdat
.Lfunc_end298:
	.size	_ZN9rocsparseL19gebsrmvn_2xn_kernelILj128ELj16ELj4E21rocsparse_complex_numIdEEEvi20rocsparse_direction_NS_24const_host_device_scalarIT2_EEPKiS8_PKS5_SA_S6_PS5_21rocsparse_index_base_b, .Lfunc_end298-_ZN9rocsparseL19gebsrmvn_2xn_kernelILj128ELj16ELj4E21rocsparse_complex_numIdEEEvi20rocsparse_direction_NS_24const_host_device_scalarIT2_EEPKiS8_PKS5_SA_S6_PS5_21rocsparse_index_base_b
                                        ; -- End function
	.section	.AMDGPU.csdata,"",@progbits
; Kernel info:
; codeLenInByte = 2800
; NumSgprs: 20
; NumVgprs: 78
; ScratchSize: 0
; MemoryBound: 1
; FloatMode: 240
; IeeeMode: 1
; LDSByteSize: 2048 bytes/workgroup (compile time only)
; SGPRBlocks: 2
; VGPRBlocks: 9
; NumSGPRsForWavesPerEU: 20
; NumVGPRsForWavesPerEU: 78
; Occupancy: 16
; WaveLimiterHint : 1
; COMPUTE_PGM_RSRC2:SCRATCH_EN: 0
; COMPUTE_PGM_RSRC2:USER_SGPR: 15
; COMPUTE_PGM_RSRC2:TRAP_HANDLER: 0
; COMPUTE_PGM_RSRC2:TGID_X_EN: 1
; COMPUTE_PGM_RSRC2:TGID_Y_EN: 0
; COMPUTE_PGM_RSRC2:TGID_Z_EN: 0
; COMPUTE_PGM_RSRC2:TIDIG_COMP_CNT: 2
	.section	.text._ZN9rocsparseL19gebsrmvn_2xn_kernelILj128ELj16ELj8E21rocsparse_complex_numIdEEEvi20rocsparse_direction_NS_24const_host_device_scalarIT2_EEPKiS8_PKS5_SA_S6_PS5_21rocsparse_index_base_b,"axG",@progbits,_ZN9rocsparseL19gebsrmvn_2xn_kernelILj128ELj16ELj8E21rocsparse_complex_numIdEEEvi20rocsparse_direction_NS_24const_host_device_scalarIT2_EEPKiS8_PKS5_SA_S6_PS5_21rocsparse_index_base_b,comdat
	.globl	_ZN9rocsparseL19gebsrmvn_2xn_kernelILj128ELj16ELj8E21rocsparse_complex_numIdEEEvi20rocsparse_direction_NS_24const_host_device_scalarIT2_EEPKiS8_PKS5_SA_S6_PS5_21rocsparse_index_base_b ; -- Begin function _ZN9rocsparseL19gebsrmvn_2xn_kernelILj128ELj16ELj8E21rocsparse_complex_numIdEEEvi20rocsparse_direction_NS_24const_host_device_scalarIT2_EEPKiS8_PKS5_SA_S6_PS5_21rocsparse_index_base_b
	.p2align	8
	.type	_ZN9rocsparseL19gebsrmvn_2xn_kernelILj128ELj16ELj8E21rocsparse_complex_numIdEEEvi20rocsparse_direction_NS_24const_host_device_scalarIT2_EEPKiS8_PKS5_SA_S6_PS5_21rocsparse_index_base_b,@function
_ZN9rocsparseL19gebsrmvn_2xn_kernelILj128ELj16ELj8E21rocsparse_complex_numIdEEEvi20rocsparse_direction_NS_24const_host_device_scalarIT2_EEPKiS8_PKS5_SA_S6_PS5_21rocsparse_index_base_b: ; @_ZN9rocsparseL19gebsrmvn_2xn_kernelILj128ELj16ELj8E21rocsparse_complex_numIdEEEvi20rocsparse_direction_NS_24const_host_device_scalarIT2_EEPKiS8_PKS5_SA_S6_PS5_21rocsparse_index_base_b
; %bb.0:
	s_load_b64 s[12:13], s[2:3], 0x50
	s_load_b64 s[16:17], s[0:1], 0x4
	s_load_b128 s[8:11], s[2:3], 0x8
	v_bfe_u32 v1, v0, 10, 10
	s_mov_b64 s[0:1], src_shared_base
	s_load_b128 s[4:7], s[2:3], 0x38
	v_and_b32_e32 v10, 0x3ff, v0
	v_bfe_u32 v0, v0, 20, 10
	s_waitcnt lgkmcnt(0)
	s_bitcmp1_b32 s13, 0
	v_mul_u32_u24_e32 v1, s17, v1
	s_cselect_b32 s0, -1, 0
	s_delay_alu instid0(SALU_CYCLE_1)
	s_and_b32 vcc_lo, s0, exec_lo
	s_cselect_b32 s13, s1, s9
	s_lshr_b32 s14, s16, 16
	v_dual_mov_b32 v2, s4 :: v_dual_mov_b32 v3, s5
	s_mul_i32 s14, s14, s17
	v_mov_b32_e32 v6, s13
	v_mad_u32_u24 v1, s14, v10, v1
	s_delay_alu instid0(VALU_DEP_1) | instskip(SKIP_1) | instid1(VALU_DEP_2)
	v_add_lshl_u32 v4, v1, v0, 3
	v_dual_mov_b32 v0, s8 :: v_dual_mov_b32 v1, s9
	v_add_nc_u32_e32 v5, 0x400, v4
	ds_store_2addr_stride64_b64 v4, v[2:3], v[0:1] offset1:2
	v_dual_mov_b32 v2, s10 :: v_dual_mov_b32 v3, s11
	v_cndmask_b32_e64 v5, s8, v5, s0
	s_xor_b32 s10, s0, -1
	flat_load_b64 v[0:1], v[5:6]
	s_cbranch_vccnz .LBB299_2
; %bb.1:
	v_dual_mov_b32 v2, s8 :: v_dual_mov_b32 v3, s9
	flat_load_b64 v[2:3], v[2:3] offset:8
.LBB299_2:
	s_and_b32 s8, s0, exec_lo
	s_cselect_b32 s1, s1, s5
	v_cndmask_b32_e64 v4, s4, v4, s0
	v_dual_mov_b32 v5, s1 :: v_dual_mov_b32 v6, s6
	v_mov_b32_e32 v7, s7
	s_and_not1_b32 vcc_lo, exec_lo, s10
	flat_load_b64 v[4:5], v[4:5]
	s_cbranch_vccnz .LBB299_4
; %bb.3:
	v_dual_mov_b32 v7, s5 :: v_dual_mov_b32 v6, s4
	flat_load_b64 v[6:7], v[6:7] offset:8
.LBB299_4:
	s_waitcnt vmcnt(1) lgkmcnt(1)
	v_cmp_eq_f64_e32 vcc_lo, 0, v[0:1]
	v_cmp_eq_f64_e64 s0, 0, v[2:3]
	s_delay_alu instid0(VALU_DEP_1)
	s_and_b32 s4, vcc_lo, s0
	s_mov_b32 s0, -1
	s_and_saveexec_b32 s1, s4
	s_cbranch_execz .LBB299_6
; %bb.5:
	s_waitcnt vmcnt(0) lgkmcnt(0)
	v_cmp_neq_f64_e32 vcc_lo, 1.0, v[4:5]
	v_cmp_neq_f64_e64 s0, 0, v[6:7]
	s_delay_alu instid0(VALU_DEP_1) | instskip(NEXT) | instid1(SALU_CYCLE_1)
	s_or_b32 s0, vcc_lo, s0
	s_or_not1_b32 s0, s0, exec_lo
.LBB299_6:
	s_or_b32 exec_lo, exec_lo, s1
	s_and_saveexec_b32 s1, s0
	s_cbranch_execz .LBB299_29
; %bb.7:
	s_load_b64 s[0:1], s[2:3], 0x0
	v_lshrrev_b32_e32 v8, 3, v10
	s_delay_alu instid0(VALU_DEP_1) | instskip(SKIP_1) | instid1(VALU_DEP_1)
	v_lshl_or_b32 v8, s15, 4, v8
	s_waitcnt lgkmcnt(0)
	v_cmp_gt_i32_e32 vcc_lo, s0, v8
	s_and_b32 exec_lo, exec_lo, vcc_lo
	s_cbranch_execz .LBB299_29
; %bb.8:
	s_load_b256 s[4:11], s[2:3], 0x18
	v_ashrrev_i32_e32 v9, 31, v8
	v_and_b32_e32 v26, 7, v10
	s_cmp_lg_u32 s1, 0
	s_delay_alu instid0(VALU_DEP_2) | instskip(SKIP_1) | instid1(VALU_DEP_1)
	v_lshlrev_b64 v[11:12], 2, v[8:9]
	s_waitcnt lgkmcnt(0)
	v_add_co_u32 v11, vcc_lo, s4, v11
	s_delay_alu instid0(VALU_DEP_2) | instskip(SKIP_4) | instid1(VALU_DEP_2)
	v_add_co_ci_u32_e32 v12, vcc_lo, s5, v12, vcc_lo
	global_load_b64 v[11:12], v[11:12], off
	s_waitcnt vmcnt(0)
	v_subrev_nc_u32_e32 v9, s12, v11
	v_subrev_nc_u32_e32 v27, s12, v12
	v_add_nc_u32_e32 v9, v9, v26
	s_delay_alu instid0(VALU_DEP_1)
	v_cmp_lt_i32_e64 s0, v9, v27
	s_cbranch_scc0 .LBB299_16
; %bb.9:
	v_mov_b32_e32 v11, 0
	v_mov_b32_e32 v12, 0
	s_delay_alu instid0(VALU_DEP_1)
	v_dual_mov_b32 v18, v12 :: v_dual_mov_b32 v17, v11
	v_dual_mov_b32 v14, v12 :: v_dual_mov_b32 v13, v11
	;; [unrolled: 1-line block ×3, first 2 shown]
	s_and_saveexec_b32 s1, s0
	s_cbranch_execz .LBB299_15
; %bb.10:
	v_dual_mov_b32 v11, 0 :: v_dual_mov_b32 v22, 0
	v_dual_mov_b32 v12, 0 :: v_dual_lshlrev_b32 v19, 5, v9
	v_mov_b32_e32 v23, v9
	s_add_u32 s13, s8, 16
	s_addc_u32 s15, s9, 0
	s_delay_alu instid0(VALU_DEP_2)
	v_or_b32_e32 v10, 6, v19
	v_dual_mov_b32 v18, v12 :: v_dual_mov_b32 v17, v11
	v_dual_mov_b32 v14, v12 :: v_dual_mov_b32 v13, v11
	;; [unrolled: 1-line block ×3, first 2 shown]
	s_mov_b32 s14, 0
.LBB299_11:                             ; =>This Loop Header: Depth=1
                                        ;     Child Loop BB299_12 Depth 2
	v_ashrrev_i32_e32 v24, 31, v23
	s_mov_b64 s[4:5], 0
	s_delay_alu instid0(VALU_DEP_1) | instskip(NEXT) | instid1(VALU_DEP_1)
	v_lshlrev_b64 v[20:21], 2, v[23:24]
	v_add_co_u32 v20, vcc_lo, s6, v20
	s_delay_alu instid0(VALU_DEP_2) | instskip(SKIP_3) | instid1(VALU_DEP_1)
	v_add_co_ci_u32_e32 v21, vcc_lo, s7, v21, vcc_lo
	global_load_b32 v20, v[20:21], off
	s_waitcnt vmcnt(0)
	v_subrev_nc_u32_e32 v21, s12, v20
	v_dual_mov_b32 v20, v22 :: v_dual_lshlrev_b32 v21, 4, v21
	s_delay_alu instid0(VALU_DEP_1) | instskip(NEXT) | instid1(VALU_DEP_2)
	v_lshlrev_b64 v[24:25], 4, v[19:20]
	v_lshlrev_b64 v[20:21], 4, v[21:22]
	s_delay_alu instid0(VALU_DEP_2) | instskip(NEXT) | instid1(VALU_DEP_3)
	v_add_co_u32 v24, vcc_lo, s13, v24
	v_add_co_ci_u32_e32 v25, vcc_lo, s15, v25, vcc_lo
	s_delay_alu instid0(VALU_DEP_3) | instskip(NEXT) | instid1(VALU_DEP_4)
	v_add_co_u32 v28, vcc_lo, s10, v20
	v_add_co_ci_u32_e32 v29, vcc_lo, s11, v21, vcc_lo
	v_mov_b32_e32 v20, v10
.LBB299_12:                             ;   Parent Loop BB299_11 Depth=1
                                        ; =>  This Inner Loop Header: Depth=2
	s_delay_alu instid0(VALU_DEP_3) | instskip(NEXT) | instid1(VALU_DEP_3)
	v_add_co_u32 v58, vcc_lo, v28, s4
	v_add_co_ci_u32_e32 v59, vcc_lo, s5, v29, vcc_lo
	s_delay_alu instid0(VALU_DEP_3)
	v_add_nc_u32_e32 v21, -4, v20
	s_clause 0x1
	global_load_b128 v[30:33], v[24:25], off
	global_load_b128 v[34:37], v[24:25], off offset:-16
	s_clause 0x1
	global_load_b128 v[38:41], v[58:59], off
	global_load_b128 v[42:45], v[58:59], off offset:16
	s_add_u32 s4, s4, 64
	s_addc_u32 s5, s5, 0
	s_cmpk_eq_i32 s4, 0x100
	v_lshlrev_b64 v[46:47], 4, v[21:22]
	v_add_nc_u32_e32 v21, -2, v20
	s_delay_alu instid0(VALU_DEP_2) | instskip(NEXT) | instid1(VALU_DEP_3)
	v_add_co_u32 v50, vcc_lo, s8, v46
	v_add_co_ci_u32_e32 v51, vcc_lo, s9, v47, vcc_lo
	s_clause 0x1
	global_load_b128 v[46:49], v[50:51], off
	global_load_b128 v[50:53], v[50:51], off offset:16
	v_lshlrev_b64 v[60:61], 4, v[21:22]
	global_load_b128 v[54:57], v[58:59], off offset:48
	v_mov_b32_e32 v21, v22
	v_add_co_u32 v66, vcc_lo, s8, v60
	v_add_co_ci_u32_e32 v67, vcc_lo, s9, v61, vcc_lo
	global_load_b128 v[58:61], v[58:59], off offset:32
	s_clause 0x1
	global_load_b128 v[62:65], v[66:67], off
	global_load_b128 v[66:69], v[66:67], off offset:16
	v_lshlrev_b64 v[70:71], 4, v[20:21]
	v_add_nc_u32_e32 v20, 8, v20
	s_delay_alu instid0(VALU_DEP_2) | instskip(NEXT) | instid1(VALU_DEP_3)
	v_add_co_u32 v74, vcc_lo, s8, v70
	v_add_co_ci_u32_e32 v75, vcc_lo, s9, v71, vcc_lo
	s_clause 0x1
	global_load_b128 v[70:73], v[74:75], off
	global_load_b128 v[74:77], v[74:75], off offset:16
	v_add_co_u32 v24, vcc_lo, 0x80, v24
	v_add_co_ci_u32_e32 v25, vcc_lo, 0, v25, vcc_lo
	s_waitcnt vmcnt(9)
	v_fma_f64 v[17:18], v[34:35], v[38:39], v[17:18]
	v_fma_f64 v[11:12], v[36:37], v[38:39], v[11:12]
	;; [unrolled: 1-line block ×4, first 2 shown]
	s_delay_alu instid0(VALU_DEP_4) | instskip(NEXT) | instid1(VALU_DEP_4)
	v_fma_f64 v[17:18], -v[36:37], v[40:41], v[17:18]
	v_fma_f64 v[11:12], v[34:35], v[40:41], v[11:12]
	s_delay_alu instid0(VALU_DEP_4) | instskip(NEXT) | instid1(VALU_DEP_4)
	v_fma_f64 v[13:14], -v[32:33], v[40:41], v[13:14]
	v_fma_f64 v[15:16], v[30:31], v[40:41], v[15:16]
	s_waitcnt vmcnt(7)
	s_delay_alu instid0(VALU_DEP_4) | instskip(NEXT) | instid1(VALU_DEP_4)
	v_fma_f64 v[17:18], v[46:47], v[42:43], v[17:18]
	v_fma_f64 v[11:12], v[48:49], v[42:43], v[11:12]
	s_waitcnt vmcnt(6)
	s_delay_alu instid0(VALU_DEP_4) | instskip(NEXT) | instid1(VALU_DEP_4)
	v_fma_f64 v[13:14], v[50:51], v[42:43], v[13:14]
	v_fma_f64 v[15:16], v[52:53], v[42:43], v[15:16]
	s_delay_alu instid0(VALU_DEP_4) | instskip(NEXT) | instid1(VALU_DEP_4)
	v_fma_f64 v[17:18], -v[48:49], v[44:45], v[17:18]
	v_fma_f64 v[11:12], v[46:47], v[44:45], v[11:12]
	s_delay_alu instid0(VALU_DEP_4) | instskip(NEXT) | instid1(VALU_DEP_4)
	v_fma_f64 v[13:14], -v[52:53], v[44:45], v[13:14]
	v_fma_f64 v[15:16], v[50:51], v[44:45], v[15:16]
	s_waitcnt vmcnt(3)
	s_delay_alu instid0(VALU_DEP_4) | instskip(NEXT) | instid1(VALU_DEP_4)
	v_fma_f64 v[17:18], v[62:63], v[58:59], v[17:18]
	v_fma_f64 v[11:12], v[64:65], v[58:59], v[11:12]
	s_waitcnt vmcnt(2)
	s_delay_alu instid0(VALU_DEP_4) | instskip(NEXT) | instid1(VALU_DEP_4)
	v_fma_f64 v[13:14], v[66:67], v[58:59], v[13:14]
	v_fma_f64 v[15:16], v[68:69], v[58:59], v[15:16]
	s_delay_alu instid0(VALU_DEP_4) | instskip(NEXT) | instid1(VALU_DEP_4)
	v_fma_f64 v[17:18], -v[64:65], v[60:61], v[17:18]
	v_fma_f64 v[11:12], v[62:63], v[60:61], v[11:12]
	s_delay_alu instid0(VALU_DEP_4) | instskip(NEXT) | instid1(VALU_DEP_4)
	v_fma_f64 v[13:14], -v[68:69], v[60:61], v[13:14]
	v_fma_f64 v[15:16], v[66:67], v[60:61], v[15:16]
	s_waitcnt vmcnt(1)
	s_delay_alu instid0(VALU_DEP_4) | instskip(NEXT) | instid1(VALU_DEP_4)
	v_fma_f64 v[17:18], v[70:71], v[54:55], v[17:18]
	v_fma_f64 v[11:12], v[72:73], v[54:55], v[11:12]
	s_waitcnt vmcnt(0)
	s_delay_alu instid0(VALU_DEP_4) | instskip(NEXT) | instid1(VALU_DEP_4)
	v_fma_f64 v[13:14], v[74:75], v[54:55], v[13:14]
	v_fma_f64 v[15:16], v[76:77], v[54:55], v[15:16]
	s_delay_alu instid0(VALU_DEP_4) | instskip(NEXT) | instid1(VALU_DEP_4)
	v_fma_f64 v[17:18], -v[72:73], v[56:57], v[17:18]
	v_fma_f64 v[11:12], v[70:71], v[56:57], v[11:12]
	s_delay_alu instid0(VALU_DEP_4) | instskip(NEXT) | instid1(VALU_DEP_4)
	v_fma_f64 v[13:14], -v[76:77], v[56:57], v[13:14]
	v_fma_f64 v[15:16], v[74:75], v[56:57], v[15:16]
	s_cbranch_scc0 .LBB299_12
; %bb.13:                               ;   in Loop: Header=BB299_11 Depth=1
	v_add_nc_u32_e32 v23, 8, v23
	v_add_nc_u32_e32 v10, 0x100, v10
	;; [unrolled: 1-line block ×3, first 2 shown]
	s_delay_alu instid0(VALU_DEP_3) | instskip(SKIP_1) | instid1(SALU_CYCLE_1)
	v_cmp_ge_i32_e32 vcc_lo, v23, v27
	s_or_b32 s14, vcc_lo, s14
	s_and_not1_b32 exec_lo, exec_lo, s14
	s_cbranch_execnz .LBB299_11
; %bb.14:
	s_or_b32 exec_lo, exec_lo, s14
.LBB299_15:
	s_delay_alu instid0(SALU_CYCLE_1)
	s_or_b32 exec_lo, exec_lo, s1
	s_cbranch_execz .LBB299_17
	s_branch .LBB299_24
.LBB299_16:
                                        ; implicit-def: $vgpr11_vgpr12
                                        ; implicit-def: $vgpr17_vgpr18
                                        ; implicit-def: $vgpr13_vgpr14
                                        ; implicit-def: $vgpr15_vgpr16
.LBB299_17:
	v_mov_b32_e32 v11, 0
	v_mov_b32_e32 v12, 0
	s_delay_alu instid0(VALU_DEP_1)
	v_dual_mov_b32 v18, v12 :: v_dual_mov_b32 v17, v11
	v_dual_mov_b32 v14, v12 :: v_dual_mov_b32 v13, v11
	;; [unrolled: 1-line block ×3, first 2 shown]
	s_and_saveexec_b32 s4, s0
	s_cbranch_execz .LBB299_23
; %bb.18:
	v_dual_mov_b32 v11, 0 :: v_dual_mov_b32 v20, 0
	v_dual_mov_b32 v12, 0 :: v_dual_lshlrev_b32 v19, 5, v9
	s_mov_b32 s5, 0
	s_delay_alu instid0(VALU_DEP_1)
	v_dual_mov_b32 v18, v12 :: v_dual_mov_b32 v17, v11
	v_dual_mov_b32 v14, v12 :: v_dual_mov_b32 v13, v11
	;; [unrolled: 1-line block ×3, first 2 shown]
.LBB299_19:                             ; =>This Loop Header: Depth=1
                                        ;     Child Loop BB299_20 Depth 2
	v_ashrrev_i32_e32 v10, 31, v9
	v_lshlrev_b64 v[23:24], 4, v[19:20]
	s_mov_b64 s[0:1], 0
	s_delay_alu instid0(VALU_DEP_2) | instskip(NEXT) | instid1(VALU_DEP_1)
	v_lshlrev_b64 v[21:22], 2, v[9:10]
	v_add_co_u32 v21, vcc_lo, s6, v21
	s_delay_alu instid0(VALU_DEP_2) | instskip(SKIP_3) | instid1(VALU_DEP_1)
	v_add_co_ci_u32_e32 v22, vcc_lo, s7, v22, vcc_lo
	global_load_b32 v10, v[21:22], off
	s_waitcnt vmcnt(0)
	v_subrev_nc_u32_e32 v10, s12, v10
	v_dual_mov_b32 v22, v20 :: v_dual_lshlrev_b32 v21, 4, v10
	v_add_co_u32 v10, vcc_lo, s8, v23
	s_delay_alu instid0(VALU_DEP_2) | instskip(SKIP_1) | instid1(VALU_DEP_2)
	v_lshlrev_b64 v[28:29], 4, v[21:22]
	v_add_co_ci_u32_e32 v21, vcc_lo, s9, v24, vcc_lo
	v_add_co_u32 v22, vcc_lo, s10, v28
	s_delay_alu instid0(VALU_DEP_3)
	v_add_co_ci_u32_e32 v23, vcc_lo, s11, v29, vcc_lo
.LBB299_20:                             ;   Parent Loop BB299_19 Depth=1
                                        ; =>  This Inner Loop Header: Depth=2
	v_add_co_u32 v24, vcc_lo, v10, s0
	s_delay_alu instid0(VALU_DEP_4) | instskip(NEXT) | instid1(VALU_DEP_4)
	v_add_co_ci_u32_e32 v25, vcc_lo, s1, v21, vcc_lo
	v_add_co_u32 v68, vcc_lo, v22, s0
	s_delay_alu instid0(VALU_DEP_4)
	v_add_co_ci_u32_e32 v69, vcc_lo, s1, v23, vcc_lo
	s_add_u32 s0, s0, 64
	global_load_b128 v[28:31], v[24:25], off
	global_load_b128 v[32:35], v[68:69], off
	s_clause 0x1
	global_load_b128 v[36:39], v[24:25], off offset:256
	global_load_b128 v[40:43], v[24:25], off offset:16
	global_load_b128 v[44:47], v[68:69], off offset:16
	s_clause 0x1
	global_load_b128 v[48:51], v[24:25], off offset:272
	global_load_b128 v[52:55], v[24:25], off offset:32
	global_load_b128 v[56:59], v[68:69], off offset:32
	;; [unrolled: 4-line block ×3, first 2 shown]
	global_load_b128 v[72:75], v[24:25], off offset:304
	s_addc_u32 s1, s1, 0
	s_cmpk_eq_i32 s0, 0x100
	s_waitcnt vmcnt(10)
	v_fma_f64 v[17:18], v[28:29], v[32:33], v[17:18]
	v_fma_f64 v[11:12], v[30:31], v[32:33], v[11:12]
	s_waitcnt vmcnt(9)
	v_fma_f64 v[13:14], v[36:37], v[32:33], v[13:14]
	v_fma_f64 v[15:16], v[38:39], v[32:33], v[15:16]
	s_delay_alu instid0(VALU_DEP_4) | instskip(NEXT) | instid1(VALU_DEP_4)
	v_fma_f64 v[17:18], -v[30:31], v[34:35], v[17:18]
	v_fma_f64 v[11:12], v[28:29], v[34:35], v[11:12]
	s_delay_alu instid0(VALU_DEP_4) | instskip(NEXT) | instid1(VALU_DEP_4)
	v_fma_f64 v[13:14], -v[38:39], v[34:35], v[13:14]
	v_fma_f64 v[15:16], v[36:37], v[34:35], v[15:16]
	s_waitcnt vmcnt(7)
	s_delay_alu instid0(VALU_DEP_4) | instskip(NEXT) | instid1(VALU_DEP_4)
	v_fma_f64 v[17:18], v[40:41], v[44:45], v[17:18]
	v_fma_f64 v[11:12], v[42:43], v[44:45], v[11:12]
	s_waitcnt vmcnt(6)
	s_delay_alu instid0(VALU_DEP_4) | instskip(NEXT) | instid1(VALU_DEP_4)
	v_fma_f64 v[13:14], v[48:49], v[44:45], v[13:14]
	v_fma_f64 v[15:16], v[50:51], v[44:45], v[15:16]
	s_delay_alu instid0(VALU_DEP_4) | instskip(NEXT) | instid1(VALU_DEP_4)
	v_fma_f64 v[17:18], -v[42:43], v[46:47], v[17:18]
	v_fma_f64 v[11:12], v[40:41], v[46:47], v[11:12]
	s_delay_alu instid0(VALU_DEP_4) | instskip(NEXT) | instid1(VALU_DEP_4)
	v_fma_f64 v[13:14], -v[50:51], v[46:47], v[13:14]
	v_fma_f64 v[15:16], v[48:49], v[46:47], v[15:16]
	s_waitcnt vmcnt(4)
	s_delay_alu instid0(VALU_DEP_4) | instskip(NEXT) | instid1(VALU_DEP_4)
	v_fma_f64 v[17:18], v[52:53], v[56:57], v[17:18]
	v_fma_f64 v[11:12], v[54:55], v[56:57], v[11:12]
	s_waitcnt vmcnt(3)
	s_delay_alu instid0(VALU_DEP_4) | instskip(NEXT) | instid1(VALU_DEP_4)
	;; [unrolled: 14-line block ×3, first 2 shown]
	v_fma_f64 v[13:14], v[72:73], v[68:69], v[13:14]
	v_fma_f64 v[15:16], v[74:75], v[68:69], v[15:16]
	s_delay_alu instid0(VALU_DEP_4) | instskip(NEXT) | instid1(VALU_DEP_4)
	v_fma_f64 v[17:18], -v[66:67], v[70:71], v[17:18]
	v_fma_f64 v[11:12], v[64:65], v[70:71], v[11:12]
	s_delay_alu instid0(VALU_DEP_4) | instskip(NEXT) | instid1(VALU_DEP_4)
	v_fma_f64 v[13:14], -v[74:75], v[70:71], v[13:14]
	v_fma_f64 v[15:16], v[72:73], v[70:71], v[15:16]
	s_cbranch_scc0 .LBB299_20
; %bb.21:                               ;   in Loop: Header=BB299_19 Depth=1
	v_add_nc_u32_e32 v9, 8, v9
	v_add_nc_u32_e32 v19, 0x100, v19
	s_delay_alu instid0(VALU_DEP_2) | instskip(SKIP_1) | instid1(SALU_CYCLE_1)
	v_cmp_ge_i32_e32 vcc_lo, v9, v27
	s_or_b32 s5, vcc_lo, s5
	s_and_not1_b32 exec_lo, exec_lo, s5
	s_cbranch_execnz .LBB299_19
; %bb.22:
	s_or_b32 exec_lo, exec_lo, s5
.LBB299_23:
	s_delay_alu instid0(SALU_CYCLE_1)
	s_or_b32 exec_lo, exec_lo, s4
.LBB299_24:
	v_mbcnt_lo_u32_b32 v25, -1, 0
	s_delay_alu instid0(VALU_DEP_1) | instskip(NEXT) | instid1(VALU_DEP_1)
	v_xor_b32_e32 v9, 4, v25
	v_cmp_gt_i32_e32 vcc_lo, 32, v9
	v_cndmask_b32_e32 v9, v25, v9, vcc_lo
	s_delay_alu instid0(VALU_DEP_1)
	v_lshlrev_b32_e32 v24, 2, v9
	ds_bpermute_b32 v9, v24, v17
	ds_bpermute_b32 v10, v24, v18
	;; [unrolled: 1-line block ×8, first 2 shown]
	s_waitcnt lgkmcnt(6)
	v_add_f64 v[9:10], v[17:18], v[9:10]
	s_waitcnt lgkmcnt(4)
	v_add_f64 v[11:12], v[11:12], v[19:20]
	;; [unrolled: 2-line block ×4, first 2 shown]
	v_xor_b32_e32 v15, 2, v25
	s_delay_alu instid0(VALU_DEP_1) | instskip(SKIP_1) | instid1(VALU_DEP_1)
	v_cmp_gt_i32_e32 vcc_lo, 32, v15
	v_cndmask_b32_e32 v15, v25, v15, vcc_lo
	v_lshlrev_b32_e32 v24, 2, v15
	ds_bpermute_b32 v15, v24, v9
	ds_bpermute_b32 v16, v24, v10
	;; [unrolled: 1-line block ×8, first 2 shown]
	s_waitcnt lgkmcnt(6)
	v_add_f64 v[9:10], v[9:10], v[15:16]
	s_waitcnt lgkmcnt(4)
	v_add_f64 v[15:16], v[11:12], v[19:20]
	;; [unrolled: 2-line block ×4, first 2 shown]
	v_xor_b32_e32 v17, 1, v25
	s_delay_alu instid0(VALU_DEP_1) | instskip(SKIP_2) | instid1(VALU_DEP_2)
	v_cmp_gt_i32_e32 vcc_lo, 32, v17
	v_cndmask_b32_e32 v17, v25, v17, vcc_lo
	v_cmp_eq_u32_e32 vcc_lo, 7, v26
	v_lshlrev_b32_e32 v20, 2, v17
	ds_bpermute_b32 v23, v20, v9
	ds_bpermute_b32 v24, v20, v10
	;; [unrolled: 1-line block ×8, first 2 shown]
	s_and_b32 exec_lo, exec_lo, vcc_lo
	s_cbranch_execz .LBB299_29
; %bb.25:
	v_cmp_eq_f64_e32 vcc_lo, 0, v[4:5]
	v_cmp_eq_f64_e64 s0, 0, v[6:7]
	s_waitcnt lgkmcnt(6)
	v_add_f64 v[9:10], v[9:10], v[23:24]
	s_waitcnt lgkmcnt(4)
	v_add_f64 v[15:16], v[15:16], v[21:22]
	;; [unrolled: 2-line block ×4, first 2 shown]
	s_load_b64 s[2:3], s[2:3], 0x48
	s_and_b32 s0, vcc_lo, s0
	s_delay_alu instid0(SALU_CYCLE_1) | instskip(NEXT) | instid1(SALU_CYCLE_1)
	s_and_saveexec_b32 s1, s0
	s_xor_b32 s0, exec_lo, s1
	s_cbranch_execz .LBB299_27
; %bb.26:
	s_delay_alu instid0(VALU_DEP_3) | instskip(SKIP_1) | instid1(VALU_DEP_3)
	v_mul_f64 v[4:5], v[15:16], -v[2:3]
	v_mul_f64 v[6:7], v[0:1], v[15:16]
	v_mul_f64 v[15:16], v[13:14], -v[2:3]
	v_mul_f64 v[13:14], v[0:1], v[13:14]
	v_lshlrev_b32_e32 v8, 1, v8
	v_fma_f64 v[4:5], v[0:1], v[9:10], v[4:5]
	v_fma_f64 v[6:7], v[2:3], v[9:10], v[6:7]
	;; [unrolled: 1-line block ×4, first 2 shown]
	v_ashrrev_i32_e32 v9, 31, v8
                                        ; implicit-def: $vgpr15_vgpr16
                                        ; implicit-def: $vgpr11_vgpr12
                                        ; implicit-def: $vgpr13_vgpr14
	s_delay_alu instid0(VALU_DEP_1) | instskip(SKIP_1) | instid1(VALU_DEP_1)
	v_lshlrev_b64 v[8:9], 4, v[8:9]
	s_waitcnt lgkmcnt(0)
	v_add_co_u32 v8, vcc_lo, s2, v8
	s_delay_alu instid0(VALU_DEP_2)
	v_add_co_ci_u32_e32 v9, vcc_lo, s3, v9, vcc_lo
	s_clause 0x1
	global_store_b128 v[8:9], v[4:7], off
	global_store_b128 v[8:9], v[0:3], off offset:16
                                        ; implicit-def: $vgpr0_vgpr1
                                        ; implicit-def: $vgpr2_vgpr3
                                        ; implicit-def: $vgpr4_vgpr5
                                        ; implicit-def: $vgpr6_vgpr7
                                        ; implicit-def: $vgpr8
                                        ; implicit-def: $vgpr9_vgpr10
.LBB299_27:
	s_and_not1_saveexec_b32 s0, s0
	s_cbranch_execz .LBB299_29
; %bb.28:
	v_lshlrev_b32_e32 v17, 1, v8
	s_delay_alu instid0(VALU_DEP_4) | instskip(SKIP_1) | instid1(VALU_DEP_4)
	v_mul_f64 v[27:28], v[15:16], -v[2:3]
	v_mul_f64 v[15:16], v[0:1], v[15:16]
	v_mul_f64 v[29:30], v[13:14], -v[2:3]
	v_mul_f64 v[13:14], v[0:1], v[13:14]
	v_ashrrev_i32_e32 v18, 31, v17
	s_delay_alu instid0(VALU_DEP_1) | instskip(SKIP_1) | instid1(VALU_DEP_1)
	v_lshlrev_b64 v[17:18], 4, v[17:18]
	s_waitcnt lgkmcnt(0)
	v_add_co_u32 v25, vcc_lo, s2, v17
	s_delay_alu instid0(VALU_DEP_2)
	v_add_co_ci_u32_e32 v26, vcc_lo, s3, v18, vcc_lo
	s_clause 0x1
	global_load_b128 v[17:20], v[25:26], off
	global_load_b128 v[21:24], v[25:26], off offset:16
	v_fma_f64 v[27:28], v[0:1], v[9:10], v[27:28]
	v_fma_f64 v[8:9], v[2:3], v[9:10], v[15:16]
	;; [unrolled: 1-line block ×4, first 2 shown]
	s_waitcnt vmcnt(1)
	s_delay_alu instid0(VALU_DEP_4) | instskip(NEXT) | instid1(VALU_DEP_4)
	v_fma_f64 v[10:11], v[4:5], v[17:18], v[27:28]
	v_fma_f64 v[8:9], v[6:7], v[17:18], v[8:9]
	s_waitcnt vmcnt(0)
	s_delay_alu instid0(VALU_DEP_4) | instskip(NEXT) | instid1(VALU_DEP_4)
	v_fma_f64 v[12:13], v[4:5], v[21:22], v[0:1]
	v_fma_f64 v[14:15], v[6:7], v[21:22], v[2:3]
	s_delay_alu instid0(VALU_DEP_4) | instskip(NEXT) | instid1(VALU_DEP_4)
	v_fma_f64 v[0:1], -v[6:7], v[19:20], v[10:11]
	v_fma_f64 v[2:3], v[4:5], v[19:20], v[8:9]
	s_delay_alu instid0(VALU_DEP_4) | instskip(NEXT) | instid1(VALU_DEP_4)
	v_fma_f64 v[6:7], -v[6:7], v[23:24], v[12:13]
	v_fma_f64 v[8:9], v[4:5], v[23:24], v[14:15]
	s_clause 0x1
	global_store_b128 v[25:26], v[0:3], off
	global_store_b128 v[25:26], v[6:9], off offset:16
.LBB299_29:
	s_nop 0
	s_sendmsg sendmsg(MSG_DEALLOC_VGPRS)
	s_endpgm
	.section	.rodata,"a",@progbits
	.p2align	6, 0x0
	.amdhsa_kernel _ZN9rocsparseL19gebsrmvn_2xn_kernelILj128ELj16ELj8E21rocsparse_complex_numIdEEEvi20rocsparse_direction_NS_24const_host_device_scalarIT2_EEPKiS8_PKS5_SA_S6_PS5_21rocsparse_index_base_b
		.amdhsa_group_segment_fixed_size 2048
		.amdhsa_private_segment_fixed_size 0
		.amdhsa_kernarg_size 88
		.amdhsa_user_sgpr_count 15
		.amdhsa_user_sgpr_dispatch_ptr 1
		.amdhsa_user_sgpr_queue_ptr 0
		.amdhsa_user_sgpr_kernarg_segment_ptr 1
		.amdhsa_user_sgpr_dispatch_id 0
		.amdhsa_user_sgpr_private_segment_size 0
		.amdhsa_wavefront_size32 1
		.amdhsa_uses_dynamic_stack 0
		.amdhsa_enable_private_segment 0
		.amdhsa_system_sgpr_workgroup_id_x 1
		.amdhsa_system_sgpr_workgroup_id_y 0
		.amdhsa_system_sgpr_workgroup_id_z 0
		.amdhsa_system_sgpr_workgroup_info 0
		.amdhsa_system_vgpr_workitem_id 2
		.amdhsa_next_free_vgpr 78
		.amdhsa_next_free_sgpr 18
		.amdhsa_reserve_vcc 1
		.amdhsa_float_round_mode_32 0
		.amdhsa_float_round_mode_16_64 0
		.amdhsa_float_denorm_mode_32 3
		.amdhsa_float_denorm_mode_16_64 3
		.amdhsa_dx10_clamp 1
		.amdhsa_ieee_mode 1
		.amdhsa_fp16_overflow 0
		.amdhsa_workgroup_processor_mode 1
		.amdhsa_memory_ordered 1
		.amdhsa_forward_progress 0
		.amdhsa_shared_vgpr_count 0
		.amdhsa_exception_fp_ieee_invalid_op 0
		.amdhsa_exception_fp_denorm_src 0
		.amdhsa_exception_fp_ieee_div_zero 0
		.amdhsa_exception_fp_ieee_overflow 0
		.amdhsa_exception_fp_ieee_underflow 0
		.amdhsa_exception_fp_ieee_inexact 0
		.amdhsa_exception_int_div_zero 0
	.end_amdhsa_kernel
	.section	.text._ZN9rocsparseL19gebsrmvn_2xn_kernelILj128ELj16ELj8E21rocsparse_complex_numIdEEEvi20rocsparse_direction_NS_24const_host_device_scalarIT2_EEPKiS8_PKS5_SA_S6_PS5_21rocsparse_index_base_b,"axG",@progbits,_ZN9rocsparseL19gebsrmvn_2xn_kernelILj128ELj16ELj8E21rocsparse_complex_numIdEEEvi20rocsparse_direction_NS_24const_host_device_scalarIT2_EEPKiS8_PKS5_SA_S6_PS5_21rocsparse_index_base_b,comdat
.Lfunc_end299:
	.size	_ZN9rocsparseL19gebsrmvn_2xn_kernelILj128ELj16ELj8E21rocsparse_complex_numIdEEEvi20rocsparse_direction_NS_24const_host_device_scalarIT2_EEPKiS8_PKS5_SA_S6_PS5_21rocsparse_index_base_b, .Lfunc_end299-_ZN9rocsparseL19gebsrmvn_2xn_kernelILj128ELj16ELj8E21rocsparse_complex_numIdEEEvi20rocsparse_direction_NS_24const_host_device_scalarIT2_EEPKiS8_PKS5_SA_S6_PS5_21rocsparse_index_base_b
                                        ; -- End function
	.section	.AMDGPU.csdata,"",@progbits
; Kernel info:
; codeLenInByte = 2932
; NumSgprs: 20
; NumVgprs: 78
; ScratchSize: 0
; MemoryBound: 1
; FloatMode: 240
; IeeeMode: 1
; LDSByteSize: 2048 bytes/workgroup (compile time only)
; SGPRBlocks: 2
; VGPRBlocks: 9
; NumSGPRsForWavesPerEU: 20
; NumVGPRsForWavesPerEU: 78
; Occupancy: 16
; WaveLimiterHint : 1
; COMPUTE_PGM_RSRC2:SCRATCH_EN: 0
; COMPUTE_PGM_RSRC2:USER_SGPR: 15
; COMPUTE_PGM_RSRC2:TRAP_HANDLER: 0
; COMPUTE_PGM_RSRC2:TGID_X_EN: 1
; COMPUTE_PGM_RSRC2:TGID_Y_EN: 0
; COMPUTE_PGM_RSRC2:TGID_Z_EN: 0
; COMPUTE_PGM_RSRC2:TIDIG_COMP_CNT: 2
	.section	.text._ZN9rocsparseL19gebsrmvn_2xn_kernelILj128ELj16ELj16E21rocsparse_complex_numIdEEEvi20rocsparse_direction_NS_24const_host_device_scalarIT2_EEPKiS8_PKS5_SA_S6_PS5_21rocsparse_index_base_b,"axG",@progbits,_ZN9rocsparseL19gebsrmvn_2xn_kernelILj128ELj16ELj16E21rocsparse_complex_numIdEEEvi20rocsparse_direction_NS_24const_host_device_scalarIT2_EEPKiS8_PKS5_SA_S6_PS5_21rocsparse_index_base_b,comdat
	.globl	_ZN9rocsparseL19gebsrmvn_2xn_kernelILj128ELj16ELj16E21rocsparse_complex_numIdEEEvi20rocsparse_direction_NS_24const_host_device_scalarIT2_EEPKiS8_PKS5_SA_S6_PS5_21rocsparse_index_base_b ; -- Begin function _ZN9rocsparseL19gebsrmvn_2xn_kernelILj128ELj16ELj16E21rocsparse_complex_numIdEEEvi20rocsparse_direction_NS_24const_host_device_scalarIT2_EEPKiS8_PKS5_SA_S6_PS5_21rocsparse_index_base_b
	.p2align	8
	.type	_ZN9rocsparseL19gebsrmvn_2xn_kernelILj128ELj16ELj16E21rocsparse_complex_numIdEEEvi20rocsparse_direction_NS_24const_host_device_scalarIT2_EEPKiS8_PKS5_SA_S6_PS5_21rocsparse_index_base_b,@function
_ZN9rocsparseL19gebsrmvn_2xn_kernelILj128ELj16ELj16E21rocsparse_complex_numIdEEEvi20rocsparse_direction_NS_24const_host_device_scalarIT2_EEPKiS8_PKS5_SA_S6_PS5_21rocsparse_index_base_b: ; @_ZN9rocsparseL19gebsrmvn_2xn_kernelILj128ELj16ELj16E21rocsparse_complex_numIdEEEvi20rocsparse_direction_NS_24const_host_device_scalarIT2_EEPKiS8_PKS5_SA_S6_PS5_21rocsparse_index_base_b
; %bb.0:
	s_load_b64 s[12:13], s[2:3], 0x50
	s_load_b64 s[16:17], s[0:1], 0x4
	s_load_b128 s[8:11], s[2:3], 0x8
	v_bfe_u32 v1, v0, 10, 10
	s_mov_b64 s[0:1], src_shared_base
	s_load_b128 s[4:7], s[2:3], 0x38
	v_and_b32_e32 v10, 0x3ff, v0
	v_bfe_u32 v0, v0, 20, 10
	s_waitcnt lgkmcnt(0)
	s_bitcmp1_b32 s13, 0
	v_mul_u32_u24_e32 v1, s17, v1
	s_cselect_b32 s0, -1, 0
	s_delay_alu instid0(SALU_CYCLE_1)
	s_and_b32 vcc_lo, s0, exec_lo
	s_cselect_b32 s13, s1, s9
	s_lshr_b32 s14, s16, 16
	v_dual_mov_b32 v2, s4 :: v_dual_mov_b32 v3, s5
	s_mul_i32 s14, s14, s17
	v_mov_b32_e32 v6, s13
	v_mad_u32_u24 v1, s14, v10, v1
	s_delay_alu instid0(VALU_DEP_1) | instskip(SKIP_1) | instid1(VALU_DEP_2)
	v_add_lshl_u32 v4, v1, v0, 3
	v_dual_mov_b32 v0, s8 :: v_dual_mov_b32 v1, s9
	v_add_nc_u32_e32 v5, 0x400, v4
	ds_store_2addr_stride64_b64 v4, v[2:3], v[0:1] offset1:2
	v_dual_mov_b32 v2, s10 :: v_dual_mov_b32 v3, s11
	v_cndmask_b32_e64 v5, s8, v5, s0
	s_xor_b32 s10, s0, -1
	flat_load_b64 v[0:1], v[5:6]
	s_cbranch_vccnz .LBB300_2
; %bb.1:
	v_dual_mov_b32 v2, s8 :: v_dual_mov_b32 v3, s9
	flat_load_b64 v[2:3], v[2:3] offset:8
.LBB300_2:
	s_and_b32 s8, s0, exec_lo
	s_cselect_b32 s1, s1, s5
	v_cndmask_b32_e64 v4, s4, v4, s0
	v_dual_mov_b32 v5, s1 :: v_dual_mov_b32 v6, s6
	v_mov_b32_e32 v7, s7
	s_and_not1_b32 vcc_lo, exec_lo, s10
	flat_load_b64 v[4:5], v[4:5]
	s_cbranch_vccnz .LBB300_4
; %bb.3:
	v_dual_mov_b32 v7, s5 :: v_dual_mov_b32 v6, s4
	flat_load_b64 v[6:7], v[6:7] offset:8
.LBB300_4:
	s_waitcnt vmcnt(1) lgkmcnt(1)
	v_cmp_eq_f64_e32 vcc_lo, 0, v[0:1]
	v_cmp_eq_f64_e64 s0, 0, v[2:3]
	s_delay_alu instid0(VALU_DEP_1)
	s_and_b32 s4, vcc_lo, s0
	s_mov_b32 s0, -1
	s_and_saveexec_b32 s1, s4
	s_cbranch_execz .LBB300_6
; %bb.5:
	s_waitcnt vmcnt(0) lgkmcnt(0)
	v_cmp_neq_f64_e32 vcc_lo, 1.0, v[4:5]
	v_cmp_neq_f64_e64 s0, 0, v[6:7]
	s_delay_alu instid0(VALU_DEP_1) | instskip(NEXT) | instid1(SALU_CYCLE_1)
	s_or_b32 s0, vcc_lo, s0
	s_or_not1_b32 s0, s0, exec_lo
.LBB300_6:
	s_or_b32 exec_lo, exec_lo, s1
	s_and_saveexec_b32 s1, s0
	s_cbranch_execz .LBB300_29
; %bb.7:
	s_load_b64 s[0:1], s[2:3], 0x0
	v_lshrrev_b32_e32 v8, 4, v10
	s_delay_alu instid0(VALU_DEP_1) | instskip(SKIP_1) | instid1(VALU_DEP_1)
	v_lshl_or_b32 v8, s15, 3, v8
	s_waitcnt lgkmcnt(0)
	v_cmp_gt_i32_e32 vcc_lo, s0, v8
	s_and_b32 exec_lo, exec_lo, vcc_lo
	s_cbranch_execz .LBB300_29
; %bb.8:
	s_load_b256 s[4:11], s[2:3], 0x18
	v_ashrrev_i32_e32 v9, 31, v8
	v_and_b32_e32 v26, 15, v10
	s_cmp_lg_u32 s1, 0
	s_delay_alu instid0(VALU_DEP_2) | instskip(SKIP_1) | instid1(VALU_DEP_1)
	v_lshlrev_b64 v[11:12], 2, v[8:9]
	s_waitcnt lgkmcnt(0)
	v_add_co_u32 v11, vcc_lo, s4, v11
	s_delay_alu instid0(VALU_DEP_2) | instskip(SKIP_4) | instid1(VALU_DEP_2)
	v_add_co_ci_u32_e32 v12, vcc_lo, s5, v12, vcc_lo
	global_load_b64 v[11:12], v[11:12], off
	s_waitcnt vmcnt(0)
	v_subrev_nc_u32_e32 v9, s12, v11
	v_subrev_nc_u32_e32 v27, s12, v12
	v_add_nc_u32_e32 v9, v9, v26
	s_delay_alu instid0(VALU_DEP_1)
	v_cmp_lt_i32_e64 s0, v9, v27
	s_cbranch_scc0 .LBB300_16
; %bb.9:
	v_mov_b32_e32 v11, 0
	v_mov_b32_e32 v12, 0
	s_delay_alu instid0(VALU_DEP_1)
	v_dual_mov_b32 v18, v12 :: v_dual_mov_b32 v17, v11
	v_dual_mov_b32 v14, v12 :: v_dual_mov_b32 v13, v11
	;; [unrolled: 1-line block ×3, first 2 shown]
	s_and_saveexec_b32 s1, s0
	s_cbranch_execz .LBB300_15
; %bb.10:
	v_dual_mov_b32 v11, 0 :: v_dual_mov_b32 v22, 0
	v_dual_mov_b32 v12, 0 :: v_dual_lshlrev_b32 v19, 5, v9
	v_mov_b32_e32 v23, v9
	s_add_u32 s13, s8, 16
	s_addc_u32 s15, s9, 0
	s_delay_alu instid0(VALU_DEP_2)
	v_or_b32_e32 v10, 6, v19
	v_dual_mov_b32 v18, v12 :: v_dual_mov_b32 v17, v11
	v_dual_mov_b32 v14, v12 :: v_dual_mov_b32 v13, v11
	;; [unrolled: 1-line block ×3, first 2 shown]
	s_mov_b32 s14, 0
.LBB300_11:                             ; =>This Loop Header: Depth=1
                                        ;     Child Loop BB300_12 Depth 2
	v_ashrrev_i32_e32 v24, 31, v23
	s_mov_b64 s[4:5], 0
	s_delay_alu instid0(VALU_DEP_1) | instskip(NEXT) | instid1(VALU_DEP_1)
	v_lshlrev_b64 v[20:21], 2, v[23:24]
	v_add_co_u32 v20, vcc_lo, s6, v20
	s_delay_alu instid0(VALU_DEP_2) | instskip(SKIP_3) | instid1(VALU_DEP_1)
	v_add_co_ci_u32_e32 v21, vcc_lo, s7, v21, vcc_lo
	global_load_b32 v20, v[20:21], off
	s_waitcnt vmcnt(0)
	v_subrev_nc_u32_e32 v21, s12, v20
	v_dual_mov_b32 v20, v22 :: v_dual_lshlrev_b32 v21, 4, v21
	s_delay_alu instid0(VALU_DEP_1) | instskip(NEXT) | instid1(VALU_DEP_2)
	v_lshlrev_b64 v[24:25], 4, v[19:20]
	v_lshlrev_b64 v[20:21], 4, v[21:22]
	s_delay_alu instid0(VALU_DEP_2) | instskip(NEXT) | instid1(VALU_DEP_3)
	v_add_co_u32 v24, vcc_lo, s13, v24
	v_add_co_ci_u32_e32 v25, vcc_lo, s15, v25, vcc_lo
	s_delay_alu instid0(VALU_DEP_3) | instskip(NEXT) | instid1(VALU_DEP_4)
	v_add_co_u32 v28, vcc_lo, s10, v20
	v_add_co_ci_u32_e32 v29, vcc_lo, s11, v21, vcc_lo
	v_mov_b32_e32 v20, v10
.LBB300_12:                             ;   Parent Loop BB300_11 Depth=1
                                        ; =>  This Inner Loop Header: Depth=2
	s_delay_alu instid0(VALU_DEP_3) | instskip(NEXT) | instid1(VALU_DEP_3)
	v_add_co_u32 v58, vcc_lo, v28, s4
	v_add_co_ci_u32_e32 v59, vcc_lo, s5, v29, vcc_lo
	s_delay_alu instid0(VALU_DEP_3)
	v_add_nc_u32_e32 v21, -4, v20
	s_clause 0x1
	global_load_b128 v[30:33], v[24:25], off
	global_load_b128 v[34:37], v[24:25], off offset:-16
	s_clause 0x1
	global_load_b128 v[38:41], v[58:59], off
	global_load_b128 v[42:45], v[58:59], off offset:16
	s_add_u32 s4, s4, 64
	s_addc_u32 s5, s5, 0
	s_cmpk_eq_i32 s4, 0x100
	v_lshlrev_b64 v[46:47], 4, v[21:22]
	v_add_nc_u32_e32 v21, -2, v20
	s_delay_alu instid0(VALU_DEP_2) | instskip(NEXT) | instid1(VALU_DEP_3)
	v_add_co_u32 v50, vcc_lo, s8, v46
	v_add_co_ci_u32_e32 v51, vcc_lo, s9, v47, vcc_lo
	s_clause 0x1
	global_load_b128 v[46:49], v[50:51], off
	global_load_b128 v[50:53], v[50:51], off offset:16
	v_lshlrev_b64 v[60:61], 4, v[21:22]
	global_load_b128 v[54:57], v[58:59], off offset:48
	v_mov_b32_e32 v21, v22
	v_add_co_u32 v66, vcc_lo, s8, v60
	v_add_co_ci_u32_e32 v67, vcc_lo, s9, v61, vcc_lo
	global_load_b128 v[58:61], v[58:59], off offset:32
	s_clause 0x1
	global_load_b128 v[62:65], v[66:67], off
	global_load_b128 v[66:69], v[66:67], off offset:16
	v_lshlrev_b64 v[70:71], 4, v[20:21]
	v_add_nc_u32_e32 v20, 8, v20
	s_delay_alu instid0(VALU_DEP_2) | instskip(NEXT) | instid1(VALU_DEP_3)
	v_add_co_u32 v74, vcc_lo, s8, v70
	v_add_co_ci_u32_e32 v75, vcc_lo, s9, v71, vcc_lo
	s_clause 0x1
	global_load_b128 v[70:73], v[74:75], off
	global_load_b128 v[74:77], v[74:75], off offset:16
	v_add_co_u32 v24, vcc_lo, 0x80, v24
	v_add_co_ci_u32_e32 v25, vcc_lo, 0, v25, vcc_lo
	s_waitcnt vmcnt(9)
	v_fma_f64 v[17:18], v[34:35], v[38:39], v[17:18]
	v_fma_f64 v[11:12], v[36:37], v[38:39], v[11:12]
	v_fma_f64 v[13:14], v[30:31], v[38:39], v[13:14]
	v_fma_f64 v[15:16], v[32:33], v[38:39], v[15:16]
	s_delay_alu instid0(VALU_DEP_4) | instskip(NEXT) | instid1(VALU_DEP_4)
	v_fma_f64 v[17:18], -v[36:37], v[40:41], v[17:18]
	v_fma_f64 v[11:12], v[34:35], v[40:41], v[11:12]
	s_delay_alu instid0(VALU_DEP_4) | instskip(NEXT) | instid1(VALU_DEP_4)
	v_fma_f64 v[13:14], -v[32:33], v[40:41], v[13:14]
	v_fma_f64 v[15:16], v[30:31], v[40:41], v[15:16]
	s_waitcnt vmcnt(7)
	s_delay_alu instid0(VALU_DEP_4) | instskip(NEXT) | instid1(VALU_DEP_4)
	v_fma_f64 v[17:18], v[46:47], v[42:43], v[17:18]
	v_fma_f64 v[11:12], v[48:49], v[42:43], v[11:12]
	s_waitcnt vmcnt(6)
	s_delay_alu instid0(VALU_DEP_4) | instskip(NEXT) | instid1(VALU_DEP_4)
	v_fma_f64 v[13:14], v[50:51], v[42:43], v[13:14]
	v_fma_f64 v[15:16], v[52:53], v[42:43], v[15:16]
	s_delay_alu instid0(VALU_DEP_4) | instskip(NEXT) | instid1(VALU_DEP_4)
	v_fma_f64 v[17:18], -v[48:49], v[44:45], v[17:18]
	v_fma_f64 v[11:12], v[46:47], v[44:45], v[11:12]
	s_delay_alu instid0(VALU_DEP_4) | instskip(NEXT) | instid1(VALU_DEP_4)
	v_fma_f64 v[13:14], -v[52:53], v[44:45], v[13:14]
	v_fma_f64 v[15:16], v[50:51], v[44:45], v[15:16]
	s_waitcnt vmcnt(3)
	s_delay_alu instid0(VALU_DEP_4) | instskip(NEXT) | instid1(VALU_DEP_4)
	v_fma_f64 v[17:18], v[62:63], v[58:59], v[17:18]
	v_fma_f64 v[11:12], v[64:65], v[58:59], v[11:12]
	s_waitcnt vmcnt(2)
	s_delay_alu instid0(VALU_DEP_4) | instskip(NEXT) | instid1(VALU_DEP_4)
	v_fma_f64 v[13:14], v[66:67], v[58:59], v[13:14]
	v_fma_f64 v[15:16], v[68:69], v[58:59], v[15:16]
	;; [unrolled: 14-line block ×3, first 2 shown]
	s_delay_alu instid0(VALU_DEP_4) | instskip(NEXT) | instid1(VALU_DEP_4)
	v_fma_f64 v[17:18], -v[72:73], v[56:57], v[17:18]
	v_fma_f64 v[11:12], v[70:71], v[56:57], v[11:12]
	s_delay_alu instid0(VALU_DEP_4) | instskip(NEXT) | instid1(VALU_DEP_4)
	v_fma_f64 v[13:14], -v[76:77], v[56:57], v[13:14]
	v_fma_f64 v[15:16], v[74:75], v[56:57], v[15:16]
	s_cbranch_scc0 .LBB300_12
; %bb.13:                               ;   in Loop: Header=BB300_11 Depth=1
	v_add_nc_u32_e32 v23, 16, v23
	v_add_nc_u32_e32 v10, 0x200, v10
	;; [unrolled: 1-line block ×3, first 2 shown]
	s_delay_alu instid0(VALU_DEP_3) | instskip(SKIP_1) | instid1(SALU_CYCLE_1)
	v_cmp_ge_i32_e32 vcc_lo, v23, v27
	s_or_b32 s14, vcc_lo, s14
	s_and_not1_b32 exec_lo, exec_lo, s14
	s_cbranch_execnz .LBB300_11
; %bb.14:
	s_or_b32 exec_lo, exec_lo, s14
.LBB300_15:
	s_delay_alu instid0(SALU_CYCLE_1)
	s_or_b32 exec_lo, exec_lo, s1
	s_cbranch_execz .LBB300_17
	s_branch .LBB300_24
.LBB300_16:
                                        ; implicit-def: $vgpr11_vgpr12
                                        ; implicit-def: $vgpr17_vgpr18
                                        ; implicit-def: $vgpr13_vgpr14
                                        ; implicit-def: $vgpr15_vgpr16
.LBB300_17:
	v_mov_b32_e32 v11, 0
	v_mov_b32_e32 v12, 0
	s_delay_alu instid0(VALU_DEP_1)
	v_dual_mov_b32 v18, v12 :: v_dual_mov_b32 v17, v11
	v_dual_mov_b32 v14, v12 :: v_dual_mov_b32 v13, v11
	;; [unrolled: 1-line block ×3, first 2 shown]
	s_and_saveexec_b32 s4, s0
	s_cbranch_execz .LBB300_23
; %bb.18:
	v_dual_mov_b32 v11, 0 :: v_dual_mov_b32 v20, 0
	v_dual_mov_b32 v12, 0 :: v_dual_lshlrev_b32 v19, 5, v9
	s_mov_b32 s5, 0
	s_delay_alu instid0(VALU_DEP_1)
	v_dual_mov_b32 v18, v12 :: v_dual_mov_b32 v17, v11
	v_dual_mov_b32 v14, v12 :: v_dual_mov_b32 v13, v11
	;; [unrolled: 1-line block ×3, first 2 shown]
.LBB300_19:                             ; =>This Loop Header: Depth=1
                                        ;     Child Loop BB300_20 Depth 2
	v_ashrrev_i32_e32 v10, 31, v9
	v_lshlrev_b64 v[23:24], 4, v[19:20]
	s_mov_b64 s[0:1], 0
	s_delay_alu instid0(VALU_DEP_2) | instskip(NEXT) | instid1(VALU_DEP_1)
	v_lshlrev_b64 v[21:22], 2, v[9:10]
	v_add_co_u32 v21, vcc_lo, s6, v21
	s_delay_alu instid0(VALU_DEP_2) | instskip(SKIP_3) | instid1(VALU_DEP_1)
	v_add_co_ci_u32_e32 v22, vcc_lo, s7, v22, vcc_lo
	global_load_b32 v10, v[21:22], off
	s_waitcnt vmcnt(0)
	v_subrev_nc_u32_e32 v10, s12, v10
	v_dual_mov_b32 v22, v20 :: v_dual_lshlrev_b32 v21, 4, v10
	v_add_co_u32 v10, vcc_lo, s8, v23
	s_delay_alu instid0(VALU_DEP_2) | instskip(SKIP_1) | instid1(VALU_DEP_2)
	v_lshlrev_b64 v[28:29], 4, v[21:22]
	v_add_co_ci_u32_e32 v21, vcc_lo, s9, v24, vcc_lo
	v_add_co_u32 v22, vcc_lo, s10, v28
	s_delay_alu instid0(VALU_DEP_3)
	v_add_co_ci_u32_e32 v23, vcc_lo, s11, v29, vcc_lo
.LBB300_20:                             ;   Parent Loop BB300_19 Depth=1
                                        ; =>  This Inner Loop Header: Depth=2
	v_add_co_u32 v24, vcc_lo, v10, s0
	s_delay_alu instid0(VALU_DEP_4) | instskip(NEXT) | instid1(VALU_DEP_4)
	v_add_co_ci_u32_e32 v25, vcc_lo, s1, v21, vcc_lo
	v_add_co_u32 v68, vcc_lo, v22, s0
	s_delay_alu instid0(VALU_DEP_4)
	v_add_co_ci_u32_e32 v69, vcc_lo, s1, v23, vcc_lo
	s_add_u32 s0, s0, 64
	global_load_b128 v[28:31], v[24:25], off
	global_load_b128 v[32:35], v[68:69], off
	s_clause 0x1
	global_load_b128 v[36:39], v[24:25], off offset:256
	global_load_b128 v[40:43], v[24:25], off offset:16
	global_load_b128 v[44:47], v[68:69], off offset:16
	s_clause 0x1
	global_load_b128 v[48:51], v[24:25], off offset:272
	global_load_b128 v[52:55], v[24:25], off offset:32
	global_load_b128 v[56:59], v[68:69], off offset:32
	;; [unrolled: 4-line block ×3, first 2 shown]
	global_load_b128 v[72:75], v[24:25], off offset:304
	s_addc_u32 s1, s1, 0
	s_cmpk_eq_i32 s0, 0x100
	s_waitcnt vmcnt(10)
	v_fma_f64 v[17:18], v[28:29], v[32:33], v[17:18]
	v_fma_f64 v[11:12], v[30:31], v[32:33], v[11:12]
	s_waitcnt vmcnt(9)
	v_fma_f64 v[13:14], v[36:37], v[32:33], v[13:14]
	v_fma_f64 v[15:16], v[38:39], v[32:33], v[15:16]
	s_delay_alu instid0(VALU_DEP_4) | instskip(NEXT) | instid1(VALU_DEP_4)
	v_fma_f64 v[17:18], -v[30:31], v[34:35], v[17:18]
	v_fma_f64 v[11:12], v[28:29], v[34:35], v[11:12]
	s_delay_alu instid0(VALU_DEP_4) | instskip(NEXT) | instid1(VALU_DEP_4)
	v_fma_f64 v[13:14], -v[38:39], v[34:35], v[13:14]
	v_fma_f64 v[15:16], v[36:37], v[34:35], v[15:16]
	s_waitcnt vmcnt(7)
	s_delay_alu instid0(VALU_DEP_4) | instskip(NEXT) | instid1(VALU_DEP_4)
	v_fma_f64 v[17:18], v[40:41], v[44:45], v[17:18]
	v_fma_f64 v[11:12], v[42:43], v[44:45], v[11:12]
	s_waitcnt vmcnt(6)
	s_delay_alu instid0(VALU_DEP_4) | instskip(NEXT) | instid1(VALU_DEP_4)
	v_fma_f64 v[13:14], v[48:49], v[44:45], v[13:14]
	v_fma_f64 v[15:16], v[50:51], v[44:45], v[15:16]
	s_delay_alu instid0(VALU_DEP_4) | instskip(NEXT) | instid1(VALU_DEP_4)
	v_fma_f64 v[17:18], -v[42:43], v[46:47], v[17:18]
	v_fma_f64 v[11:12], v[40:41], v[46:47], v[11:12]
	s_delay_alu instid0(VALU_DEP_4) | instskip(NEXT) | instid1(VALU_DEP_4)
	v_fma_f64 v[13:14], -v[50:51], v[46:47], v[13:14]
	v_fma_f64 v[15:16], v[48:49], v[46:47], v[15:16]
	s_waitcnt vmcnt(4)
	s_delay_alu instid0(VALU_DEP_4) | instskip(NEXT) | instid1(VALU_DEP_4)
	v_fma_f64 v[17:18], v[52:53], v[56:57], v[17:18]
	v_fma_f64 v[11:12], v[54:55], v[56:57], v[11:12]
	s_waitcnt vmcnt(3)
	s_delay_alu instid0(VALU_DEP_4) | instskip(NEXT) | instid1(VALU_DEP_4)
	;; [unrolled: 14-line block ×3, first 2 shown]
	v_fma_f64 v[13:14], v[72:73], v[68:69], v[13:14]
	v_fma_f64 v[15:16], v[74:75], v[68:69], v[15:16]
	s_delay_alu instid0(VALU_DEP_4) | instskip(NEXT) | instid1(VALU_DEP_4)
	v_fma_f64 v[17:18], -v[66:67], v[70:71], v[17:18]
	v_fma_f64 v[11:12], v[64:65], v[70:71], v[11:12]
	s_delay_alu instid0(VALU_DEP_4) | instskip(NEXT) | instid1(VALU_DEP_4)
	v_fma_f64 v[13:14], -v[74:75], v[70:71], v[13:14]
	v_fma_f64 v[15:16], v[72:73], v[70:71], v[15:16]
	s_cbranch_scc0 .LBB300_20
; %bb.21:                               ;   in Loop: Header=BB300_19 Depth=1
	v_add_nc_u32_e32 v9, 16, v9
	v_add_nc_u32_e32 v19, 0x200, v19
	s_delay_alu instid0(VALU_DEP_2) | instskip(SKIP_1) | instid1(SALU_CYCLE_1)
	v_cmp_ge_i32_e32 vcc_lo, v9, v27
	s_or_b32 s5, vcc_lo, s5
	s_and_not1_b32 exec_lo, exec_lo, s5
	s_cbranch_execnz .LBB300_19
; %bb.22:
	s_or_b32 exec_lo, exec_lo, s5
.LBB300_23:
	s_delay_alu instid0(SALU_CYCLE_1)
	s_or_b32 exec_lo, exec_lo, s4
.LBB300_24:
	v_mbcnt_lo_u32_b32 v25, -1, 0
	s_delay_alu instid0(VALU_DEP_1) | instskip(NEXT) | instid1(VALU_DEP_1)
	v_xor_b32_e32 v9, 8, v25
	v_cmp_gt_i32_e32 vcc_lo, 32, v9
	v_cndmask_b32_e32 v9, v25, v9, vcc_lo
	s_delay_alu instid0(VALU_DEP_1)
	v_lshlrev_b32_e32 v24, 2, v9
	ds_bpermute_b32 v9, v24, v17
	ds_bpermute_b32 v10, v24, v18
	;; [unrolled: 1-line block ×8, first 2 shown]
	s_waitcnt lgkmcnt(6)
	v_add_f64 v[9:10], v[17:18], v[9:10]
	v_xor_b32_e32 v17, 4, v25
	s_waitcnt lgkmcnt(4)
	v_add_f64 v[11:12], v[11:12], v[19:20]
	s_waitcnt lgkmcnt(2)
	v_add_f64 v[13:14], v[13:14], v[21:22]
	;; [unrolled: 2-line block ×3, first 2 shown]
	v_cmp_gt_i32_e32 vcc_lo, 32, v17
	v_cndmask_b32_e32 v17, v25, v17, vcc_lo
	s_delay_alu instid0(VALU_DEP_1)
	v_lshlrev_b32_e32 v24, 2, v17
	ds_bpermute_b32 v17, v24, v9
	ds_bpermute_b32 v18, v24, v10
	;; [unrolled: 1-line block ×8, first 2 shown]
	s_waitcnt lgkmcnt(6)
	v_add_f64 v[9:10], v[9:10], v[17:18]
	s_waitcnt lgkmcnt(4)
	v_add_f64 v[11:12], v[11:12], v[19:20]
	;; [unrolled: 2-line block ×4, first 2 shown]
	v_xor_b32_e32 v15, 2, v25
	s_delay_alu instid0(VALU_DEP_1) | instskip(SKIP_1) | instid1(VALU_DEP_1)
	v_cmp_gt_i32_e32 vcc_lo, 32, v15
	v_cndmask_b32_e32 v15, v25, v15, vcc_lo
	v_lshlrev_b32_e32 v24, 2, v15
	ds_bpermute_b32 v15, v24, v9
	ds_bpermute_b32 v16, v24, v10
	;; [unrolled: 1-line block ×8, first 2 shown]
	s_waitcnt lgkmcnt(6)
	v_add_f64 v[9:10], v[9:10], v[15:16]
	s_waitcnt lgkmcnt(4)
	v_add_f64 v[15:16], v[11:12], v[19:20]
	s_waitcnt lgkmcnt(2)
	v_add_f64 v[11:12], v[13:14], v[21:22]
	s_waitcnt lgkmcnt(0)
	v_add_f64 v[13:14], v[17:18], v[23:24]
	v_xor_b32_e32 v17, 1, v25
	s_delay_alu instid0(VALU_DEP_1) | instskip(SKIP_2) | instid1(VALU_DEP_2)
	v_cmp_gt_i32_e32 vcc_lo, 32, v17
	v_cndmask_b32_e32 v17, v25, v17, vcc_lo
	v_cmp_eq_u32_e32 vcc_lo, 15, v26
	v_lshlrev_b32_e32 v20, 2, v17
	ds_bpermute_b32 v23, v20, v9
	ds_bpermute_b32 v24, v20, v10
	ds_bpermute_b32 v21, v20, v15
	ds_bpermute_b32 v22, v20, v16
	ds_bpermute_b32 v17, v20, v11
	ds_bpermute_b32 v18, v20, v12
	ds_bpermute_b32 v19, v20, v13
	ds_bpermute_b32 v20, v20, v14
	s_and_b32 exec_lo, exec_lo, vcc_lo
	s_cbranch_execz .LBB300_29
; %bb.25:
	v_cmp_eq_f64_e32 vcc_lo, 0, v[4:5]
	v_cmp_eq_f64_e64 s0, 0, v[6:7]
	s_waitcnt lgkmcnt(6)
	v_add_f64 v[9:10], v[9:10], v[23:24]
	s_waitcnt lgkmcnt(4)
	v_add_f64 v[15:16], v[15:16], v[21:22]
	;; [unrolled: 2-line block ×4, first 2 shown]
	s_load_b64 s[2:3], s[2:3], 0x48
	s_and_b32 s0, vcc_lo, s0
	s_delay_alu instid0(SALU_CYCLE_1) | instskip(NEXT) | instid1(SALU_CYCLE_1)
	s_and_saveexec_b32 s1, s0
	s_xor_b32 s0, exec_lo, s1
	s_cbranch_execz .LBB300_27
; %bb.26:
	s_delay_alu instid0(VALU_DEP_3) | instskip(SKIP_1) | instid1(VALU_DEP_3)
	v_mul_f64 v[4:5], v[15:16], -v[2:3]
	v_mul_f64 v[6:7], v[0:1], v[15:16]
	v_mul_f64 v[15:16], v[13:14], -v[2:3]
	v_mul_f64 v[13:14], v[0:1], v[13:14]
	v_lshlrev_b32_e32 v8, 1, v8
	v_fma_f64 v[4:5], v[0:1], v[9:10], v[4:5]
	v_fma_f64 v[6:7], v[2:3], v[9:10], v[6:7]
	;; [unrolled: 1-line block ×4, first 2 shown]
	v_ashrrev_i32_e32 v9, 31, v8
                                        ; implicit-def: $vgpr15_vgpr16
                                        ; implicit-def: $vgpr11_vgpr12
                                        ; implicit-def: $vgpr13_vgpr14
	s_delay_alu instid0(VALU_DEP_1) | instskip(SKIP_1) | instid1(VALU_DEP_1)
	v_lshlrev_b64 v[8:9], 4, v[8:9]
	s_waitcnt lgkmcnt(0)
	v_add_co_u32 v8, vcc_lo, s2, v8
	s_delay_alu instid0(VALU_DEP_2)
	v_add_co_ci_u32_e32 v9, vcc_lo, s3, v9, vcc_lo
	s_clause 0x1
	global_store_b128 v[8:9], v[4:7], off
	global_store_b128 v[8:9], v[0:3], off offset:16
                                        ; implicit-def: $vgpr0_vgpr1
                                        ; implicit-def: $vgpr2_vgpr3
                                        ; implicit-def: $vgpr4_vgpr5
                                        ; implicit-def: $vgpr6_vgpr7
                                        ; implicit-def: $vgpr8
                                        ; implicit-def: $vgpr9_vgpr10
.LBB300_27:
	s_and_not1_saveexec_b32 s0, s0
	s_cbranch_execz .LBB300_29
; %bb.28:
	v_lshlrev_b32_e32 v17, 1, v8
	s_delay_alu instid0(VALU_DEP_4) | instskip(SKIP_1) | instid1(VALU_DEP_4)
	v_mul_f64 v[27:28], v[15:16], -v[2:3]
	v_mul_f64 v[15:16], v[0:1], v[15:16]
	v_mul_f64 v[29:30], v[13:14], -v[2:3]
	v_mul_f64 v[13:14], v[0:1], v[13:14]
	v_ashrrev_i32_e32 v18, 31, v17
	s_delay_alu instid0(VALU_DEP_1) | instskip(SKIP_1) | instid1(VALU_DEP_1)
	v_lshlrev_b64 v[17:18], 4, v[17:18]
	s_waitcnt lgkmcnt(0)
	v_add_co_u32 v25, vcc_lo, s2, v17
	s_delay_alu instid0(VALU_DEP_2)
	v_add_co_ci_u32_e32 v26, vcc_lo, s3, v18, vcc_lo
	s_clause 0x1
	global_load_b128 v[17:20], v[25:26], off
	global_load_b128 v[21:24], v[25:26], off offset:16
	v_fma_f64 v[27:28], v[0:1], v[9:10], v[27:28]
	v_fma_f64 v[8:9], v[2:3], v[9:10], v[15:16]
	;; [unrolled: 1-line block ×4, first 2 shown]
	s_waitcnt vmcnt(1)
	s_delay_alu instid0(VALU_DEP_4) | instskip(NEXT) | instid1(VALU_DEP_4)
	v_fma_f64 v[10:11], v[4:5], v[17:18], v[27:28]
	v_fma_f64 v[8:9], v[6:7], v[17:18], v[8:9]
	s_waitcnt vmcnt(0)
	s_delay_alu instid0(VALU_DEP_4) | instskip(NEXT) | instid1(VALU_DEP_4)
	v_fma_f64 v[12:13], v[4:5], v[21:22], v[0:1]
	v_fma_f64 v[14:15], v[6:7], v[21:22], v[2:3]
	s_delay_alu instid0(VALU_DEP_4) | instskip(NEXT) | instid1(VALU_DEP_4)
	v_fma_f64 v[0:1], -v[6:7], v[19:20], v[10:11]
	v_fma_f64 v[2:3], v[4:5], v[19:20], v[8:9]
	s_delay_alu instid0(VALU_DEP_4) | instskip(NEXT) | instid1(VALU_DEP_4)
	v_fma_f64 v[6:7], -v[6:7], v[23:24], v[12:13]
	v_fma_f64 v[8:9], v[4:5], v[23:24], v[14:15]
	s_clause 0x1
	global_store_b128 v[25:26], v[0:3], off
	global_store_b128 v[25:26], v[6:9], off offset:16
.LBB300_29:
	s_nop 0
	s_sendmsg sendmsg(MSG_DEALLOC_VGPRS)
	s_endpgm
	.section	.rodata,"a",@progbits
	.p2align	6, 0x0
	.amdhsa_kernel _ZN9rocsparseL19gebsrmvn_2xn_kernelILj128ELj16ELj16E21rocsparse_complex_numIdEEEvi20rocsparse_direction_NS_24const_host_device_scalarIT2_EEPKiS8_PKS5_SA_S6_PS5_21rocsparse_index_base_b
		.amdhsa_group_segment_fixed_size 2048
		.amdhsa_private_segment_fixed_size 0
		.amdhsa_kernarg_size 88
		.amdhsa_user_sgpr_count 15
		.amdhsa_user_sgpr_dispatch_ptr 1
		.amdhsa_user_sgpr_queue_ptr 0
		.amdhsa_user_sgpr_kernarg_segment_ptr 1
		.amdhsa_user_sgpr_dispatch_id 0
		.amdhsa_user_sgpr_private_segment_size 0
		.amdhsa_wavefront_size32 1
		.amdhsa_uses_dynamic_stack 0
		.amdhsa_enable_private_segment 0
		.amdhsa_system_sgpr_workgroup_id_x 1
		.amdhsa_system_sgpr_workgroup_id_y 0
		.amdhsa_system_sgpr_workgroup_id_z 0
		.amdhsa_system_sgpr_workgroup_info 0
		.amdhsa_system_vgpr_workitem_id 2
		.amdhsa_next_free_vgpr 78
		.amdhsa_next_free_sgpr 18
		.amdhsa_reserve_vcc 1
		.amdhsa_float_round_mode_32 0
		.amdhsa_float_round_mode_16_64 0
		.amdhsa_float_denorm_mode_32 3
		.amdhsa_float_denorm_mode_16_64 3
		.amdhsa_dx10_clamp 1
		.amdhsa_ieee_mode 1
		.amdhsa_fp16_overflow 0
		.amdhsa_workgroup_processor_mode 1
		.amdhsa_memory_ordered 1
		.amdhsa_forward_progress 0
		.amdhsa_shared_vgpr_count 0
		.amdhsa_exception_fp_ieee_invalid_op 0
		.amdhsa_exception_fp_denorm_src 0
		.amdhsa_exception_fp_ieee_div_zero 0
		.amdhsa_exception_fp_ieee_overflow 0
		.amdhsa_exception_fp_ieee_underflow 0
		.amdhsa_exception_fp_ieee_inexact 0
		.amdhsa_exception_int_div_zero 0
	.end_amdhsa_kernel
	.section	.text._ZN9rocsparseL19gebsrmvn_2xn_kernelILj128ELj16ELj16E21rocsparse_complex_numIdEEEvi20rocsparse_direction_NS_24const_host_device_scalarIT2_EEPKiS8_PKS5_SA_S6_PS5_21rocsparse_index_base_b,"axG",@progbits,_ZN9rocsparseL19gebsrmvn_2xn_kernelILj128ELj16ELj16E21rocsparse_complex_numIdEEEvi20rocsparse_direction_NS_24const_host_device_scalarIT2_EEPKiS8_PKS5_SA_S6_PS5_21rocsparse_index_base_b,comdat
.Lfunc_end300:
	.size	_ZN9rocsparseL19gebsrmvn_2xn_kernelILj128ELj16ELj16E21rocsparse_complex_numIdEEEvi20rocsparse_direction_NS_24const_host_device_scalarIT2_EEPKiS8_PKS5_SA_S6_PS5_21rocsparse_index_base_b, .Lfunc_end300-_ZN9rocsparseL19gebsrmvn_2xn_kernelILj128ELj16ELj16E21rocsparse_complex_numIdEEEvi20rocsparse_direction_NS_24const_host_device_scalarIT2_EEPKiS8_PKS5_SA_S6_PS5_21rocsparse_index_base_b
                                        ; -- End function
	.section	.AMDGPU.csdata,"",@progbits
; Kernel info:
; codeLenInByte = 3064
; NumSgprs: 20
; NumVgprs: 78
; ScratchSize: 0
; MemoryBound: 1
; FloatMode: 240
; IeeeMode: 1
; LDSByteSize: 2048 bytes/workgroup (compile time only)
; SGPRBlocks: 2
; VGPRBlocks: 9
; NumSGPRsForWavesPerEU: 20
; NumVGPRsForWavesPerEU: 78
; Occupancy: 16
; WaveLimiterHint : 1
; COMPUTE_PGM_RSRC2:SCRATCH_EN: 0
; COMPUTE_PGM_RSRC2:USER_SGPR: 15
; COMPUTE_PGM_RSRC2:TRAP_HANDLER: 0
; COMPUTE_PGM_RSRC2:TGID_X_EN: 1
; COMPUTE_PGM_RSRC2:TGID_Y_EN: 0
; COMPUTE_PGM_RSRC2:TGID_Z_EN: 0
; COMPUTE_PGM_RSRC2:TIDIG_COMP_CNT: 2
	.section	.text._ZN9rocsparseL19gebsrmvn_2xn_kernelILj128ELj16ELj32E21rocsparse_complex_numIdEEEvi20rocsparse_direction_NS_24const_host_device_scalarIT2_EEPKiS8_PKS5_SA_S6_PS5_21rocsparse_index_base_b,"axG",@progbits,_ZN9rocsparseL19gebsrmvn_2xn_kernelILj128ELj16ELj32E21rocsparse_complex_numIdEEEvi20rocsparse_direction_NS_24const_host_device_scalarIT2_EEPKiS8_PKS5_SA_S6_PS5_21rocsparse_index_base_b,comdat
	.globl	_ZN9rocsparseL19gebsrmvn_2xn_kernelILj128ELj16ELj32E21rocsparse_complex_numIdEEEvi20rocsparse_direction_NS_24const_host_device_scalarIT2_EEPKiS8_PKS5_SA_S6_PS5_21rocsparse_index_base_b ; -- Begin function _ZN9rocsparseL19gebsrmvn_2xn_kernelILj128ELj16ELj32E21rocsparse_complex_numIdEEEvi20rocsparse_direction_NS_24const_host_device_scalarIT2_EEPKiS8_PKS5_SA_S6_PS5_21rocsparse_index_base_b
	.p2align	8
	.type	_ZN9rocsparseL19gebsrmvn_2xn_kernelILj128ELj16ELj32E21rocsparse_complex_numIdEEEvi20rocsparse_direction_NS_24const_host_device_scalarIT2_EEPKiS8_PKS5_SA_S6_PS5_21rocsparse_index_base_b,@function
_ZN9rocsparseL19gebsrmvn_2xn_kernelILj128ELj16ELj32E21rocsparse_complex_numIdEEEvi20rocsparse_direction_NS_24const_host_device_scalarIT2_EEPKiS8_PKS5_SA_S6_PS5_21rocsparse_index_base_b: ; @_ZN9rocsparseL19gebsrmvn_2xn_kernelILj128ELj16ELj32E21rocsparse_complex_numIdEEEvi20rocsparse_direction_NS_24const_host_device_scalarIT2_EEPKiS8_PKS5_SA_S6_PS5_21rocsparse_index_base_b
; %bb.0:
	s_load_b64 s[12:13], s[2:3], 0x50
	s_load_b64 s[16:17], s[0:1], 0x4
	s_load_b128 s[8:11], s[2:3], 0x8
	v_bfe_u32 v1, v0, 10, 10
	s_mov_b64 s[0:1], src_shared_base
	s_load_b128 s[4:7], s[2:3], 0x38
	v_and_b32_e32 v10, 0x3ff, v0
	v_bfe_u32 v0, v0, 20, 10
	s_waitcnt lgkmcnt(0)
	s_bitcmp1_b32 s13, 0
	v_mul_u32_u24_e32 v1, s17, v1
	s_cselect_b32 s0, -1, 0
	s_delay_alu instid0(SALU_CYCLE_1)
	s_and_b32 vcc_lo, s0, exec_lo
	s_cselect_b32 s13, s1, s9
	s_lshr_b32 s14, s16, 16
	v_dual_mov_b32 v2, s4 :: v_dual_mov_b32 v3, s5
	s_mul_i32 s14, s14, s17
	v_mov_b32_e32 v6, s13
	v_mad_u32_u24 v1, s14, v10, v1
	s_delay_alu instid0(VALU_DEP_1) | instskip(SKIP_1) | instid1(VALU_DEP_2)
	v_add_lshl_u32 v4, v1, v0, 3
	v_dual_mov_b32 v0, s8 :: v_dual_mov_b32 v1, s9
	v_add_nc_u32_e32 v5, 0x400, v4
	ds_store_2addr_stride64_b64 v4, v[2:3], v[0:1] offset1:2
	v_dual_mov_b32 v2, s10 :: v_dual_mov_b32 v3, s11
	v_cndmask_b32_e64 v5, s8, v5, s0
	s_xor_b32 s10, s0, -1
	flat_load_b64 v[0:1], v[5:6]
	s_cbranch_vccnz .LBB301_2
; %bb.1:
	v_dual_mov_b32 v2, s8 :: v_dual_mov_b32 v3, s9
	flat_load_b64 v[2:3], v[2:3] offset:8
.LBB301_2:
	s_and_b32 s8, s0, exec_lo
	s_cselect_b32 s1, s1, s5
	v_cndmask_b32_e64 v4, s4, v4, s0
	v_dual_mov_b32 v5, s1 :: v_dual_mov_b32 v6, s6
	v_mov_b32_e32 v7, s7
	s_and_not1_b32 vcc_lo, exec_lo, s10
	flat_load_b64 v[4:5], v[4:5]
	s_cbranch_vccnz .LBB301_4
; %bb.3:
	v_dual_mov_b32 v7, s5 :: v_dual_mov_b32 v6, s4
	flat_load_b64 v[6:7], v[6:7] offset:8
.LBB301_4:
	s_waitcnt vmcnt(1) lgkmcnt(1)
	v_cmp_eq_f64_e32 vcc_lo, 0, v[0:1]
	v_cmp_eq_f64_e64 s0, 0, v[2:3]
	s_delay_alu instid0(VALU_DEP_1)
	s_and_b32 s4, vcc_lo, s0
	s_mov_b32 s0, -1
	s_and_saveexec_b32 s1, s4
	s_cbranch_execz .LBB301_6
; %bb.5:
	s_waitcnt vmcnt(0) lgkmcnt(0)
	v_cmp_neq_f64_e32 vcc_lo, 1.0, v[4:5]
	v_cmp_neq_f64_e64 s0, 0, v[6:7]
	s_delay_alu instid0(VALU_DEP_1) | instskip(NEXT) | instid1(SALU_CYCLE_1)
	s_or_b32 s0, vcc_lo, s0
	s_or_not1_b32 s0, s0, exec_lo
.LBB301_6:
	s_or_b32 exec_lo, exec_lo, s1
	s_and_saveexec_b32 s1, s0
	s_cbranch_execz .LBB301_29
; %bb.7:
	s_load_b64 s[0:1], s[2:3], 0x0
	v_lshrrev_b32_e32 v8, 5, v10
	s_delay_alu instid0(VALU_DEP_1) | instskip(SKIP_1) | instid1(VALU_DEP_1)
	v_lshl_or_b32 v8, s15, 2, v8
	s_waitcnt lgkmcnt(0)
	v_cmp_gt_i32_e32 vcc_lo, s0, v8
	s_and_b32 exec_lo, exec_lo, vcc_lo
	s_cbranch_execz .LBB301_29
; %bb.8:
	s_load_b256 s[4:11], s[2:3], 0x18
	v_ashrrev_i32_e32 v9, 31, v8
	v_and_b32_e32 v26, 31, v10
	s_cmp_lg_u32 s1, 0
	s_delay_alu instid0(VALU_DEP_2) | instskip(SKIP_1) | instid1(VALU_DEP_1)
	v_lshlrev_b64 v[11:12], 2, v[8:9]
	s_waitcnt lgkmcnt(0)
	v_add_co_u32 v11, vcc_lo, s4, v11
	s_delay_alu instid0(VALU_DEP_2) | instskip(SKIP_4) | instid1(VALU_DEP_2)
	v_add_co_ci_u32_e32 v12, vcc_lo, s5, v12, vcc_lo
	global_load_b64 v[11:12], v[11:12], off
	s_waitcnt vmcnt(0)
	v_subrev_nc_u32_e32 v9, s12, v11
	v_subrev_nc_u32_e32 v27, s12, v12
	v_add_nc_u32_e32 v9, v9, v26
	s_delay_alu instid0(VALU_DEP_1)
	v_cmp_lt_i32_e64 s0, v9, v27
	s_cbranch_scc0 .LBB301_16
; %bb.9:
	v_mov_b32_e32 v11, 0
	v_mov_b32_e32 v12, 0
	s_delay_alu instid0(VALU_DEP_1)
	v_dual_mov_b32 v18, v12 :: v_dual_mov_b32 v17, v11
	v_dual_mov_b32 v14, v12 :: v_dual_mov_b32 v13, v11
	;; [unrolled: 1-line block ×3, first 2 shown]
	s_and_saveexec_b32 s1, s0
	s_cbranch_execz .LBB301_15
; %bb.10:
	v_dual_mov_b32 v11, 0 :: v_dual_mov_b32 v22, 0
	v_dual_mov_b32 v12, 0 :: v_dual_lshlrev_b32 v19, 5, v9
	v_mov_b32_e32 v23, v9
	s_add_u32 s13, s8, 16
	s_addc_u32 s15, s9, 0
	s_delay_alu instid0(VALU_DEP_2)
	v_or_b32_e32 v10, 6, v19
	v_dual_mov_b32 v18, v12 :: v_dual_mov_b32 v17, v11
	v_dual_mov_b32 v14, v12 :: v_dual_mov_b32 v13, v11
	;; [unrolled: 1-line block ×3, first 2 shown]
	s_mov_b32 s14, 0
.LBB301_11:                             ; =>This Loop Header: Depth=1
                                        ;     Child Loop BB301_12 Depth 2
	v_ashrrev_i32_e32 v24, 31, v23
	s_mov_b64 s[4:5], 0
	s_delay_alu instid0(VALU_DEP_1) | instskip(NEXT) | instid1(VALU_DEP_1)
	v_lshlrev_b64 v[20:21], 2, v[23:24]
	v_add_co_u32 v20, vcc_lo, s6, v20
	s_delay_alu instid0(VALU_DEP_2) | instskip(SKIP_3) | instid1(VALU_DEP_1)
	v_add_co_ci_u32_e32 v21, vcc_lo, s7, v21, vcc_lo
	global_load_b32 v20, v[20:21], off
	s_waitcnt vmcnt(0)
	v_subrev_nc_u32_e32 v21, s12, v20
	v_dual_mov_b32 v20, v22 :: v_dual_lshlrev_b32 v21, 4, v21
	s_delay_alu instid0(VALU_DEP_1) | instskip(NEXT) | instid1(VALU_DEP_2)
	v_lshlrev_b64 v[24:25], 4, v[19:20]
	v_lshlrev_b64 v[20:21], 4, v[21:22]
	s_delay_alu instid0(VALU_DEP_2) | instskip(NEXT) | instid1(VALU_DEP_3)
	v_add_co_u32 v24, vcc_lo, s13, v24
	v_add_co_ci_u32_e32 v25, vcc_lo, s15, v25, vcc_lo
	s_delay_alu instid0(VALU_DEP_3) | instskip(NEXT) | instid1(VALU_DEP_4)
	v_add_co_u32 v28, vcc_lo, s10, v20
	v_add_co_ci_u32_e32 v29, vcc_lo, s11, v21, vcc_lo
	v_mov_b32_e32 v20, v10
.LBB301_12:                             ;   Parent Loop BB301_11 Depth=1
                                        ; =>  This Inner Loop Header: Depth=2
	s_delay_alu instid0(VALU_DEP_3) | instskip(NEXT) | instid1(VALU_DEP_3)
	v_add_co_u32 v58, vcc_lo, v28, s4
	v_add_co_ci_u32_e32 v59, vcc_lo, s5, v29, vcc_lo
	s_delay_alu instid0(VALU_DEP_3)
	v_add_nc_u32_e32 v21, -4, v20
	s_clause 0x1
	global_load_b128 v[30:33], v[24:25], off
	global_load_b128 v[34:37], v[24:25], off offset:-16
	s_clause 0x1
	global_load_b128 v[38:41], v[58:59], off
	global_load_b128 v[42:45], v[58:59], off offset:16
	s_add_u32 s4, s4, 64
	s_addc_u32 s5, s5, 0
	s_cmpk_eq_i32 s4, 0x100
	v_lshlrev_b64 v[46:47], 4, v[21:22]
	v_add_nc_u32_e32 v21, -2, v20
	s_delay_alu instid0(VALU_DEP_2) | instskip(NEXT) | instid1(VALU_DEP_3)
	v_add_co_u32 v50, vcc_lo, s8, v46
	v_add_co_ci_u32_e32 v51, vcc_lo, s9, v47, vcc_lo
	s_clause 0x1
	global_load_b128 v[46:49], v[50:51], off
	global_load_b128 v[50:53], v[50:51], off offset:16
	v_lshlrev_b64 v[60:61], 4, v[21:22]
	global_load_b128 v[54:57], v[58:59], off offset:48
	v_mov_b32_e32 v21, v22
	v_add_co_u32 v66, vcc_lo, s8, v60
	v_add_co_ci_u32_e32 v67, vcc_lo, s9, v61, vcc_lo
	global_load_b128 v[58:61], v[58:59], off offset:32
	s_clause 0x1
	global_load_b128 v[62:65], v[66:67], off
	global_load_b128 v[66:69], v[66:67], off offset:16
	v_lshlrev_b64 v[70:71], 4, v[20:21]
	v_add_nc_u32_e32 v20, 8, v20
	s_delay_alu instid0(VALU_DEP_2) | instskip(NEXT) | instid1(VALU_DEP_3)
	v_add_co_u32 v74, vcc_lo, s8, v70
	v_add_co_ci_u32_e32 v75, vcc_lo, s9, v71, vcc_lo
	s_clause 0x1
	global_load_b128 v[70:73], v[74:75], off
	global_load_b128 v[74:77], v[74:75], off offset:16
	v_add_co_u32 v24, vcc_lo, 0x80, v24
	v_add_co_ci_u32_e32 v25, vcc_lo, 0, v25, vcc_lo
	s_waitcnt vmcnt(9)
	v_fma_f64 v[17:18], v[34:35], v[38:39], v[17:18]
	v_fma_f64 v[11:12], v[36:37], v[38:39], v[11:12]
	;; [unrolled: 1-line block ×4, first 2 shown]
	s_delay_alu instid0(VALU_DEP_4) | instskip(NEXT) | instid1(VALU_DEP_4)
	v_fma_f64 v[17:18], -v[36:37], v[40:41], v[17:18]
	v_fma_f64 v[11:12], v[34:35], v[40:41], v[11:12]
	s_delay_alu instid0(VALU_DEP_4) | instskip(NEXT) | instid1(VALU_DEP_4)
	v_fma_f64 v[13:14], -v[32:33], v[40:41], v[13:14]
	v_fma_f64 v[15:16], v[30:31], v[40:41], v[15:16]
	s_waitcnt vmcnt(7)
	s_delay_alu instid0(VALU_DEP_4) | instskip(NEXT) | instid1(VALU_DEP_4)
	v_fma_f64 v[17:18], v[46:47], v[42:43], v[17:18]
	v_fma_f64 v[11:12], v[48:49], v[42:43], v[11:12]
	s_waitcnt vmcnt(6)
	s_delay_alu instid0(VALU_DEP_4) | instskip(NEXT) | instid1(VALU_DEP_4)
	v_fma_f64 v[13:14], v[50:51], v[42:43], v[13:14]
	v_fma_f64 v[15:16], v[52:53], v[42:43], v[15:16]
	s_delay_alu instid0(VALU_DEP_4) | instskip(NEXT) | instid1(VALU_DEP_4)
	v_fma_f64 v[17:18], -v[48:49], v[44:45], v[17:18]
	v_fma_f64 v[11:12], v[46:47], v[44:45], v[11:12]
	s_delay_alu instid0(VALU_DEP_4) | instskip(NEXT) | instid1(VALU_DEP_4)
	v_fma_f64 v[13:14], -v[52:53], v[44:45], v[13:14]
	v_fma_f64 v[15:16], v[50:51], v[44:45], v[15:16]
	s_waitcnt vmcnt(3)
	s_delay_alu instid0(VALU_DEP_4) | instskip(NEXT) | instid1(VALU_DEP_4)
	v_fma_f64 v[17:18], v[62:63], v[58:59], v[17:18]
	v_fma_f64 v[11:12], v[64:65], v[58:59], v[11:12]
	s_waitcnt vmcnt(2)
	s_delay_alu instid0(VALU_DEP_4) | instskip(NEXT) | instid1(VALU_DEP_4)
	v_fma_f64 v[13:14], v[66:67], v[58:59], v[13:14]
	v_fma_f64 v[15:16], v[68:69], v[58:59], v[15:16]
	;; [unrolled: 14-line block ×3, first 2 shown]
	s_delay_alu instid0(VALU_DEP_4) | instskip(NEXT) | instid1(VALU_DEP_4)
	v_fma_f64 v[17:18], -v[72:73], v[56:57], v[17:18]
	v_fma_f64 v[11:12], v[70:71], v[56:57], v[11:12]
	s_delay_alu instid0(VALU_DEP_4) | instskip(NEXT) | instid1(VALU_DEP_4)
	v_fma_f64 v[13:14], -v[76:77], v[56:57], v[13:14]
	v_fma_f64 v[15:16], v[74:75], v[56:57], v[15:16]
	s_cbranch_scc0 .LBB301_12
; %bb.13:                               ;   in Loop: Header=BB301_11 Depth=1
	v_add_nc_u32_e32 v23, 32, v23
	v_add_nc_u32_e32 v10, 0x400, v10
	;; [unrolled: 1-line block ×3, first 2 shown]
	s_delay_alu instid0(VALU_DEP_3) | instskip(SKIP_1) | instid1(SALU_CYCLE_1)
	v_cmp_ge_i32_e32 vcc_lo, v23, v27
	s_or_b32 s14, vcc_lo, s14
	s_and_not1_b32 exec_lo, exec_lo, s14
	s_cbranch_execnz .LBB301_11
; %bb.14:
	s_or_b32 exec_lo, exec_lo, s14
.LBB301_15:
	s_delay_alu instid0(SALU_CYCLE_1)
	s_or_b32 exec_lo, exec_lo, s1
	s_cbranch_execz .LBB301_17
	s_branch .LBB301_24
.LBB301_16:
                                        ; implicit-def: $vgpr11_vgpr12
                                        ; implicit-def: $vgpr17_vgpr18
                                        ; implicit-def: $vgpr13_vgpr14
                                        ; implicit-def: $vgpr15_vgpr16
.LBB301_17:
	v_mov_b32_e32 v11, 0
	v_mov_b32_e32 v12, 0
	s_delay_alu instid0(VALU_DEP_1)
	v_dual_mov_b32 v18, v12 :: v_dual_mov_b32 v17, v11
	v_dual_mov_b32 v14, v12 :: v_dual_mov_b32 v13, v11
	;; [unrolled: 1-line block ×3, first 2 shown]
	s_and_saveexec_b32 s4, s0
	s_cbranch_execz .LBB301_23
; %bb.18:
	v_dual_mov_b32 v11, 0 :: v_dual_mov_b32 v20, 0
	v_dual_mov_b32 v12, 0 :: v_dual_lshlrev_b32 v19, 5, v9
	s_mov_b32 s5, 0
	s_delay_alu instid0(VALU_DEP_1)
	v_dual_mov_b32 v18, v12 :: v_dual_mov_b32 v17, v11
	v_dual_mov_b32 v14, v12 :: v_dual_mov_b32 v13, v11
	;; [unrolled: 1-line block ×3, first 2 shown]
.LBB301_19:                             ; =>This Loop Header: Depth=1
                                        ;     Child Loop BB301_20 Depth 2
	v_ashrrev_i32_e32 v10, 31, v9
	v_lshlrev_b64 v[23:24], 4, v[19:20]
	s_mov_b64 s[0:1], 0
	s_delay_alu instid0(VALU_DEP_2) | instskip(NEXT) | instid1(VALU_DEP_1)
	v_lshlrev_b64 v[21:22], 2, v[9:10]
	v_add_co_u32 v21, vcc_lo, s6, v21
	s_delay_alu instid0(VALU_DEP_2) | instskip(SKIP_3) | instid1(VALU_DEP_1)
	v_add_co_ci_u32_e32 v22, vcc_lo, s7, v22, vcc_lo
	global_load_b32 v10, v[21:22], off
	s_waitcnt vmcnt(0)
	v_subrev_nc_u32_e32 v10, s12, v10
	v_dual_mov_b32 v22, v20 :: v_dual_lshlrev_b32 v21, 4, v10
	v_add_co_u32 v10, vcc_lo, s8, v23
	s_delay_alu instid0(VALU_DEP_2) | instskip(SKIP_1) | instid1(VALU_DEP_2)
	v_lshlrev_b64 v[28:29], 4, v[21:22]
	v_add_co_ci_u32_e32 v21, vcc_lo, s9, v24, vcc_lo
	v_add_co_u32 v22, vcc_lo, s10, v28
	s_delay_alu instid0(VALU_DEP_3)
	v_add_co_ci_u32_e32 v23, vcc_lo, s11, v29, vcc_lo
.LBB301_20:                             ;   Parent Loop BB301_19 Depth=1
                                        ; =>  This Inner Loop Header: Depth=2
	v_add_co_u32 v24, vcc_lo, v10, s0
	s_delay_alu instid0(VALU_DEP_4) | instskip(NEXT) | instid1(VALU_DEP_4)
	v_add_co_ci_u32_e32 v25, vcc_lo, s1, v21, vcc_lo
	v_add_co_u32 v68, vcc_lo, v22, s0
	s_delay_alu instid0(VALU_DEP_4)
	v_add_co_ci_u32_e32 v69, vcc_lo, s1, v23, vcc_lo
	s_add_u32 s0, s0, 64
	global_load_b128 v[28:31], v[24:25], off
	global_load_b128 v[32:35], v[68:69], off
	s_clause 0x1
	global_load_b128 v[36:39], v[24:25], off offset:256
	global_load_b128 v[40:43], v[24:25], off offset:16
	global_load_b128 v[44:47], v[68:69], off offset:16
	s_clause 0x1
	global_load_b128 v[48:51], v[24:25], off offset:272
	global_load_b128 v[52:55], v[24:25], off offset:32
	global_load_b128 v[56:59], v[68:69], off offset:32
	;; [unrolled: 4-line block ×3, first 2 shown]
	global_load_b128 v[72:75], v[24:25], off offset:304
	s_addc_u32 s1, s1, 0
	s_cmpk_eq_i32 s0, 0x100
	s_waitcnt vmcnt(10)
	v_fma_f64 v[17:18], v[28:29], v[32:33], v[17:18]
	v_fma_f64 v[11:12], v[30:31], v[32:33], v[11:12]
	s_waitcnt vmcnt(9)
	v_fma_f64 v[13:14], v[36:37], v[32:33], v[13:14]
	v_fma_f64 v[15:16], v[38:39], v[32:33], v[15:16]
	s_delay_alu instid0(VALU_DEP_4) | instskip(NEXT) | instid1(VALU_DEP_4)
	v_fma_f64 v[17:18], -v[30:31], v[34:35], v[17:18]
	v_fma_f64 v[11:12], v[28:29], v[34:35], v[11:12]
	s_delay_alu instid0(VALU_DEP_4) | instskip(NEXT) | instid1(VALU_DEP_4)
	v_fma_f64 v[13:14], -v[38:39], v[34:35], v[13:14]
	v_fma_f64 v[15:16], v[36:37], v[34:35], v[15:16]
	s_waitcnt vmcnt(7)
	s_delay_alu instid0(VALU_DEP_4) | instskip(NEXT) | instid1(VALU_DEP_4)
	v_fma_f64 v[17:18], v[40:41], v[44:45], v[17:18]
	v_fma_f64 v[11:12], v[42:43], v[44:45], v[11:12]
	s_waitcnt vmcnt(6)
	s_delay_alu instid0(VALU_DEP_4) | instskip(NEXT) | instid1(VALU_DEP_4)
	v_fma_f64 v[13:14], v[48:49], v[44:45], v[13:14]
	v_fma_f64 v[15:16], v[50:51], v[44:45], v[15:16]
	s_delay_alu instid0(VALU_DEP_4) | instskip(NEXT) | instid1(VALU_DEP_4)
	v_fma_f64 v[17:18], -v[42:43], v[46:47], v[17:18]
	v_fma_f64 v[11:12], v[40:41], v[46:47], v[11:12]
	s_delay_alu instid0(VALU_DEP_4) | instskip(NEXT) | instid1(VALU_DEP_4)
	v_fma_f64 v[13:14], -v[50:51], v[46:47], v[13:14]
	v_fma_f64 v[15:16], v[48:49], v[46:47], v[15:16]
	s_waitcnt vmcnt(4)
	s_delay_alu instid0(VALU_DEP_4) | instskip(NEXT) | instid1(VALU_DEP_4)
	v_fma_f64 v[17:18], v[52:53], v[56:57], v[17:18]
	v_fma_f64 v[11:12], v[54:55], v[56:57], v[11:12]
	s_waitcnt vmcnt(3)
	s_delay_alu instid0(VALU_DEP_4) | instskip(NEXT) | instid1(VALU_DEP_4)
	v_fma_f64 v[13:14], v[60:61], v[56:57], v[13:14]
	v_fma_f64 v[15:16], v[62:63], v[56:57], v[15:16]
	s_delay_alu instid0(VALU_DEP_4) | instskip(NEXT) | instid1(VALU_DEP_4)
	v_fma_f64 v[17:18], -v[54:55], v[58:59], v[17:18]
	v_fma_f64 v[11:12], v[52:53], v[58:59], v[11:12]
	s_delay_alu instid0(VALU_DEP_4) | instskip(NEXT) | instid1(VALU_DEP_4)
	v_fma_f64 v[13:14], -v[62:63], v[58:59], v[13:14]
	v_fma_f64 v[15:16], v[60:61], v[58:59], v[15:16]
	s_waitcnt vmcnt(1)
	s_delay_alu instid0(VALU_DEP_4) | instskip(NEXT) | instid1(VALU_DEP_4)
	v_fma_f64 v[17:18], v[64:65], v[68:69], v[17:18]
	v_fma_f64 v[11:12], v[66:67], v[68:69], v[11:12]
	s_waitcnt vmcnt(0)
	s_delay_alu instid0(VALU_DEP_4) | instskip(NEXT) | instid1(VALU_DEP_4)
	v_fma_f64 v[13:14], v[72:73], v[68:69], v[13:14]
	v_fma_f64 v[15:16], v[74:75], v[68:69], v[15:16]
	s_delay_alu instid0(VALU_DEP_4) | instskip(NEXT) | instid1(VALU_DEP_4)
	v_fma_f64 v[17:18], -v[66:67], v[70:71], v[17:18]
	v_fma_f64 v[11:12], v[64:65], v[70:71], v[11:12]
	s_delay_alu instid0(VALU_DEP_4) | instskip(NEXT) | instid1(VALU_DEP_4)
	v_fma_f64 v[13:14], -v[74:75], v[70:71], v[13:14]
	v_fma_f64 v[15:16], v[72:73], v[70:71], v[15:16]
	s_cbranch_scc0 .LBB301_20
; %bb.21:                               ;   in Loop: Header=BB301_19 Depth=1
	v_add_nc_u32_e32 v9, 32, v9
	v_add_nc_u32_e32 v19, 0x400, v19
	s_delay_alu instid0(VALU_DEP_2) | instskip(SKIP_1) | instid1(SALU_CYCLE_1)
	v_cmp_ge_i32_e32 vcc_lo, v9, v27
	s_or_b32 s5, vcc_lo, s5
	s_and_not1_b32 exec_lo, exec_lo, s5
	s_cbranch_execnz .LBB301_19
; %bb.22:
	s_or_b32 exec_lo, exec_lo, s5
.LBB301_23:
	s_delay_alu instid0(SALU_CYCLE_1)
	s_or_b32 exec_lo, exec_lo, s4
.LBB301_24:
	v_mbcnt_lo_u32_b32 v25, -1, 0
	s_delay_alu instid0(VALU_DEP_1) | instskip(NEXT) | instid1(VALU_DEP_1)
	v_xor_b32_e32 v9, 16, v25
	v_cmp_gt_i32_e32 vcc_lo, 32, v9
	v_cndmask_b32_e32 v9, v25, v9, vcc_lo
	s_delay_alu instid0(VALU_DEP_1)
	v_lshlrev_b32_e32 v24, 2, v9
	ds_bpermute_b32 v9, v24, v17
	ds_bpermute_b32 v10, v24, v18
	ds_bpermute_b32 v19, v24, v11
	ds_bpermute_b32 v20, v24, v12
	ds_bpermute_b32 v21, v24, v13
	ds_bpermute_b32 v22, v24, v14
	ds_bpermute_b32 v23, v24, v15
	ds_bpermute_b32 v24, v24, v16
	s_waitcnt lgkmcnt(6)
	v_add_f64 v[9:10], v[17:18], v[9:10]
	v_xor_b32_e32 v17, 8, v25
	s_waitcnt lgkmcnt(4)
	v_add_f64 v[11:12], v[11:12], v[19:20]
	s_waitcnt lgkmcnt(2)
	v_add_f64 v[13:14], v[13:14], v[21:22]
	;; [unrolled: 2-line block ×3, first 2 shown]
	v_cmp_gt_i32_e32 vcc_lo, 32, v17
	v_cndmask_b32_e32 v17, v25, v17, vcc_lo
	s_delay_alu instid0(VALU_DEP_1)
	v_lshlrev_b32_e32 v24, 2, v17
	ds_bpermute_b32 v17, v24, v9
	ds_bpermute_b32 v18, v24, v10
	;; [unrolled: 1-line block ×8, first 2 shown]
	s_waitcnt lgkmcnt(6)
	v_add_f64 v[9:10], v[9:10], v[17:18]
	v_xor_b32_e32 v17, 4, v25
	s_waitcnt lgkmcnt(4)
	v_add_f64 v[11:12], v[11:12], v[19:20]
	s_waitcnt lgkmcnt(2)
	v_add_f64 v[13:14], v[13:14], v[21:22]
	s_waitcnt lgkmcnt(0)
	v_add_f64 v[15:16], v[15:16], v[23:24]
	v_cmp_gt_i32_e32 vcc_lo, 32, v17
	v_cndmask_b32_e32 v17, v25, v17, vcc_lo
	s_delay_alu instid0(VALU_DEP_1)
	v_lshlrev_b32_e32 v24, 2, v17
	ds_bpermute_b32 v17, v24, v9
	ds_bpermute_b32 v18, v24, v10
	;; [unrolled: 1-line block ×8, first 2 shown]
	s_waitcnt lgkmcnt(6)
	v_add_f64 v[9:10], v[9:10], v[17:18]
	s_waitcnt lgkmcnt(4)
	v_add_f64 v[11:12], v[11:12], v[19:20]
	;; [unrolled: 2-line block ×4, first 2 shown]
	v_xor_b32_e32 v15, 2, v25
	s_delay_alu instid0(VALU_DEP_1) | instskip(SKIP_1) | instid1(VALU_DEP_1)
	v_cmp_gt_i32_e32 vcc_lo, 32, v15
	v_cndmask_b32_e32 v15, v25, v15, vcc_lo
	v_lshlrev_b32_e32 v24, 2, v15
	ds_bpermute_b32 v15, v24, v9
	ds_bpermute_b32 v16, v24, v10
	;; [unrolled: 1-line block ×8, first 2 shown]
	s_waitcnt lgkmcnt(6)
	v_add_f64 v[9:10], v[9:10], v[15:16]
	s_waitcnt lgkmcnt(4)
	v_add_f64 v[15:16], v[11:12], v[19:20]
	;; [unrolled: 2-line block ×4, first 2 shown]
	v_xor_b32_e32 v17, 1, v25
	s_delay_alu instid0(VALU_DEP_1) | instskip(SKIP_2) | instid1(VALU_DEP_2)
	v_cmp_gt_i32_e32 vcc_lo, 32, v17
	v_cndmask_b32_e32 v17, v25, v17, vcc_lo
	v_cmp_eq_u32_e32 vcc_lo, 31, v26
	v_lshlrev_b32_e32 v20, 2, v17
	ds_bpermute_b32 v23, v20, v9
	ds_bpermute_b32 v24, v20, v10
	;; [unrolled: 1-line block ×8, first 2 shown]
	s_and_b32 exec_lo, exec_lo, vcc_lo
	s_cbranch_execz .LBB301_29
; %bb.25:
	v_cmp_eq_f64_e32 vcc_lo, 0, v[4:5]
	v_cmp_eq_f64_e64 s0, 0, v[6:7]
	s_waitcnt lgkmcnt(6)
	v_add_f64 v[9:10], v[9:10], v[23:24]
	s_waitcnt lgkmcnt(4)
	v_add_f64 v[15:16], v[15:16], v[21:22]
	;; [unrolled: 2-line block ×4, first 2 shown]
	s_load_b64 s[2:3], s[2:3], 0x48
	s_and_b32 s0, vcc_lo, s0
	s_delay_alu instid0(SALU_CYCLE_1) | instskip(NEXT) | instid1(SALU_CYCLE_1)
	s_and_saveexec_b32 s1, s0
	s_xor_b32 s0, exec_lo, s1
	s_cbranch_execz .LBB301_27
; %bb.26:
	s_delay_alu instid0(VALU_DEP_3) | instskip(SKIP_1) | instid1(VALU_DEP_3)
	v_mul_f64 v[4:5], v[15:16], -v[2:3]
	v_mul_f64 v[6:7], v[0:1], v[15:16]
	v_mul_f64 v[15:16], v[13:14], -v[2:3]
	v_mul_f64 v[13:14], v[0:1], v[13:14]
	v_lshlrev_b32_e32 v8, 1, v8
	v_fma_f64 v[4:5], v[0:1], v[9:10], v[4:5]
	v_fma_f64 v[6:7], v[2:3], v[9:10], v[6:7]
	;; [unrolled: 1-line block ×4, first 2 shown]
	v_ashrrev_i32_e32 v9, 31, v8
                                        ; implicit-def: $vgpr15_vgpr16
                                        ; implicit-def: $vgpr11_vgpr12
                                        ; implicit-def: $vgpr13_vgpr14
	s_delay_alu instid0(VALU_DEP_1) | instskip(SKIP_1) | instid1(VALU_DEP_1)
	v_lshlrev_b64 v[8:9], 4, v[8:9]
	s_waitcnt lgkmcnt(0)
	v_add_co_u32 v8, vcc_lo, s2, v8
	s_delay_alu instid0(VALU_DEP_2)
	v_add_co_ci_u32_e32 v9, vcc_lo, s3, v9, vcc_lo
	s_clause 0x1
	global_store_b128 v[8:9], v[4:7], off
	global_store_b128 v[8:9], v[0:3], off offset:16
                                        ; implicit-def: $vgpr0_vgpr1
                                        ; implicit-def: $vgpr2_vgpr3
                                        ; implicit-def: $vgpr4_vgpr5
                                        ; implicit-def: $vgpr6_vgpr7
                                        ; implicit-def: $vgpr8
                                        ; implicit-def: $vgpr9_vgpr10
.LBB301_27:
	s_and_not1_saveexec_b32 s0, s0
	s_cbranch_execz .LBB301_29
; %bb.28:
	v_lshlrev_b32_e32 v17, 1, v8
	s_delay_alu instid0(VALU_DEP_4) | instskip(SKIP_1) | instid1(VALU_DEP_4)
	v_mul_f64 v[27:28], v[15:16], -v[2:3]
	v_mul_f64 v[15:16], v[0:1], v[15:16]
	v_mul_f64 v[29:30], v[13:14], -v[2:3]
	v_mul_f64 v[13:14], v[0:1], v[13:14]
	v_ashrrev_i32_e32 v18, 31, v17
	s_delay_alu instid0(VALU_DEP_1) | instskip(SKIP_1) | instid1(VALU_DEP_1)
	v_lshlrev_b64 v[17:18], 4, v[17:18]
	s_waitcnt lgkmcnt(0)
	v_add_co_u32 v25, vcc_lo, s2, v17
	s_delay_alu instid0(VALU_DEP_2)
	v_add_co_ci_u32_e32 v26, vcc_lo, s3, v18, vcc_lo
	s_clause 0x1
	global_load_b128 v[17:20], v[25:26], off
	global_load_b128 v[21:24], v[25:26], off offset:16
	v_fma_f64 v[27:28], v[0:1], v[9:10], v[27:28]
	v_fma_f64 v[8:9], v[2:3], v[9:10], v[15:16]
	;; [unrolled: 1-line block ×4, first 2 shown]
	s_waitcnt vmcnt(1)
	s_delay_alu instid0(VALU_DEP_4) | instskip(NEXT) | instid1(VALU_DEP_4)
	v_fma_f64 v[10:11], v[4:5], v[17:18], v[27:28]
	v_fma_f64 v[8:9], v[6:7], v[17:18], v[8:9]
	s_waitcnt vmcnt(0)
	s_delay_alu instid0(VALU_DEP_4) | instskip(NEXT) | instid1(VALU_DEP_4)
	v_fma_f64 v[12:13], v[4:5], v[21:22], v[0:1]
	v_fma_f64 v[14:15], v[6:7], v[21:22], v[2:3]
	s_delay_alu instid0(VALU_DEP_4) | instskip(NEXT) | instid1(VALU_DEP_4)
	v_fma_f64 v[0:1], -v[6:7], v[19:20], v[10:11]
	v_fma_f64 v[2:3], v[4:5], v[19:20], v[8:9]
	s_delay_alu instid0(VALU_DEP_4) | instskip(NEXT) | instid1(VALU_DEP_4)
	v_fma_f64 v[6:7], -v[6:7], v[23:24], v[12:13]
	v_fma_f64 v[8:9], v[4:5], v[23:24], v[14:15]
	s_clause 0x1
	global_store_b128 v[25:26], v[0:3], off
	global_store_b128 v[25:26], v[6:9], off offset:16
.LBB301_29:
	s_nop 0
	s_sendmsg sendmsg(MSG_DEALLOC_VGPRS)
	s_endpgm
	.section	.rodata,"a",@progbits
	.p2align	6, 0x0
	.amdhsa_kernel _ZN9rocsparseL19gebsrmvn_2xn_kernelILj128ELj16ELj32E21rocsparse_complex_numIdEEEvi20rocsparse_direction_NS_24const_host_device_scalarIT2_EEPKiS8_PKS5_SA_S6_PS5_21rocsparse_index_base_b
		.amdhsa_group_segment_fixed_size 2048
		.amdhsa_private_segment_fixed_size 0
		.amdhsa_kernarg_size 88
		.amdhsa_user_sgpr_count 15
		.amdhsa_user_sgpr_dispatch_ptr 1
		.amdhsa_user_sgpr_queue_ptr 0
		.amdhsa_user_sgpr_kernarg_segment_ptr 1
		.amdhsa_user_sgpr_dispatch_id 0
		.amdhsa_user_sgpr_private_segment_size 0
		.amdhsa_wavefront_size32 1
		.amdhsa_uses_dynamic_stack 0
		.amdhsa_enable_private_segment 0
		.amdhsa_system_sgpr_workgroup_id_x 1
		.amdhsa_system_sgpr_workgroup_id_y 0
		.amdhsa_system_sgpr_workgroup_id_z 0
		.amdhsa_system_sgpr_workgroup_info 0
		.amdhsa_system_vgpr_workitem_id 2
		.amdhsa_next_free_vgpr 78
		.amdhsa_next_free_sgpr 18
		.amdhsa_reserve_vcc 1
		.amdhsa_float_round_mode_32 0
		.amdhsa_float_round_mode_16_64 0
		.amdhsa_float_denorm_mode_32 3
		.amdhsa_float_denorm_mode_16_64 3
		.amdhsa_dx10_clamp 1
		.amdhsa_ieee_mode 1
		.amdhsa_fp16_overflow 0
		.amdhsa_workgroup_processor_mode 1
		.amdhsa_memory_ordered 1
		.amdhsa_forward_progress 0
		.amdhsa_shared_vgpr_count 0
		.amdhsa_exception_fp_ieee_invalid_op 0
		.amdhsa_exception_fp_denorm_src 0
		.amdhsa_exception_fp_ieee_div_zero 0
		.amdhsa_exception_fp_ieee_overflow 0
		.amdhsa_exception_fp_ieee_underflow 0
		.amdhsa_exception_fp_ieee_inexact 0
		.amdhsa_exception_int_div_zero 0
	.end_amdhsa_kernel
	.section	.text._ZN9rocsparseL19gebsrmvn_2xn_kernelILj128ELj16ELj32E21rocsparse_complex_numIdEEEvi20rocsparse_direction_NS_24const_host_device_scalarIT2_EEPKiS8_PKS5_SA_S6_PS5_21rocsparse_index_base_b,"axG",@progbits,_ZN9rocsparseL19gebsrmvn_2xn_kernelILj128ELj16ELj32E21rocsparse_complex_numIdEEEvi20rocsparse_direction_NS_24const_host_device_scalarIT2_EEPKiS8_PKS5_SA_S6_PS5_21rocsparse_index_base_b,comdat
.Lfunc_end301:
	.size	_ZN9rocsparseL19gebsrmvn_2xn_kernelILj128ELj16ELj32E21rocsparse_complex_numIdEEEvi20rocsparse_direction_NS_24const_host_device_scalarIT2_EEPKiS8_PKS5_SA_S6_PS5_21rocsparse_index_base_b, .Lfunc_end301-_ZN9rocsparseL19gebsrmvn_2xn_kernelILj128ELj16ELj32E21rocsparse_complex_numIdEEEvi20rocsparse_direction_NS_24const_host_device_scalarIT2_EEPKiS8_PKS5_SA_S6_PS5_21rocsparse_index_base_b
                                        ; -- End function
	.section	.AMDGPU.csdata,"",@progbits
; Kernel info:
; codeLenInByte = 3196
; NumSgprs: 20
; NumVgprs: 78
; ScratchSize: 0
; MemoryBound: 1
; FloatMode: 240
; IeeeMode: 1
; LDSByteSize: 2048 bytes/workgroup (compile time only)
; SGPRBlocks: 2
; VGPRBlocks: 9
; NumSGPRsForWavesPerEU: 20
; NumVGPRsForWavesPerEU: 78
; Occupancy: 16
; WaveLimiterHint : 1
; COMPUTE_PGM_RSRC2:SCRATCH_EN: 0
; COMPUTE_PGM_RSRC2:USER_SGPR: 15
; COMPUTE_PGM_RSRC2:TRAP_HANDLER: 0
; COMPUTE_PGM_RSRC2:TGID_X_EN: 1
; COMPUTE_PGM_RSRC2:TGID_Y_EN: 0
; COMPUTE_PGM_RSRC2:TGID_Z_EN: 0
; COMPUTE_PGM_RSRC2:TIDIG_COMP_CNT: 2
	.section	.text._ZN9rocsparseL19gebsrmvn_2xn_kernelILj128ELj16ELj64E21rocsparse_complex_numIdEEEvi20rocsparse_direction_NS_24const_host_device_scalarIT2_EEPKiS8_PKS5_SA_S6_PS5_21rocsparse_index_base_b,"axG",@progbits,_ZN9rocsparseL19gebsrmvn_2xn_kernelILj128ELj16ELj64E21rocsparse_complex_numIdEEEvi20rocsparse_direction_NS_24const_host_device_scalarIT2_EEPKiS8_PKS5_SA_S6_PS5_21rocsparse_index_base_b,comdat
	.globl	_ZN9rocsparseL19gebsrmvn_2xn_kernelILj128ELj16ELj64E21rocsparse_complex_numIdEEEvi20rocsparse_direction_NS_24const_host_device_scalarIT2_EEPKiS8_PKS5_SA_S6_PS5_21rocsparse_index_base_b ; -- Begin function _ZN9rocsparseL19gebsrmvn_2xn_kernelILj128ELj16ELj64E21rocsparse_complex_numIdEEEvi20rocsparse_direction_NS_24const_host_device_scalarIT2_EEPKiS8_PKS5_SA_S6_PS5_21rocsparse_index_base_b
	.p2align	8
	.type	_ZN9rocsparseL19gebsrmvn_2xn_kernelILj128ELj16ELj64E21rocsparse_complex_numIdEEEvi20rocsparse_direction_NS_24const_host_device_scalarIT2_EEPKiS8_PKS5_SA_S6_PS5_21rocsparse_index_base_b,@function
_ZN9rocsparseL19gebsrmvn_2xn_kernelILj128ELj16ELj64E21rocsparse_complex_numIdEEEvi20rocsparse_direction_NS_24const_host_device_scalarIT2_EEPKiS8_PKS5_SA_S6_PS5_21rocsparse_index_base_b: ; @_ZN9rocsparseL19gebsrmvn_2xn_kernelILj128ELj16ELj64E21rocsparse_complex_numIdEEEvi20rocsparse_direction_NS_24const_host_device_scalarIT2_EEPKiS8_PKS5_SA_S6_PS5_21rocsparse_index_base_b
; %bb.0:
	s_load_b64 s[12:13], s[2:3], 0x50
	s_load_b64 s[16:17], s[0:1], 0x4
	s_load_b128 s[8:11], s[2:3], 0x8
	v_bfe_u32 v1, v0, 10, 10
	s_mov_b64 s[0:1], src_shared_base
	s_load_b128 s[4:7], s[2:3], 0x38
	v_and_b32_e32 v10, 0x3ff, v0
	v_bfe_u32 v0, v0, 20, 10
	s_waitcnt lgkmcnt(0)
	s_bitcmp1_b32 s13, 0
	v_mul_u32_u24_e32 v1, s17, v1
	s_cselect_b32 s0, -1, 0
	s_delay_alu instid0(SALU_CYCLE_1)
	s_and_b32 vcc_lo, s0, exec_lo
	s_cselect_b32 s13, s1, s9
	s_lshr_b32 s14, s16, 16
	v_dual_mov_b32 v2, s4 :: v_dual_mov_b32 v3, s5
	s_mul_i32 s14, s14, s17
	v_mov_b32_e32 v6, s13
	v_mad_u32_u24 v1, s14, v10, v1
	s_delay_alu instid0(VALU_DEP_1) | instskip(SKIP_1) | instid1(VALU_DEP_2)
	v_add_lshl_u32 v4, v1, v0, 3
	v_dual_mov_b32 v0, s8 :: v_dual_mov_b32 v1, s9
	v_add_nc_u32_e32 v5, 0x400, v4
	ds_store_2addr_stride64_b64 v4, v[2:3], v[0:1] offset1:2
	v_dual_mov_b32 v2, s10 :: v_dual_mov_b32 v3, s11
	v_cndmask_b32_e64 v5, s8, v5, s0
	s_xor_b32 s10, s0, -1
	flat_load_b64 v[0:1], v[5:6]
	s_cbranch_vccnz .LBB302_2
; %bb.1:
	v_dual_mov_b32 v2, s8 :: v_dual_mov_b32 v3, s9
	flat_load_b64 v[2:3], v[2:3] offset:8
.LBB302_2:
	s_and_b32 s8, s0, exec_lo
	s_cselect_b32 s1, s1, s5
	v_cndmask_b32_e64 v4, s4, v4, s0
	v_dual_mov_b32 v5, s1 :: v_dual_mov_b32 v6, s6
	v_mov_b32_e32 v7, s7
	s_and_not1_b32 vcc_lo, exec_lo, s10
	flat_load_b64 v[4:5], v[4:5]
	s_cbranch_vccnz .LBB302_4
; %bb.3:
	v_dual_mov_b32 v7, s5 :: v_dual_mov_b32 v6, s4
	flat_load_b64 v[6:7], v[6:7] offset:8
.LBB302_4:
	s_waitcnt vmcnt(1) lgkmcnt(1)
	v_cmp_eq_f64_e32 vcc_lo, 0, v[0:1]
	v_cmp_eq_f64_e64 s0, 0, v[2:3]
	s_delay_alu instid0(VALU_DEP_1)
	s_and_b32 s4, vcc_lo, s0
	s_mov_b32 s0, -1
	s_and_saveexec_b32 s1, s4
	s_cbranch_execz .LBB302_6
; %bb.5:
	s_waitcnt vmcnt(0) lgkmcnt(0)
	v_cmp_neq_f64_e32 vcc_lo, 1.0, v[4:5]
	v_cmp_neq_f64_e64 s0, 0, v[6:7]
	s_delay_alu instid0(VALU_DEP_1) | instskip(NEXT) | instid1(SALU_CYCLE_1)
	s_or_b32 s0, vcc_lo, s0
	s_or_not1_b32 s0, s0, exec_lo
.LBB302_6:
	s_or_b32 exec_lo, exec_lo, s1
	s_and_saveexec_b32 s1, s0
	s_cbranch_execz .LBB302_29
; %bb.7:
	s_load_b64 s[0:1], s[2:3], 0x0
	v_lshrrev_b32_e32 v8, 6, v10
	s_delay_alu instid0(VALU_DEP_1) | instskip(SKIP_1) | instid1(VALU_DEP_1)
	v_lshl_or_b32 v8, s15, 1, v8
	s_waitcnt lgkmcnt(0)
	v_cmp_gt_i32_e32 vcc_lo, s0, v8
	s_and_b32 exec_lo, exec_lo, vcc_lo
	s_cbranch_execz .LBB302_29
; %bb.8:
	s_load_b256 s[4:11], s[2:3], 0x18
	v_ashrrev_i32_e32 v9, 31, v8
	v_and_b32_e32 v26, 63, v10
	s_cmp_lg_u32 s1, 0
	s_delay_alu instid0(VALU_DEP_2) | instskip(SKIP_1) | instid1(VALU_DEP_1)
	v_lshlrev_b64 v[11:12], 2, v[8:9]
	s_waitcnt lgkmcnt(0)
	v_add_co_u32 v11, vcc_lo, s4, v11
	s_delay_alu instid0(VALU_DEP_2) | instskip(SKIP_4) | instid1(VALU_DEP_2)
	v_add_co_ci_u32_e32 v12, vcc_lo, s5, v12, vcc_lo
	global_load_b64 v[11:12], v[11:12], off
	s_waitcnt vmcnt(0)
	v_subrev_nc_u32_e32 v9, s12, v11
	v_subrev_nc_u32_e32 v27, s12, v12
	v_add_nc_u32_e32 v15, v9, v26
	s_delay_alu instid0(VALU_DEP_1)
	v_cmp_lt_i32_e64 s0, v15, v27
	s_cbranch_scc0 .LBB302_16
; %bb.9:
	v_mov_b32_e32 v9, 0
	v_mov_b32_e32 v10, 0
	s_delay_alu instid0(VALU_DEP_1)
	v_dual_mov_b32 v18, v10 :: v_dual_mov_b32 v17, v9
	v_dual_mov_b32 v12, v10 :: v_dual_mov_b32 v11, v9
	;; [unrolled: 1-line block ×3, first 2 shown]
	s_and_saveexec_b32 s1, s0
	s_cbranch_execz .LBB302_15
; %bb.10:
	v_dual_mov_b32 v9, 0 :: v_dual_mov_b32 v22, 0
	v_dual_mov_b32 v10, 0 :: v_dual_lshlrev_b32 v19, 5, v15
	v_mov_b32_e32 v23, v15
	s_add_u32 s13, s8, 16
	s_addc_u32 s15, s9, 0
	s_delay_alu instid0(VALU_DEP_2)
	v_or_b32_e32 v16, 6, v19
	v_dual_mov_b32 v18, v10 :: v_dual_mov_b32 v17, v9
	v_dual_mov_b32 v12, v10 :: v_dual_mov_b32 v11, v9
	;; [unrolled: 1-line block ×3, first 2 shown]
	s_mov_b32 s14, 0
.LBB302_11:                             ; =>This Loop Header: Depth=1
                                        ;     Child Loop BB302_12 Depth 2
	v_ashrrev_i32_e32 v24, 31, v23
	s_mov_b64 s[4:5], 0
	s_delay_alu instid0(VALU_DEP_1) | instskip(NEXT) | instid1(VALU_DEP_1)
	v_lshlrev_b64 v[20:21], 2, v[23:24]
	v_add_co_u32 v20, vcc_lo, s6, v20
	s_delay_alu instid0(VALU_DEP_2) | instskip(SKIP_3) | instid1(VALU_DEP_1)
	v_add_co_ci_u32_e32 v21, vcc_lo, s7, v21, vcc_lo
	global_load_b32 v20, v[20:21], off
	s_waitcnt vmcnt(0)
	v_subrev_nc_u32_e32 v21, s12, v20
	v_dual_mov_b32 v20, v22 :: v_dual_lshlrev_b32 v21, 4, v21
	s_delay_alu instid0(VALU_DEP_1) | instskip(NEXT) | instid1(VALU_DEP_2)
	v_lshlrev_b64 v[24:25], 4, v[19:20]
	v_lshlrev_b64 v[20:21], 4, v[21:22]
	s_delay_alu instid0(VALU_DEP_2) | instskip(NEXT) | instid1(VALU_DEP_3)
	v_add_co_u32 v24, vcc_lo, s13, v24
	v_add_co_ci_u32_e32 v25, vcc_lo, s15, v25, vcc_lo
	s_delay_alu instid0(VALU_DEP_3) | instskip(NEXT) | instid1(VALU_DEP_4)
	v_add_co_u32 v28, vcc_lo, s10, v20
	v_add_co_ci_u32_e32 v29, vcc_lo, s11, v21, vcc_lo
	v_mov_b32_e32 v20, v16
.LBB302_12:                             ;   Parent Loop BB302_11 Depth=1
                                        ; =>  This Inner Loop Header: Depth=2
	s_delay_alu instid0(VALU_DEP_3) | instskip(NEXT) | instid1(VALU_DEP_3)
	v_add_co_u32 v58, vcc_lo, v28, s4
	v_add_co_ci_u32_e32 v59, vcc_lo, s5, v29, vcc_lo
	s_delay_alu instid0(VALU_DEP_3)
	v_add_nc_u32_e32 v21, -4, v20
	s_clause 0x1
	global_load_b128 v[30:33], v[24:25], off
	global_load_b128 v[34:37], v[24:25], off offset:-16
	s_clause 0x1
	global_load_b128 v[38:41], v[58:59], off
	global_load_b128 v[42:45], v[58:59], off offset:16
	s_add_u32 s4, s4, 64
	s_addc_u32 s5, s5, 0
	s_cmpk_eq_i32 s4, 0x100
	v_lshlrev_b64 v[46:47], 4, v[21:22]
	v_add_nc_u32_e32 v21, -2, v20
	s_delay_alu instid0(VALU_DEP_2) | instskip(NEXT) | instid1(VALU_DEP_3)
	v_add_co_u32 v50, vcc_lo, s8, v46
	v_add_co_ci_u32_e32 v51, vcc_lo, s9, v47, vcc_lo
	s_clause 0x1
	global_load_b128 v[46:49], v[50:51], off
	global_load_b128 v[50:53], v[50:51], off offset:16
	v_lshlrev_b64 v[60:61], 4, v[21:22]
	global_load_b128 v[54:57], v[58:59], off offset:48
	v_mov_b32_e32 v21, v22
	v_add_co_u32 v66, vcc_lo, s8, v60
	v_add_co_ci_u32_e32 v67, vcc_lo, s9, v61, vcc_lo
	global_load_b128 v[58:61], v[58:59], off offset:32
	s_clause 0x1
	global_load_b128 v[62:65], v[66:67], off
	global_load_b128 v[66:69], v[66:67], off offset:16
	v_lshlrev_b64 v[70:71], 4, v[20:21]
	v_add_nc_u32_e32 v20, 8, v20
	s_delay_alu instid0(VALU_DEP_2) | instskip(NEXT) | instid1(VALU_DEP_3)
	v_add_co_u32 v74, vcc_lo, s8, v70
	v_add_co_ci_u32_e32 v75, vcc_lo, s9, v71, vcc_lo
	s_clause 0x1
	global_load_b128 v[70:73], v[74:75], off
	global_load_b128 v[74:77], v[74:75], off offset:16
	v_add_co_u32 v24, vcc_lo, 0x80, v24
	v_add_co_ci_u32_e32 v25, vcc_lo, 0, v25, vcc_lo
	s_waitcnt vmcnt(9)
	v_fma_f64 v[17:18], v[34:35], v[38:39], v[17:18]
	v_fma_f64 v[9:10], v[36:37], v[38:39], v[9:10]
	;; [unrolled: 1-line block ×4, first 2 shown]
	s_delay_alu instid0(VALU_DEP_4) | instskip(NEXT) | instid1(VALU_DEP_4)
	v_fma_f64 v[17:18], -v[36:37], v[40:41], v[17:18]
	v_fma_f64 v[9:10], v[34:35], v[40:41], v[9:10]
	s_delay_alu instid0(VALU_DEP_4) | instskip(NEXT) | instid1(VALU_DEP_4)
	v_fma_f64 v[11:12], -v[32:33], v[40:41], v[11:12]
	v_fma_f64 v[13:14], v[30:31], v[40:41], v[13:14]
	s_waitcnt vmcnt(7)
	s_delay_alu instid0(VALU_DEP_4) | instskip(NEXT) | instid1(VALU_DEP_4)
	v_fma_f64 v[17:18], v[46:47], v[42:43], v[17:18]
	v_fma_f64 v[9:10], v[48:49], v[42:43], v[9:10]
	s_waitcnt vmcnt(6)
	s_delay_alu instid0(VALU_DEP_4) | instskip(NEXT) | instid1(VALU_DEP_4)
	v_fma_f64 v[11:12], v[50:51], v[42:43], v[11:12]
	v_fma_f64 v[13:14], v[52:53], v[42:43], v[13:14]
	s_delay_alu instid0(VALU_DEP_4) | instskip(NEXT) | instid1(VALU_DEP_4)
	v_fma_f64 v[17:18], -v[48:49], v[44:45], v[17:18]
	v_fma_f64 v[9:10], v[46:47], v[44:45], v[9:10]
	s_delay_alu instid0(VALU_DEP_4) | instskip(NEXT) | instid1(VALU_DEP_4)
	v_fma_f64 v[11:12], -v[52:53], v[44:45], v[11:12]
	v_fma_f64 v[13:14], v[50:51], v[44:45], v[13:14]
	s_waitcnt vmcnt(3)
	s_delay_alu instid0(VALU_DEP_4) | instskip(NEXT) | instid1(VALU_DEP_4)
	v_fma_f64 v[17:18], v[62:63], v[58:59], v[17:18]
	v_fma_f64 v[9:10], v[64:65], v[58:59], v[9:10]
	s_waitcnt vmcnt(2)
	s_delay_alu instid0(VALU_DEP_4) | instskip(NEXT) | instid1(VALU_DEP_4)
	v_fma_f64 v[11:12], v[66:67], v[58:59], v[11:12]
	v_fma_f64 v[13:14], v[68:69], v[58:59], v[13:14]
	;; [unrolled: 14-line block ×3, first 2 shown]
	s_delay_alu instid0(VALU_DEP_4) | instskip(NEXT) | instid1(VALU_DEP_4)
	v_fma_f64 v[17:18], -v[72:73], v[56:57], v[17:18]
	v_fma_f64 v[9:10], v[70:71], v[56:57], v[9:10]
	s_delay_alu instid0(VALU_DEP_4) | instskip(NEXT) | instid1(VALU_DEP_4)
	v_fma_f64 v[11:12], -v[76:77], v[56:57], v[11:12]
	v_fma_f64 v[13:14], v[74:75], v[56:57], v[13:14]
	s_cbranch_scc0 .LBB302_12
; %bb.13:                               ;   in Loop: Header=BB302_11 Depth=1
	v_add_nc_u32_e32 v23, 64, v23
	v_add_nc_u32_e32 v16, 0x800, v16
	;; [unrolled: 1-line block ×3, first 2 shown]
	s_delay_alu instid0(VALU_DEP_3) | instskip(SKIP_1) | instid1(SALU_CYCLE_1)
	v_cmp_ge_i32_e32 vcc_lo, v23, v27
	s_or_b32 s14, vcc_lo, s14
	s_and_not1_b32 exec_lo, exec_lo, s14
	s_cbranch_execnz .LBB302_11
; %bb.14:
	s_or_b32 exec_lo, exec_lo, s14
.LBB302_15:
	s_delay_alu instid0(SALU_CYCLE_1)
	s_or_b32 exec_lo, exec_lo, s1
	s_cbranch_execz .LBB302_17
	s_branch .LBB302_24
.LBB302_16:
                                        ; implicit-def: $vgpr9_vgpr10
                                        ; implicit-def: $vgpr17_vgpr18
                                        ; implicit-def: $vgpr11_vgpr12
                                        ; implicit-def: $vgpr13_vgpr14
.LBB302_17:
	v_mov_b32_e32 v9, 0
	v_mov_b32_e32 v10, 0
	s_delay_alu instid0(VALU_DEP_1)
	v_dual_mov_b32 v18, v10 :: v_dual_mov_b32 v17, v9
	v_dual_mov_b32 v12, v10 :: v_dual_mov_b32 v11, v9
	;; [unrolled: 1-line block ×3, first 2 shown]
	s_and_saveexec_b32 s4, s0
	s_cbranch_execz .LBB302_23
; %bb.18:
	v_dual_mov_b32 v9, 0 :: v_dual_mov_b32 v20, 0
	v_dual_mov_b32 v10, 0 :: v_dual_lshlrev_b32 v19, 5, v15
	s_mov_b32 s5, 0
	s_delay_alu instid0(VALU_DEP_1)
	v_dual_mov_b32 v18, v10 :: v_dual_mov_b32 v17, v9
	v_dual_mov_b32 v12, v10 :: v_dual_mov_b32 v11, v9
	;; [unrolled: 1-line block ×3, first 2 shown]
.LBB302_19:                             ; =>This Loop Header: Depth=1
                                        ;     Child Loop BB302_20 Depth 2
	v_ashrrev_i32_e32 v16, 31, v15
	v_lshlrev_b64 v[23:24], 4, v[19:20]
	s_mov_b64 s[0:1], 0
	s_delay_alu instid0(VALU_DEP_2) | instskip(NEXT) | instid1(VALU_DEP_1)
	v_lshlrev_b64 v[21:22], 2, v[15:16]
	v_add_co_u32 v21, vcc_lo, s6, v21
	s_delay_alu instid0(VALU_DEP_2) | instskip(SKIP_3) | instid1(VALU_DEP_1)
	v_add_co_ci_u32_e32 v22, vcc_lo, s7, v22, vcc_lo
	global_load_b32 v16, v[21:22], off
	s_waitcnt vmcnt(0)
	v_subrev_nc_u32_e32 v16, s12, v16
	v_dual_mov_b32 v22, v20 :: v_dual_lshlrev_b32 v21, 4, v16
	v_add_co_u32 v16, vcc_lo, s8, v23
	s_delay_alu instid0(VALU_DEP_2) | instskip(SKIP_1) | instid1(VALU_DEP_2)
	v_lshlrev_b64 v[28:29], 4, v[21:22]
	v_add_co_ci_u32_e32 v21, vcc_lo, s9, v24, vcc_lo
	v_add_co_u32 v22, vcc_lo, s10, v28
	s_delay_alu instid0(VALU_DEP_3)
	v_add_co_ci_u32_e32 v23, vcc_lo, s11, v29, vcc_lo
.LBB302_20:                             ;   Parent Loop BB302_19 Depth=1
                                        ; =>  This Inner Loop Header: Depth=2
	v_add_co_u32 v24, vcc_lo, v16, s0
	s_delay_alu instid0(VALU_DEP_4) | instskip(NEXT) | instid1(VALU_DEP_4)
	v_add_co_ci_u32_e32 v25, vcc_lo, s1, v21, vcc_lo
	v_add_co_u32 v68, vcc_lo, v22, s0
	s_delay_alu instid0(VALU_DEP_4)
	v_add_co_ci_u32_e32 v69, vcc_lo, s1, v23, vcc_lo
	s_add_u32 s0, s0, 64
	global_load_b128 v[28:31], v[24:25], off
	global_load_b128 v[32:35], v[68:69], off
	s_clause 0x1
	global_load_b128 v[36:39], v[24:25], off offset:256
	global_load_b128 v[40:43], v[24:25], off offset:16
	global_load_b128 v[44:47], v[68:69], off offset:16
	s_clause 0x1
	global_load_b128 v[48:51], v[24:25], off offset:272
	global_load_b128 v[52:55], v[24:25], off offset:32
	global_load_b128 v[56:59], v[68:69], off offset:32
	;; [unrolled: 4-line block ×3, first 2 shown]
	global_load_b128 v[72:75], v[24:25], off offset:304
	s_addc_u32 s1, s1, 0
	s_cmpk_eq_i32 s0, 0x100
	s_waitcnt vmcnt(10)
	v_fma_f64 v[17:18], v[28:29], v[32:33], v[17:18]
	v_fma_f64 v[9:10], v[30:31], v[32:33], v[9:10]
	s_waitcnt vmcnt(9)
	v_fma_f64 v[11:12], v[36:37], v[32:33], v[11:12]
	v_fma_f64 v[13:14], v[38:39], v[32:33], v[13:14]
	s_delay_alu instid0(VALU_DEP_4) | instskip(NEXT) | instid1(VALU_DEP_4)
	v_fma_f64 v[17:18], -v[30:31], v[34:35], v[17:18]
	v_fma_f64 v[9:10], v[28:29], v[34:35], v[9:10]
	s_delay_alu instid0(VALU_DEP_4) | instskip(NEXT) | instid1(VALU_DEP_4)
	v_fma_f64 v[11:12], -v[38:39], v[34:35], v[11:12]
	v_fma_f64 v[13:14], v[36:37], v[34:35], v[13:14]
	s_waitcnt vmcnt(7)
	s_delay_alu instid0(VALU_DEP_4) | instskip(NEXT) | instid1(VALU_DEP_4)
	v_fma_f64 v[17:18], v[40:41], v[44:45], v[17:18]
	v_fma_f64 v[9:10], v[42:43], v[44:45], v[9:10]
	s_waitcnt vmcnt(6)
	s_delay_alu instid0(VALU_DEP_4) | instskip(NEXT) | instid1(VALU_DEP_4)
	v_fma_f64 v[11:12], v[48:49], v[44:45], v[11:12]
	v_fma_f64 v[13:14], v[50:51], v[44:45], v[13:14]
	s_delay_alu instid0(VALU_DEP_4) | instskip(NEXT) | instid1(VALU_DEP_4)
	v_fma_f64 v[17:18], -v[42:43], v[46:47], v[17:18]
	v_fma_f64 v[9:10], v[40:41], v[46:47], v[9:10]
	s_delay_alu instid0(VALU_DEP_4) | instskip(NEXT) | instid1(VALU_DEP_4)
	v_fma_f64 v[11:12], -v[50:51], v[46:47], v[11:12]
	v_fma_f64 v[13:14], v[48:49], v[46:47], v[13:14]
	s_waitcnt vmcnt(4)
	s_delay_alu instid0(VALU_DEP_4) | instskip(NEXT) | instid1(VALU_DEP_4)
	v_fma_f64 v[17:18], v[52:53], v[56:57], v[17:18]
	v_fma_f64 v[9:10], v[54:55], v[56:57], v[9:10]
	s_waitcnt vmcnt(3)
	s_delay_alu instid0(VALU_DEP_4) | instskip(NEXT) | instid1(VALU_DEP_4)
	;; [unrolled: 14-line block ×3, first 2 shown]
	v_fma_f64 v[11:12], v[72:73], v[68:69], v[11:12]
	v_fma_f64 v[13:14], v[74:75], v[68:69], v[13:14]
	s_delay_alu instid0(VALU_DEP_4) | instskip(NEXT) | instid1(VALU_DEP_4)
	v_fma_f64 v[17:18], -v[66:67], v[70:71], v[17:18]
	v_fma_f64 v[9:10], v[64:65], v[70:71], v[9:10]
	s_delay_alu instid0(VALU_DEP_4) | instskip(NEXT) | instid1(VALU_DEP_4)
	v_fma_f64 v[11:12], -v[74:75], v[70:71], v[11:12]
	v_fma_f64 v[13:14], v[72:73], v[70:71], v[13:14]
	s_cbranch_scc0 .LBB302_20
; %bb.21:                               ;   in Loop: Header=BB302_19 Depth=1
	v_add_nc_u32_e32 v15, 64, v15
	v_add_nc_u32_e32 v19, 0x800, v19
	s_delay_alu instid0(VALU_DEP_2) | instskip(SKIP_1) | instid1(SALU_CYCLE_1)
	v_cmp_ge_i32_e32 vcc_lo, v15, v27
	s_or_b32 s5, vcc_lo, s5
	s_and_not1_b32 exec_lo, exec_lo, s5
	s_cbranch_execnz .LBB302_19
; %bb.22:
	s_or_b32 exec_lo, exec_lo, s5
.LBB302_23:
	s_delay_alu instid0(SALU_CYCLE_1)
	s_or_b32 exec_lo, exec_lo, s4
.LBB302_24:
	v_mbcnt_lo_u32_b32 v25, -1, 0
	s_delay_alu instid0(VALU_DEP_1) | instskip(NEXT) | instid1(VALU_DEP_1)
	v_or_b32_e32 v15, 32, v25
	v_cmp_gt_i32_e32 vcc_lo, 32, v15
	v_cndmask_b32_e32 v15, v25, v15, vcc_lo
	s_delay_alu instid0(VALU_DEP_1)
	v_lshlrev_b32_e32 v24, 2, v15
	ds_bpermute_b32 v15, v24, v17
	ds_bpermute_b32 v16, v24, v18
	s_waitcnt lgkmcnt(0)
	v_add_f64 v[15:16], v[17:18], v[15:16]
	v_xor_b32_e32 v17, 16, v25
	s_delay_alu instid0(VALU_DEP_1)
	v_cmp_gt_i32_e32 vcc_lo, 32, v17
	v_cndmask_b32_e32 v17, v25, v17, vcc_lo
	ds_bpermute_b32 v19, v24, v9
	ds_bpermute_b32 v20, v24, v10
	;; [unrolled: 1-line block ×6, first 2 shown]
	s_waitcnt lgkmcnt(4)
	v_add_f64 v[9:10], v[9:10], v[19:20]
	s_waitcnt lgkmcnt(2)
	v_add_f64 v[11:12], v[11:12], v[21:22]
	;; [unrolled: 2-line block ×3, first 2 shown]
	v_lshlrev_b32_e32 v24, 2, v17
	ds_bpermute_b32 v17, v24, v15
	ds_bpermute_b32 v18, v24, v16
	s_waitcnt lgkmcnt(0)
	v_add_f64 v[15:16], v[15:16], v[17:18]
	v_xor_b32_e32 v17, 8, v25
	s_delay_alu instid0(VALU_DEP_1)
	v_cmp_gt_i32_e32 vcc_lo, 32, v17
	ds_bpermute_b32 v19, v24, v9
	ds_bpermute_b32 v20, v24, v10
	ds_bpermute_b32 v21, v24, v11
	ds_bpermute_b32 v22, v24, v12
	ds_bpermute_b32 v23, v24, v13
	ds_bpermute_b32 v24, v24, v14
	v_cndmask_b32_e32 v17, v25, v17, vcc_lo
	s_waitcnt lgkmcnt(4)
	v_add_f64 v[9:10], v[9:10], v[19:20]
	s_waitcnt lgkmcnt(2)
	v_add_f64 v[11:12], v[11:12], v[21:22]
	;; [unrolled: 2-line block ×3, first 2 shown]
	v_lshlrev_b32_e32 v24, 2, v17
	ds_bpermute_b32 v17, v24, v15
	ds_bpermute_b32 v18, v24, v16
	s_waitcnt lgkmcnt(0)
	v_add_f64 v[15:16], v[15:16], v[17:18]
	v_xor_b32_e32 v17, 4, v25
	s_delay_alu instid0(VALU_DEP_1)
	v_cmp_gt_i32_e32 vcc_lo, 32, v17
	ds_bpermute_b32 v19, v24, v9
	ds_bpermute_b32 v20, v24, v10
	;; [unrolled: 1-line block ×6, first 2 shown]
	v_cndmask_b32_e32 v17, v25, v17, vcc_lo
	s_waitcnt lgkmcnt(4)
	v_add_f64 v[9:10], v[9:10], v[19:20]
	s_waitcnt lgkmcnt(2)
	v_add_f64 v[11:12], v[11:12], v[21:22]
	;; [unrolled: 2-line block ×3, first 2 shown]
	v_lshlrev_b32_e32 v24, 2, v17
	ds_bpermute_b32 v17, v24, v15
	ds_bpermute_b32 v18, v24, v16
	s_waitcnt lgkmcnt(0)
	v_add_f64 v[15:16], v[15:16], v[17:18]
	ds_bpermute_b32 v19, v24, v9
	ds_bpermute_b32 v20, v24, v10
	;; [unrolled: 1-line block ×6, first 2 shown]
	s_waitcnt lgkmcnt(4)
	v_add_f64 v[17:18], v[9:10], v[19:20]
	v_xor_b32_e32 v9, 2, v25
	s_waitcnt lgkmcnt(2)
	v_add_f64 v[11:12], v[11:12], v[21:22]
	s_waitcnt lgkmcnt(0)
	v_add_f64 v[13:14], v[13:14], v[23:24]
	v_cmp_gt_i32_e32 vcc_lo, 32, v9
	v_cndmask_b32_e32 v9, v25, v9, vcc_lo
	s_delay_alu instid0(VALU_DEP_1)
	v_lshlrev_b32_e32 v24, 2, v9
	ds_bpermute_b32 v9, v24, v15
	ds_bpermute_b32 v10, v24, v16
	;; [unrolled: 1-line block ×8, first 2 shown]
	s_waitcnt lgkmcnt(6)
	v_add_f64 v[9:10], v[15:16], v[9:10]
	s_waitcnt lgkmcnt(4)
	v_add_f64 v[15:16], v[17:18], v[19:20]
	v_xor_b32_e32 v17, 1, v25
	s_waitcnt lgkmcnt(2)
	v_add_f64 v[11:12], v[11:12], v[21:22]
	s_waitcnt lgkmcnt(0)
	v_add_f64 v[13:14], v[13:14], v[23:24]
	v_cmp_gt_i32_e32 vcc_lo, 32, v17
	v_cndmask_b32_e32 v17, v25, v17, vcc_lo
	v_cmp_eq_u32_e32 vcc_lo, 63, v26
	s_delay_alu instid0(VALU_DEP_2)
	v_lshlrev_b32_e32 v20, 2, v17
	ds_bpermute_b32 v23, v20, v9
	ds_bpermute_b32 v24, v20, v10
	;; [unrolled: 1-line block ×8, first 2 shown]
	s_and_b32 exec_lo, exec_lo, vcc_lo
	s_cbranch_execz .LBB302_29
; %bb.25:
	v_cmp_eq_f64_e32 vcc_lo, 0, v[4:5]
	v_cmp_eq_f64_e64 s0, 0, v[6:7]
	s_waitcnt lgkmcnt(6)
	v_add_f64 v[9:10], v[9:10], v[23:24]
	s_waitcnt lgkmcnt(4)
	v_add_f64 v[15:16], v[15:16], v[21:22]
	;; [unrolled: 2-line block ×4, first 2 shown]
	s_load_b64 s[2:3], s[2:3], 0x48
	s_and_b32 s0, vcc_lo, s0
	s_delay_alu instid0(SALU_CYCLE_1) | instskip(NEXT) | instid1(SALU_CYCLE_1)
	s_and_saveexec_b32 s1, s0
	s_xor_b32 s0, exec_lo, s1
	s_cbranch_execz .LBB302_27
; %bb.26:
	s_delay_alu instid0(VALU_DEP_3) | instskip(SKIP_1) | instid1(VALU_DEP_3)
	v_mul_f64 v[4:5], v[15:16], -v[2:3]
	v_mul_f64 v[6:7], v[0:1], v[15:16]
	v_mul_f64 v[15:16], v[13:14], -v[2:3]
	v_mul_f64 v[13:14], v[0:1], v[13:14]
	v_lshlrev_b32_e32 v8, 1, v8
	v_fma_f64 v[4:5], v[0:1], v[9:10], v[4:5]
	v_fma_f64 v[6:7], v[2:3], v[9:10], v[6:7]
	;; [unrolled: 1-line block ×4, first 2 shown]
	v_ashrrev_i32_e32 v9, 31, v8
                                        ; implicit-def: $vgpr15_vgpr16
                                        ; implicit-def: $vgpr11_vgpr12
                                        ; implicit-def: $vgpr13_vgpr14
	s_delay_alu instid0(VALU_DEP_1) | instskip(SKIP_1) | instid1(VALU_DEP_1)
	v_lshlrev_b64 v[8:9], 4, v[8:9]
	s_waitcnt lgkmcnt(0)
	v_add_co_u32 v8, vcc_lo, s2, v8
	s_delay_alu instid0(VALU_DEP_2)
	v_add_co_ci_u32_e32 v9, vcc_lo, s3, v9, vcc_lo
	s_clause 0x1
	global_store_b128 v[8:9], v[4:7], off
	global_store_b128 v[8:9], v[0:3], off offset:16
                                        ; implicit-def: $vgpr0_vgpr1
                                        ; implicit-def: $vgpr2_vgpr3
                                        ; implicit-def: $vgpr4_vgpr5
                                        ; implicit-def: $vgpr6_vgpr7
                                        ; implicit-def: $vgpr8
                                        ; implicit-def: $vgpr9_vgpr10
.LBB302_27:
	s_and_not1_saveexec_b32 s0, s0
	s_cbranch_execz .LBB302_29
; %bb.28:
	v_lshlrev_b32_e32 v17, 1, v8
	s_delay_alu instid0(VALU_DEP_4) | instskip(SKIP_1) | instid1(VALU_DEP_4)
	v_mul_f64 v[27:28], v[15:16], -v[2:3]
	v_mul_f64 v[15:16], v[0:1], v[15:16]
	v_mul_f64 v[29:30], v[13:14], -v[2:3]
	v_mul_f64 v[13:14], v[0:1], v[13:14]
	v_ashrrev_i32_e32 v18, 31, v17
	s_delay_alu instid0(VALU_DEP_1) | instskip(SKIP_1) | instid1(VALU_DEP_1)
	v_lshlrev_b64 v[17:18], 4, v[17:18]
	s_waitcnt lgkmcnt(0)
	v_add_co_u32 v25, vcc_lo, s2, v17
	s_delay_alu instid0(VALU_DEP_2)
	v_add_co_ci_u32_e32 v26, vcc_lo, s3, v18, vcc_lo
	s_clause 0x1
	global_load_b128 v[17:20], v[25:26], off
	global_load_b128 v[21:24], v[25:26], off offset:16
	v_fma_f64 v[27:28], v[0:1], v[9:10], v[27:28]
	v_fma_f64 v[8:9], v[2:3], v[9:10], v[15:16]
	v_fma_f64 v[0:1], v[0:1], v[11:12], v[29:30]
	v_fma_f64 v[2:3], v[2:3], v[11:12], v[13:14]
	s_waitcnt vmcnt(1)
	s_delay_alu instid0(VALU_DEP_4) | instskip(NEXT) | instid1(VALU_DEP_4)
	v_fma_f64 v[10:11], v[4:5], v[17:18], v[27:28]
	v_fma_f64 v[8:9], v[6:7], v[17:18], v[8:9]
	s_waitcnt vmcnt(0)
	s_delay_alu instid0(VALU_DEP_4) | instskip(NEXT) | instid1(VALU_DEP_4)
	v_fma_f64 v[12:13], v[4:5], v[21:22], v[0:1]
	v_fma_f64 v[14:15], v[6:7], v[21:22], v[2:3]
	s_delay_alu instid0(VALU_DEP_4) | instskip(NEXT) | instid1(VALU_DEP_4)
	v_fma_f64 v[0:1], -v[6:7], v[19:20], v[10:11]
	v_fma_f64 v[2:3], v[4:5], v[19:20], v[8:9]
	s_delay_alu instid0(VALU_DEP_4) | instskip(NEXT) | instid1(VALU_DEP_4)
	v_fma_f64 v[6:7], -v[6:7], v[23:24], v[12:13]
	v_fma_f64 v[8:9], v[4:5], v[23:24], v[14:15]
	s_clause 0x1
	global_store_b128 v[25:26], v[0:3], off
	global_store_b128 v[25:26], v[6:9], off offset:16
.LBB302_29:
	s_nop 0
	s_sendmsg sendmsg(MSG_DEALLOC_VGPRS)
	s_endpgm
	.section	.rodata,"a",@progbits
	.p2align	6, 0x0
	.amdhsa_kernel _ZN9rocsparseL19gebsrmvn_2xn_kernelILj128ELj16ELj64E21rocsparse_complex_numIdEEEvi20rocsparse_direction_NS_24const_host_device_scalarIT2_EEPKiS8_PKS5_SA_S6_PS5_21rocsparse_index_base_b
		.amdhsa_group_segment_fixed_size 2048
		.amdhsa_private_segment_fixed_size 0
		.amdhsa_kernarg_size 88
		.amdhsa_user_sgpr_count 15
		.amdhsa_user_sgpr_dispatch_ptr 1
		.amdhsa_user_sgpr_queue_ptr 0
		.amdhsa_user_sgpr_kernarg_segment_ptr 1
		.amdhsa_user_sgpr_dispatch_id 0
		.amdhsa_user_sgpr_private_segment_size 0
		.amdhsa_wavefront_size32 1
		.amdhsa_uses_dynamic_stack 0
		.amdhsa_enable_private_segment 0
		.amdhsa_system_sgpr_workgroup_id_x 1
		.amdhsa_system_sgpr_workgroup_id_y 0
		.amdhsa_system_sgpr_workgroup_id_z 0
		.amdhsa_system_sgpr_workgroup_info 0
		.amdhsa_system_vgpr_workitem_id 2
		.amdhsa_next_free_vgpr 78
		.amdhsa_next_free_sgpr 18
		.amdhsa_reserve_vcc 1
		.amdhsa_float_round_mode_32 0
		.amdhsa_float_round_mode_16_64 0
		.amdhsa_float_denorm_mode_32 3
		.amdhsa_float_denorm_mode_16_64 3
		.amdhsa_dx10_clamp 1
		.amdhsa_ieee_mode 1
		.amdhsa_fp16_overflow 0
		.amdhsa_workgroup_processor_mode 1
		.amdhsa_memory_ordered 1
		.amdhsa_forward_progress 0
		.amdhsa_shared_vgpr_count 0
		.amdhsa_exception_fp_ieee_invalid_op 0
		.amdhsa_exception_fp_denorm_src 0
		.amdhsa_exception_fp_ieee_div_zero 0
		.amdhsa_exception_fp_ieee_overflow 0
		.amdhsa_exception_fp_ieee_underflow 0
		.amdhsa_exception_fp_ieee_inexact 0
		.amdhsa_exception_int_div_zero 0
	.end_amdhsa_kernel
	.section	.text._ZN9rocsparseL19gebsrmvn_2xn_kernelILj128ELj16ELj64E21rocsparse_complex_numIdEEEvi20rocsparse_direction_NS_24const_host_device_scalarIT2_EEPKiS8_PKS5_SA_S6_PS5_21rocsparse_index_base_b,"axG",@progbits,_ZN9rocsparseL19gebsrmvn_2xn_kernelILj128ELj16ELj64E21rocsparse_complex_numIdEEEvi20rocsparse_direction_NS_24const_host_device_scalarIT2_EEPKiS8_PKS5_SA_S6_PS5_21rocsparse_index_base_b,comdat
.Lfunc_end302:
	.size	_ZN9rocsparseL19gebsrmvn_2xn_kernelILj128ELj16ELj64E21rocsparse_complex_numIdEEEvi20rocsparse_direction_NS_24const_host_device_scalarIT2_EEPKiS8_PKS5_SA_S6_PS5_21rocsparse_index_base_b, .Lfunc_end302-_ZN9rocsparseL19gebsrmvn_2xn_kernelILj128ELj16ELj64E21rocsparse_complex_numIdEEEvi20rocsparse_direction_NS_24const_host_device_scalarIT2_EEPKiS8_PKS5_SA_S6_PS5_21rocsparse_index_base_b
                                        ; -- End function
	.section	.AMDGPU.csdata,"",@progbits
; Kernel info:
; codeLenInByte = 3328
; NumSgprs: 20
; NumVgprs: 78
; ScratchSize: 0
; MemoryBound: 1
; FloatMode: 240
; IeeeMode: 1
; LDSByteSize: 2048 bytes/workgroup (compile time only)
; SGPRBlocks: 2
; VGPRBlocks: 9
; NumSGPRsForWavesPerEU: 20
; NumVGPRsForWavesPerEU: 78
; Occupancy: 16
; WaveLimiterHint : 1
; COMPUTE_PGM_RSRC2:SCRATCH_EN: 0
; COMPUTE_PGM_RSRC2:USER_SGPR: 15
; COMPUTE_PGM_RSRC2:TRAP_HANDLER: 0
; COMPUTE_PGM_RSRC2:TGID_X_EN: 1
; COMPUTE_PGM_RSRC2:TGID_Y_EN: 0
; COMPUTE_PGM_RSRC2:TGID_Z_EN: 0
; COMPUTE_PGM_RSRC2:TIDIG_COMP_CNT: 2
	.section	.text._ZN9rocsparseL23gebsrmvn_general_kernelILj32ELj32E21rocsparse_complex_numIdEEEvi20rocsparse_direction_NS_24const_host_device_scalarIT1_EEPKiS8_PKS5_iiSA_S6_PS5_21rocsparse_index_base_b,"axG",@progbits,_ZN9rocsparseL23gebsrmvn_general_kernelILj32ELj32E21rocsparse_complex_numIdEEEvi20rocsparse_direction_NS_24const_host_device_scalarIT1_EEPKiS8_PKS5_iiSA_S6_PS5_21rocsparse_index_base_b,comdat
	.globl	_ZN9rocsparseL23gebsrmvn_general_kernelILj32ELj32E21rocsparse_complex_numIdEEEvi20rocsparse_direction_NS_24const_host_device_scalarIT1_EEPKiS8_PKS5_iiSA_S6_PS5_21rocsparse_index_base_b ; -- Begin function _ZN9rocsparseL23gebsrmvn_general_kernelILj32ELj32E21rocsparse_complex_numIdEEEvi20rocsparse_direction_NS_24const_host_device_scalarIT1_EEPKiS8_PKS5_iiSA_S6_PS5_21rocsparse_index_base_b
	.p2align	8
	.type	_ZN9rocsparseL23gebsrmvn_general_kernelILj32ELj32E21rocsparse_complex_numIdEEEvi20rocsparse_direction_NS_24const_host_device_scalarIT1_EEPKiS8_PKS5_iiSA_S6_PS5_21rocsparse_index_base_b,@function
_ZN9rocsparseL23gebsrmvn_general_kernelILj32ELj32E21rocsparse_complex_numIdEEEvi20rocsparse_direction_NS_24const_host_device_scalarIT1_EEPKiS8_PKS5_iiSA_S6_PS5_21rocsparse_index_base_b: ; @_ZN9rocsparseL23gebsrmvn_general_kernelILj32ELj32E21rocsparse_complex_numIdEEEvi20rocsparse_direction_NS_24const_host_device_scalarIT1_EEPKiS8_PKS5_iiSA_S6_PS5_21rocsparse_index_base_b
; %bb.0:
	s_mov_b32 s18, s15
	s_load_b64 s[12:13], s[2:3], 0x58
	s_load_b64 s[14:15], s[0:1], 0x4
	s_load_b128 s[8:11], s[2:3], 0x8
	v_bfe_u32 v1, v0, 10, 10
	s_mov_b64 s[0:1], src_shared_base
	s_load_b128 s[4:7], s[2:3], 0x40
	v_and_b32_e32 v17, 0x3ff, v0
	v_bfe_u32 v0, v0, 20, 10
	s_waitcnt lgkmcnt(0)
	s_bitcmp1_b32 s13, 0
	v_mul_u32_u24_e32 v1, s15, v1
	s_cselect_b32 s0, -1, 0
	s_delay_alu instid0(SALU_CYCLE_1)
	s_and_b32 vcc_lo, s0, exec_lo
	s_cselect_b32 s13, s1, s9
	s_lshr_b32 s14, s14, 16
	v_mov_b32_e32 v3, s4
	s_mul_i32 s14, s14, s15
	v_mov_b32_e32 v6, s13
	v_mad_u32_u24 v1, s14, v17, v1
	v_mov_b32_e32 v4, s5
	s_delay_alu instid0(VALU_DEP_2) | instskip(SKIP_1) | instid1(VALU_DEP_2)
	v_add_lshl_u32 v0, v1, v0, 3
	v_dual_mov_b32 v1, s8 :: v_dual_mov_b32 v2, s9
	v_add_nc_u32_e32 v5, 0x100, v0
	ds_store_2addr_b64 v0, v[3:4], v[1:2] offset1:32
	v_cndmask_b32_e64 v5, s8, v5, s0
	flat_load_b64 v[4:5], v[5:6]
	v_dual_mov_b32 v6, s10 :: v_dual_mov_b32 v7, s11
	s_xor_b32 s10, s0, -1
	s_cbranch_vccnz .LBB303_2
; %bb.1:
	v_dual_mov_b32 v1, s8 :: v_dual_mov_b32 v2, s9
	flat_load_b64 v[6:7], v[1:2] offset:8
.LBB303_2:
	s_and_b32 s8, s0, exec_lo
	s_cselect_b32 s1, s1, s5
	v_cndmask_b32_e64 v0, s4, v0, s0
	v_mov_b32_e32 v1, s1
	v_dual_mov_b32 v11, s7 :: v_dual_mov_b32 v10, s6
	s_and_not1_b32 vcc_lo, exec_lo, s10
	flat_load_b64 v[8:9], v[0:1]
	s_cbranch_vccnz .LBB303_4
; %bb.3:
	v_dual_mov_b32 v0, s4 :: v_dual_mov_b32 v1, s5
	flat_load_b64 v[10:11], v[0:1] offset:8
.LBB303_4:
	s_waitcnt vmcnt(1) lgkmcnt(1)
	v_cmp_eq_f64_e32 vcc_lo, 0, v[4:5]
	v_cmp_eq_f64_e64 s0, 0, v[6:7]
	s_delay_alu instid0(VALU_DEP_1)
	s_and_b32 s4, vcc_lo, s0
	s_mov_b32 s0, -1
	s_and_saveexec_b32 s1, s4
	s_cbranch_execz .LBB303_6
; %bb.5:
	s_waitcnt vmcnt(0) lgkmcnt(0)
	v_cmp_neq_f64_e32 vcc_lo, 1.0, v[8:9]
	v_cmp_neq_f64_e64 s0, 0, v[10:11]
	s_delay_alu instid0(VALU_DEP_1) | instskip(NEXT) | instid1(SALU_CYCLE_1)
	s_or_b32 s0, vcc_lo, s0
	s_or_not1_b32 s0, s0, exec_lo
.LBB303_6:
	s_or_b32 exec_lo, exec_lo, s1
	s_and_saveexec_b32 s1, s0
	s_cbranch_execz .LBB303_26
; %bb.7:
	s_load_b64 s[8:9], s[2:3], 0x30
	s_mov_b32 s13, 0
	s_waitcnt lgkmcnt(0)
	s_cmp_gt_i32 s8, 0
	s_cselect_b32 s0, -1, 0
	s_delay_alu instid0(SALU_CYCLE_1)
	s_and_b32 exec_lo, exec_lo, s0
	s_cbranch_execz .LBB303_26
; %bb.8:
	s_clause 0x3
	s_load_b128 s[4:7], s[2:3], 0x18
	s_load_b64 s[10:11], s[2:3], 0x28
	s_load_b64 s[14:15], s[2:3], 0x50
	;; [unrolled: 1-line block ×3, first 2 shown]
	v_mbcnt_lo_u32_b32 v0, -1, 0
	s_load_b32 s22, s[2:3], 0x4
	s_waitcnt vmcnt(0)
	v_cmp_eq_f64_e32 vcc_lo, 0, v[8:9]
	v_cmp_eq_f64_e64 s2, 0, v[10:11]
	s_ashr_i32 s19, s18, 31
	v_xor_b32_e32 v1, 16, v0
	s_lshl_b64 s[20:21], s[18:19], 2
	v_xor_b32_e32 v2, 8, v0
	v_xor_b32_e32 v3, 4, v0
	;; [unrolled: 1-line block ×3, first 2 shown]
	v_cmp_gt_i32_e64 s3, 32, v1
	v_xor_b32_e32 v14, 1, v0
	v_cmp_gt_i32_e64 s0, s9, v17
	v_cmp_eq_u32_e64 s1, 31, v17
	s_mul_i32 s18, s18, s8
	v_cndmask_b32_e64 v1, v0, v1, s3
	s_waitcnt lgkmcnt(0)
	s_add_u32 s4, s4, s20
	s_addc_u32 s5, s5, s21
	v_cmp_gt_i32_e64 s3, 32, v2
	s_load_b64 s[20:21], s[4:5], 0x0
	s_delay_alu instid0(VALU_DEP_1) | instskip(SKIP_1) | instid1(VALU_DEP_2)
	v_cndmask_b32_e64 v2, v0, v2, s3
	v_cmp_gt_i32_e64 s3, 32, v3
	v_dual_mov_b32 v12, 0 :: v_dual_lshlrev_b32 v19, 2, v2
	s_delay_alu instid0(VALU_DEP_2) | instskip(SKIP_1) | instid1(VALU_DEP_2)
	v_cndmask_b32_e64 v3, v0, v3, s3
	v_cmp_gt_i32_e64 s3, 32, v13
	v_lshlrev_b32_e32 v20, 2, v3
	s_delay_alu instid0(VALU_DEP_2) | instskip(SKIP_4) | instid1(VALU_DEP_1)
	v_cndmask_b32_e64 v13, v0, v13, s3
	v_cmp_gt_i32_e64 s3, 32, v14
	s_waitcnt lgkmcnt(0)
	s_sub_i32 s4, s20, s12
	s_sub_i32 s5, s21, s12
	v_cndmask_b32_e64 v0, v0, v14, s3
	s_mul_i32 s3, s8, s4
	s_cmp_lt_i32 s20, s21
	s_mul_i32 s3, s9, s3
	s_delay_alu instid0(SALU_CYCLE_1)
	v_dual_mov_b32 v23, s3 :: v_dual_lshlrev_b32 v18, 2, v1
	v_lshlrev_b32_e32 v21, 2, v13
	v_lshlrev_b32_e32 v22, 2, v0
	s_cselect_b32 s19, -1, 0
	s_cmp_lg_u32 s22, 0
	s_mul_i32 s22, s9, s8
	s_cselect_b32 s20, -1, 0
	s_and_b32 s21, vcc_lo, s2
	s_branch .LBB303_10
.LBB303_9:                              ;   in Loop: Header=BB303_10 Depth=1
	s_or_b32 exec_lo, exec_lo, s2
	v_add_nc_u32_e32 v12, 1, v12
	v_add_nc_u32_e32 v23, s9, v23
	s_delay_alu instid0(VALU_DEP_2) | instskip(SKIP_1) | instid1(SALU_CYCLE_1)
	v_cmp_le_i32_e32 vcc_lo, s8, v12
	s_or_b32 s13, vcc_lo, s13
	s_and_not1_b32 exec_lo, exec_lo, s13
	s_cbranch_execz .LBB303_26
.LBB303_10:                             ; =>This Loop Header: Depth=1
                                        ;     Child Loop BB303_14 Depth 2
                                        ;       Child Loop BB303_17 Depth 3
	v_mov_b32_e32 v0, 0
	v_mov_b32_e32 v1, 0
	s_and_not1_b32 vcc_lo, exec_lo, s19
	s_delay_alu instid0(VALU_DEP_1)
	v_dual_mov_b32 v3, v1 :: v_dual_mov_b32 v2, v0
	s_cbranch_vccnz .LBB303_21
; %bb.11:                               ;   in Loop: Header=BB303_10 Depth=1
	s_waitcnt lgkmcnt(1)
	v_dual_mov_b32 v0, 0 :: v_dual_mov_b32 v15, v23
	v_mov_b32_e32 v1, 0
	s_mov_b32 s2, s4
	s_delay_alu instid0(VALU_DEP_1)
	v_dual_mov_b32 v3, v1 :: v_dual_mov_b32 v2, v0
	s_branch .LBB303_14
.LBB303_12:                             ;   in Loop: Header=BB303_14 Depth=2
	s_set_inst_prefetch_distance 0x2
	s_or_b32 exec_lo, exec_lo, s24
.LBB303_13:                             ;   in Loop: Header=BB303_14 Depth=2
	s_delay_alu instid0(SALU_CYCLE_1) | instskip(SKIP_2) | instid1(SALU_CYCLE_1)
	s_or_b32 exec_lo, exec_lo, s23
	v_add_nc_u32_e32 v15, s22, v15
	s_add_i32 s2, s2, 1
	s_cmp_ge_i32 s2, s5
	s_cbranch_scc1 .LBB303_21
.LBB303_14:                             ;   Parent Loop BB303_10 Depth=1
                                        ; =>  This Loop Header: Depth=2
                                        ;       Child Loop BB303_17 Depth 3
	s_and_saveexec_b32 s23, s0
	s_cbranch_execz .LBB303_13
; %bb.15:                               ;   in Loop: Header=BB303_14 Depth=2
	s_ashr_i32 s3, s2, 31
	s_waitcnt lgkmcnt(0)
	v_mov_b32_e32 v16, v17
	s_lshl_b64 s[24:25], s[2:3], 2
	s_delay_alu instid0(SALU_CYCLE_1)
	s_add_u32 s24, s6, s24
	s_addc_u32 s25, s7, s25
	s_load_b32 s3, s[24:25], 0x0
	s_mov_b32 s24, 0
	s_waitcnt lgkmcnt(0)
	s_sub_i32 s25, s3, s12
	s_mul_i32 s3, s2, s9
	s_mul_i32 s25, s25, s9
	s_set_inst_prefetch_distance 0x1
	s_branch .LBB303_17
	.p2align	6
.LBB303_16:                             ;   in Loop: Header=BB303_17 Depth=3
	v_add_nc_u32_e32 v24, s25, v16
	s_delay_alu instid0(VALU_DEP_2) | instskip(SKIP_1) | instid1(VALU_DEP_3)
	v_ashrrev_i32_e32 v14, 31, v13
	v_add_nc_u32_e32 v16, 32, v16
	v_ashrrev_i32_e32 v25, 31, v24
	s_delay_alu instid0(VALU_DEP_3) | instskip(NEXT) | instid1(VALU_DEP_2)
	v_lshlrev_b64 v[13:14], 4, v[13:14]
	v_lshlrev_b64 v[24:25], 4, v[24:25]
	s_delay_alu instid0(VALU_DEP_2) | instskip(NEXT) | instid1(VALU_DEP_3)
	v_add_co_u32 v13, vcc_lo, s10, v13
	v_add_co_ci_u32_e32 v14, vcc_lo, s11, v14, vcc_lo
	s_delay_alu instid0(VALU_DEP_3) | instskip(NEXT) | instid1(VALU_DEP_4)
	v_add_co_u32 v28, vcc_lo, s16, v24
	v_add_co_ci_u32_e32 v29, vcc_lo, s17, v25, vcc_lo
	v_cmp_le_i32_e32 vcc_lo, s9, v16
	global_load_b128 v[24:27], v[13:14], off
	global_load_b128 v[28:31], v[28:29], off
	s_or_b32 s24, vcc_lo, s24
	s_waitcnt vmcnt(0)
	v_fma_f64 v[2:3], v[24:25], v[28:29], v[2:3]
	v_fma_f64 v[0:1], v[26:27], v[28:29], v[0:1]
	s_delay_alu instid0(VALU_DEP_2) | instskip(NEXT) | instid1(VALU_DEP_2)
	v_fma_f64 v[2:3], -v[26:27], v[30:31], v[2:3]
	v_fma_f64 v[0:1], v[24:25], v[30:31], v[0:1]
	s_and_not1_b32 exec_lo, exec_lo, s24
	s_cbranch_execz .LBB303_12
.LBB303_17:                             ;   Parent Loop BB303_10 Depth=1
                                        ;     Parent Loop BB303_14 Depth=2
                                        ; =>    This Inner Loop Header: Depth=3
	s_and_b32 vcc_lo, exec_lo, s20
	s_cbranch_vccz .LBB303_19
; %bb.18:                               ;   in Loop: Header=BB303_17 Depth=3
	v_add_nc_u32_e32 v24, s3, v16
	s_delay_alu instid0(VALU_DEP_1)
	v_mad_u64_u32 v[13:14], null, v24, s8, v[12:13]
	s_cbranch_execnz .LBB303_16
	s_branch .LBB303_20
.LBB303_19:                             ;   in Loop: Header=BB303_17 Depth=3
                                        ; implicit-def: $vgpr13
.LBB303_20:                             ;   in Loop: Header=BB303_17 Depth=3
	v_add_nc_u32_e32 v13, v15, v16
	s_branch .LBB303_16
.LBB303_21:                             ;   in Loop: Header=BB303_10 Depth=1
	s_waitcnt lgkmcnt(3)
	ds_bpermute_b32 v13, v18, v2
	s_waitcnt lgkmcnt(3)
	ds_bpermute_b32 v14, v18, v3
	;; [unrolled: 2-line block ×4, first 2 shown]
	s_waitcnt lgkmcnt(2)
	v_add_f64 v[2:3], v[2:3], v[13:14]
	s_waitcnt lgkmcnt(0)
	v_add_f64 v[0:1], v[0:1], v[15:16]
	ds_bpermute_b32 v13, v19, v2
	ds_bpermute_b32 v14, v19, v3
	ds_bpermute_b32 v15, v19, v0
	ds_bpermute_b32 v16, v19, v1
	s_waitcnt lgkmcnt(2)
	v_add_f64 v[2:3], v[2:3], v[13:14]
	s_waitcnt lgkmcnt(0)
	v_add_f64 v[0:1], v[0:1], v[15:16]
	ds_bpermute_b32 v13, v20, v2
	ds_bpermute_b32 v14, v20, v3
	ds_bpermute_b32 v15, v20, v0
	ds_bpermute_b32 v16, v20, v1
	;; [unrolled: 8-line block ×4, first 2 shown]
	s_and_saveexec_b32 s2, s1
	s_cbranch_execz .LBB303_9
; %bb.22:                               ;   in Loop: Header=BB303_10 Depth=1
	s_waitcnt lgkmcnt(0)
	v_add_f64 v[2:3], v[2:3], v[15:16]
	v_add_f64 v[13:14], v[0:1], v[13:14]
	s_delay_alu instid0(VALU_DEP_2) | instskip(SKIP_1) | instid1(VALU_DEP_2)
	v_mul_f64 v[0:1], v[2:3], -v[6:7]
	v_mul_f64 v[2:3], v[4:5], v[2:3]
	v_fma_f64 v[0:1], v[4:5], v[13:14], v[0:1]
	s_delay_alu instid0(VALU_DEP_2) | instskip(SKIP_1) | instid1(VALU_DEP_1)
	v_fma_f64 v[2:3], v[6:7], v[13:14], v[2:3]
	v_add_nc_u32_e32 v13, s18, v12
	v_ashrrev_i32_e32 v14, 31, v13
	s_and_saveexec_b32 s3, s21
	s_delay_alu instid0(SALU_CYCLE_1)
	s_xor_b32 s3, exec_lo, s3
	s_cbranch_execz .LBB303_24
; %bb.23:                               ;   in Loop: Header=BB303_10 Depth=1
	s_delay_alu instid0(VALU_DEP_1) | instskip(NEXT) | instid1(VALU_DEP_1)
	v_lshlrev_b64 v[13:14], 4, v[13:14]
	v_add_co_u32 v13, vcc_lo, s14, v13
	s_delay_alu instid0(VALU_DEP_2)
	v_add_co_ci_u32_e32 v14, vcc_lo, s15, v14, vcc_lo
	global_store_b128 v[13:14], v[0:3], off
                                        ; implicit-def: $vgpr13
                                        ; implicit-def: $vgpr0_vgpr1
.LBB303_24:                             ;   in Loop: Header=BB303_10 Depth=1
	s_and_not1_saveexec_b32 s3, s3
	s_cbranch_execz .LBB303_9
; %bb.25:                               ;   in Loop: Header=BB303_10 Depth=1
	v_lshlrev_b64 v[13:14], 4, v[13:14]
	s_delay_alu instid0(VALU_DEP_1) | instskip(NEXT) | instid1(VALU_DEP_2)
	v_add_co_u32 v24, vcc_lo, s14, v13
	v_add_co_ci_u32_e32 v25, vcc_lo, s15, v14, vcc_lo
	global_load_b128 v[13:16], v[24:25], off
	s_waitcnt vmcnt(0)
	v_fma_f64 v[0:1], v[8:9], v[13:14], v[0:1]
	v_fma_f64 v[2:3], v[10:11], v[13:14], v[2:3]
	s_delay_alu instid0(VALU_DEP_2) | instskip(NEXT) | instid1(VALU_DEP_2)
	v_fma_f64 v[0:1], -v[10:11], v[15:16], v[0:1]
	v_fma_f64 v[2:3], v[8:9], v[15:16], v[2:3]
	global_store_b128 v[24:25], v[0:3], off
	s_branch .LBB303_9
.LBB303_26:
	s_nop 0
	s_sendmsg sendmsg(MSG_DEALLOC_VGPRS)
	s_endpgm
	.section	.rodata,"a",@progbits
	.p2align	6, 0x0
	.amdhsa_kernel _ZN9rocsparseL23gebsrmvn_general_kernelILj32ELj32E21rocsparse_complex_numIdEEEvi20rocsparse_direction_NS_24const_host_device_scalarIT1_EEPKiS8_PKS5_iiSA_S6_PS5_21rocsparse_index_base_b
		.amdhsa_group_segment_fixed_size 512
		.amdhsa_private_segment_fixed_size 0
		.amdhsa_kernarg_size 96
		.amdhsa_user_sgpr_count 15
		.amdhsa_user_sgpr_dispatch_ptr 1
		.amdhsa_user_sgpr_queue_ptr 0
		.amdhsa_user_sgpr_kernarg_segment_ptr 1
		.amdhsa_user_sgpr_dispatch_id 0
		.amdhsa_user_sgpr_private_segment_size 0
		.amdhsa_wavefront_size32 1
		.amdhsa_uses_dynamic_stack 0
		.amdhsa_enable_private_segment 0
		.amdhsa_system_sgpr_workgroup_id_x 1
		.amdhsa_system_sgpr_workgroup_id_y 0
		.amdhsa_system_sgpr_workgroup_id_z 0
		.amdhsa_system_sgpr_workgroup_info 0
		.amdhsa_system_vgpr_workitem_id 2
		.amdhsa_next_free_vgpr 32
		.amdhsa_next_free_sgpr 26
		.amdhsa_reserve_vcc 1
		.amdhsa_float_round_mode_32 0
		.amdhsa_float_round_mode_16_64 0
		.amdhsa_float_denorm_mode_32 3
		.amdhsa_float_denorm_mode_16_64 3
		.amdhsa_dx10_clamp 1
		.amdhsa_ieee_mode 1
		.amdhsa_fp16_overflow 0
		.amdhsa_workgroup_processor_mode 1
		.amdhsa_memory_ordered 1
		.amdhsa_forward_progress 0
		.amdhsa_shared_vgpr_count 0
		.amdhsa_exception_fp_ieee_invalid_op 0
		.amdhsa_exception_fp_denorm_src 0
		.amdhsa_exception_fp_ieee_div_zero 0
		.amdhsa_exception_fp_ieee_overflow 0
		.amdhsa_exception_fp_ieee_underflow 0
		.amdhsa_exception_fp_ieee_inexact 0
		.amdhsa_exception_int_div_zero 0
	.end_amdhsa_kernel
	.section	.text._ZN9rocsparseL23gebsrmvn_general_kernelILj32ELj32E21rocsparse_complex_numIdEEEvi20rocsparse_direction_NS_24const_host_device_scalarIT1_EEPKiS8_PKS5_iiSA_S6_PS5_21rocsparse_index_base_b,"axG",@progbits,_ZN9rocsparseL23gebsrmvn_general_kernelILj32ELj32E21rocsparse_complex_numIdEEEvi20rocsparse_direction_NS_24const_host_device_scalarIT1_EEPKiS8_PKS5_iiSA_S6_PS5_21rocsparse_index_base_b,comdat
.Lfunc_end303:
	.size	_ZN9rocsparseL23gebsrmvn_general_kernelILj32ELj32E21rocsparse_complex_numIdEEEvi20rocsparse_direction_NS_24const_host_device_scalarIT1_EEPKiS8_PKS5_iiSA_S6_PS5_21rocsparse_index_base_b, .Lfunc_end303-_ZN9rocsparseL23gebsrmvn_general_kernelILj32ELj32E21rocsparse_complex_numIdEEEvi20rocsparse_direction_NS_24const_host_device_scalarIT1_EEPKiS8_PKS5_iiSA_S6_PS5_21rocsparse_index_base_b
                                        ; -- End function
	.section	.AMDGPU.csdata,"",@progbits
; Kernel info:
; codeLenInByte = 1572
; NumSgprs: 28
; NumVgprs: 32
; ScratchSize: 0
; MemoryBound: 0
; FloatMode: 240
; IeeeMode: 1
; LDSByteSize: 512 bytes/workgroup (compile time only)
; SGPRBlocks: 3
; VGPRBlocks: 3
; NumSGPRsForWavesPerEU: 28
; NumVGPRsForWavesPerEU: 32
; Occupancy: 16
; WaveLimiterHint : 1
; COMPUTE_PGM_RSRC2:SCRATCH_EN: 0
; COMPUTE_PGM_RSRC2:USER_SGPR: 15
; COMPUTE_PGM_RSRC2:TRAP_HANDLER: 0
; COMPUTE_PGM_RSRC2:TGID_X_EN: 1
; COMPUTE_PGM_RSRC2:TGID_Y_EN: 0
; COMPUTE_PGM_RSRC2:TGID_Z_EN: 0
; COMPUTE_PGM_RSRC2:TIDIG_COMP_CNT: 2
	.text
	.p2alignl 7, 3214868480
	.fill 96, 4, 3214868480
	.type	__hip_cuid_3d12e9cf43ee564e,@object ; @__hip_cuid_3d12e9cf43ee564e
	.section	.bss,"aw",@nobits
	.globl	__hip_cuid_3d12e9cf43ee564e
__hip_cuid_3d12e9cf43ee564e:
	.byte	0                               ; 0x0
	.size	__hip_cuid_3d12e9cf43ee564e, 1

	.ident	"AMD clang version 19.0.0git (https://github.com/RadeonOpenCompute/llvm-project roc-6.4.0 25133 c7fe45cf4b819c5991fe208aaa96edf142730f1d)"
	.section	".note.GNU-stack","",@progbits
	.addrsig
	.addrsig_sym __hip_cuid_3d12e9cf43ee564e
	.amdgpu_metadata
---
amdhsa.kernels:
  - .args:
      - .offset:         0
        .size:           4
        .value_kind:     by_value
      - .offset:         4
        .size:           4
        .value_kind:     by_value
      - .offset:         8
        .size:           8
        .value_kind:     by_value
      - .actual_access:  read_only
        .address_space:  global
        .offset:         16
        .size:           8
        .value_kind:     global_buffer
      - .actual_access:  read_only
        .address_space:  global
        .offset:         24
        .size:           8
        .value_kind:     global_buffer
      - .actual_access:  read_only
        .address_space:  global
        .offset:         32
        .size:           8
        .value_kind:     global_buffer
      - .actual_access:  read_only
        .address_space:  global
        .offset:         40
        .size:           8
        .value_kind:     global_buffer
      - .offset:         48
        .size:           8
        .value_kind:     by_value
      - .address_space:  global
        .offset:         56
        .size:           8
        .value_kind:     global_buffer
      - .offset:         64
        .size:           4
        .value_kind:     by_value
      - .offset:         68
        .size:           1
        .value_kind:     by_value
    .group_segment_fixed_size: 0
    .kernarg_segment_align: 8
    .kernarg_segment_size: 72
    .language:       OpenCL C
    .language_version:
      - 2
      - 0
    .max_flat_workgroup_size: 128
    .name:           _ZN9rocsparseL19gebsrmvn_2xn_kernelILj128ELj1ELj4EfEEvi20rocsparse_direction_NS_24const_host_device_scalarIT2_EEPKiS6_PKS3_S8_S4_PS3_21rocsparse_index_base_b
    .private_segment_fixed_size: 0
    .sgpr_count:     22
    .sgpr_spill_count: 0
    .symbol:         _ZN9rocsparseL19gebsrmvn_2xn_kernelILj128ELj1ELj4EfEEvi20rocsparse_direction_NS_24const_host_device_scalarIT2_EEPKiS6_PKS3_S8_S4_PS3_21rocsparse_index_base_b.kd
    .uniform_work_group_size: 1
    .uses_dynamic_stack: false
    .vgpr_count:     14
    .vgpr_spill_count: 0
    .wavefront_size: 32
    .workgroup_processor_mode: 1
  - .args:
      - .offset:         0
        .size:           4
        .value_kind:     by_value
      - .offset:         4
        .size:           4
        .value_kind:     by_value
      - .offset:         8
        .size:           8
        .value_kind:     by_value
      - .actual_access:  read_only
        .address_space:  global
        .offset:         16
        .size:           8
        .value_kind:     global_buffer
      - .actual_access:  read_only
        .address_space:  global
        .offset:         24
        .size:           8
        .value_kind:     global_buffer
      - .actual_access:  read_only
        .address_space:  global
        .offset:         32
        .size:           8
        .value_kind:     global_buffer
      - .actual_access:  read_only
        .address_space:  global
        .offset:         40
        .size:           8
        .value_kind:     global_buffer
      - .offset:         48
        .size:           8
        .value_kind:     by_value
      - .address_space:  global
        .offset:         56
        .size:           8
        .value_kind:     global_buffer
      - .offset:         64
        .size:           4
        .value_kind:     by_value
      - .offset:         68
        .size:           1
        .value_kind:     by_value
    .group_segment_fixed_size: 0
    .kernarg_segment_align: 8
    .kernarg_segment_size: 72
    .language:       OpenCL C
    .language_version:
      - 2
      - 0
    .max_flat_workgroup_size: 128
    .name:           _ZN9rocsparseL19gebsrmvn_2xn_kernelILj128ELj1ELj8EfEEvi20rocsparse_direction_NS_24const_host_device_scalarIT2_EEPKiS6_PKS3_S8_S4_PS3_21rocsparse_index_base_b
    .private_segment_fixed_size: 0
    .sgpr_count:     22
    .sgpr_spill_count: 0
    .symbol:         _ZN9rocsparseL19gebsrmvn_2xn_kernelILj128ELj1ELj8EfEEvi20rocsparse_direction_NS_24const_host_device_scalarIT2_EEPKiS6_PKS3_S8_S4_PS3_21rocsparse_index_base_b.kd
    .uniform_work_group_size: 1
    .uses_dynamic_stack: false
    .vgpr_count:     14
    .vgpr_spill_count: 0
    .wavefront_size: 32
    .workgroup_processor_mode: 1
  - .args:
      - .offset:         0
        .size:           4
        .value_kind:     by_value
      - .offset:         4
        .size:           4
        .value_kind:     by_value
      - .offset:         8
        .size:           8
        .value_kind:     by_value
      - .actual_access:  read_only
        .address_space:  global
        .offset:         16
        .size:           8
        .value_kind:     global_buffer
      - .actual_access:  read_only
        .address_space:  global
        .offset:         24
        .size:           8
        .value_kind:     global_buffer
      - .actual_access:  read_only
        .address_space:  global
        .offset:         32
        .size:           8
        .value_kind:     global_buffer
      - .actual_access:  read_only
        .address_space:  global
        .offset:         40
        .size:           8
        .value_kind:     global_buffer
      - .offset:         48
        .size:           8
        .value_kind:     by_value
      - .address_space:  global
        .offset:         56
        .size:           8
        .value_kind:     global_buffer
      - .offset:         64
        .size:           4
        .value_kind:     by_value
      - .offset:         68
        .size:           1
        .value_kind:     by_value
    .group_segment_fixed_size: 0
    .kernarg_segment_align: 8
    .kernarg_segment_size: 72
    .language:       OpenCL C
    .language_version:
      - 2
      - 0
    .max_flat_workgroup_size: 128
    .name:           _ZN9rocsparseL19gebsrmvn_2xn_kernelILj128ELj1ELj16EfEEvi20rocsparse_direction_NS_24const_host_device_scalarIT2_EEPKiS6_PKS3_S8_S4_PS3_21rocsparse_index_base_b
    .private_segment_fixed_size: 0
    .sgpr_count:     22
    .sgpr_spill_count: 0
    .symbol:         _ZN9rocsparseL19gebsrmvn_2xn_kernelILj128ELj1ELj16EfEEvi20rocsparse_direction_NS_24const_host_device_scalarIT2_EEPKiS6_PKS3_S8_S4_PS3_21rocsparse_index_base_b.kd
    .uniform_work_group_size: 1
    .uses_dynamic_stack: false
    .vgpr_count:     14
    .vgpr_spill_count: 0
    .wavefront_size: 32
    .workgroup_processor_mode: 1
  - .args:
      - .offset:         0
        .size:           4
        .value_kind:     by_value
      - .offset:         4
        .size:           4
        .value_kind:     by_value
      - .offset:         8
        .size:           8
        .value_kind:     by_value
      - .actual_access:  read_only
        .address_space:  global
        .offset:         16
        .size:           8
        .value_kind:     global_buffer
      - .actual_access:  read_only
        .address_space:  global
        .offset:         24
        .size:           8
        .value_kind:     global_buffer
      - .actual_access:  read_only
        .address_space:  global
        .offset:         32
        .size:           8
        .value_kind:     global_buffer
      - .actual_access:  read_only
        .address_space:  global
        .offset:         40
        .size:           8
        .value_kind:     global_buffer
      - .offset:         48
        .size:           8
        .value_kind:     by_value
      - .address_space:  global
        .offset:         56
        .size:           8
        .value_kind:     global_buffer
      - .offset:         64
        .size:           4
        .value_kind:     by_value
      - .offset:         68
        .size:           1
        .value_kind:     by_value
    .group_segment_fixed_size: 0
    .kernarg_segment_align: 8
    .kernarg_segment_size: 72
    .language:       OpenCL C
    .language_version:
      - 2
      - 0
    .max_flat_workgroup_size: 128
    .name:           _ZN9rocsparseL19gebsrmvn_2xn_kernelILj128ELj1ELj32EfEEvi20rocsparse_direction_NS_24const_host_device_scalarIT2_EEPKiS6_PKS3_S8_S4_PS3_21rocsparse_index_base_b
    .private_segment_fixed_size: 0
    .sgpr_count:     22
    .sgpr_spill_count: 0
    .symbol:         _ZN9rocsparseL19gebsrmvn_2xn_kernelILj128ELj1ELj32EfEEvi20rocsparse_direction_NS_24const_host_device_scalarIT2_EEPKiS6_PKS3_S8_S4_PS3_21rocsparse_index_base_b.kd
    .uniform_work_group_size: 1
    .uses_dynamic_stack: false
    .vgpr_count:     14
    .vgpr_spill_count: 0
    .wavefront_size: 32
    .workgroup_processor_mode: 1
  - .args:
      - .offset:         0
        .size:           4
        .value_kind:     by_value
      - .offset:         4
        .size:           4
        .value_kind:     by_value
      - .offset:         8
        .size:           8
        .value_kind:     by_value
      - .actual_access:  read_only
        .address_space:  global
        .offset:         16
        .size:           8
        .value_kind:     global_buffer
      - .actual_access:  read_only
        .address_space:  global
        .offset:         24
        .size:           8
        .value_kind:     global_buffer
      - .actual_access:  read_only
        .address_space:  global
        .offset:         32
        .size:           8
        .value_kind:     global_buffer
      - .actual_access:  read_only
        .address_space:  global
        .offset:         40
        .size:           8
        .value_kind:     global_buffer
      - .offset:         48
        .size:           8
        .value_kind:     by_value
      - .address_space:  global
        .offset:         56
        .size:           8
        .value_kind:     global_buffer
      - .offset:         64
        .size:           4
        .value_kind:     by_value
      - .offset:         68
        .size:           1
        .value_kind:     by_value
    .group_segment_fixed_size: 0
    .kernarg_segment_align: 8
    .kernarg_segment_size: 72
    .language:       OpenCL C
    .language_version:
      - 2
      - 0
    .max_flat_workgroup_size: 128
    .name:           _ZN9rocsparseL19gebsrmvn_2xn_kernelILj128ELj1ELj64EfEEvi20rocsparse_direction_NS_24const_host_device_scalarIT2_EEPKiS6_PKS3_S8_S4_PS3_21rocsparse_index_base_b
    .private_segment_fixed_size: 0
    .sgpr_count:     22
    .sgpr_spill_count: 0
    .symbol:         _ZN9rocsparseL19gebsrmvn_2xn_kernelILj128ELj1ELj64EfEEvi20rocsparse_direction_NS_24const_host_device_scalarIT2_EEPKiS6_PKS3_S8_S4_PS3_21rocsparse_index_base_b.kd
    .uniform_work_group_size: 1
    .uses_dynamic_stack: false
    .vgpr_count:     14
    .vgpr_spill_count: 0
    .wavefront_size: 32
    .workgroup_processor_mode: 1
  - .args:
      - .offset:         0
        .size:           4
        .value_kind:     by_value
      - .offset:         4
        .size:           4
        .value_kind:     by_value
      - .offset:         8
        .size:           8
        .value_kind:     by_value
      - .actual_access:  read_only
        .address_space:  global
        .offset:         16
        .size:           8
        .value_kind:     global_buffer
      - .actual_access:  read_only
        .address_space:  global
        .offset:         24
        .size:           8
        .value_kind:     global_buffer
      - .actual_access:  read_only
        .address_space:  global
        .offset:         32
        .size:           8
        .value_kind:     global_buffer
      - .actual_access:  read_only
        .address_space:  global
        .offset:         40
        .size:           8
        .value_kind:     global_buffer
      - .offset:         48
        .size:           8
        .value_kind:     by_value
      - .address_space:  global
        .offset:         56
        .size:           8
        .value_kind:     global_buffer
      - .offset:         64
        .size:           4
        .value_kind:     by_value
      - .offset:         68
        .size:           1
        .value_kind:     by_value
    .group_segment_fixed_size: 0
    .kernarg_segment_align: 8
    .kernarg_segment_size: 72
    .language:       OpenCL C
    .language_version:
      - 2
      - 0
    .max_flat_workgroup_size: 128
    .name:           _ZN9rocsparseL19gebsrmvn_2xn_kernelILj128ELj3ELj4EfEEvi20rocsparse_direction_NS_24const_host_device_scalarIT2_EEPKiS6_PKS3_S8_S4_PS3_21rocsparse_index_base_b
    .private_segment_fixed_size: 0
    .sgpr_count:     22
    .sgpr_spill_count: 0
    .symbol:         _ZN9rocsparseL19gebsrmvn_2xn_kernelILj128ELj3ELj4EfEEvi20rocsparse_direction_NS_24const_host_device_scalarIT2_EEPKiS6_PKS3_S8_S4_PS3_21rocsparse_index_base_b.kd
    .uniform_work_group_size: 1
    .uses_dynamic_stack: false
    .vgpr_count:     25
    .vgpr_spill_count: 0
    .wavefront_size: 32
    .workgroup_processor_mode: 1
  - .args:
      - .offset:         0
        .size:           4
        .value_kind:     by_value
      - .offset:         4
        .size:           4
        .value_kind:     by_value
      - .offset:         8
        .size:           8
        .value_kind:     by_value
      - .actual_access:  read_only
        .address_space:  global
        .offset:         16
        .size:           8
        .value_kind:     global_buffer
      - .actual_access:  read_only
        .address_space:  global
        .offset:         24
        .size:           8
        .value_kind:     global_buffer
      - .actual_access:  read_only
        .address_space:  global
        .offset:         32
        .size:           8
        .value_kind:     global_buffer
      - .actual_access:  read_only
        .address_space:  global
        .offset:         40
        .size:           8
        .value_kind:     global_buffer
      - .offset:         48
        .size:           8
        .value_kind:     by_value
      - .address_space:  global
        .offset:         56
        .size:           8
        .value_kind:     global_buffer
      - .offset:         64
        .size:           4
        .value_kind:     by_value
      - .offset:         68
        .size:           1
        .value_kind:     by_value
    .group_segment_fixed_size: 0
    .kernarg_segment_align: 8
    .kernarg_segment_size: 72
    .language:       OpenCL C
    .language_version:
      - 2
      - 0
    .max_flat_workgroup_size: 128
    .name:           _ZN9rocsparseL19gebsrmvn_2xn_kernelILj128ELj3ELj8EfEEvi20rocsparse_direction_NS_24const_host_device_scalarIT2_EEPKiS6_PKS3_S8_S4_PS3_21rocsparse_index_base_b
    .private_segment_fixed_size: 0
    .sgpr_count:     22
    .sgpr_spill_count: 0
    .symbol:         _ZN9rocsparseL19gebsrmvn_2xn_kernelILj128ELj3ELj8EfEEvi20rocsparse_direction_NS_24const_host_device_scalarIT2_EEPKiS6_PKS3_S8_S4_PS3_21rocsparse_index_base_b.kd
    .uniform_work_group_size: 1
    .uses_dynamic_stack: false
    .vgpr_count:     25
    .vgpr_spill_count: 0
    .wavefront_size: 32
    .workgroup_processor_mode: 1
  - .args:
      - .offset:         0
        .size:           4
        .value_kind:     by_value
      - .offset:         4
        .size:           4
        .value_kind:     by_value
      - .offset:         8
        .size:           8
        .value_kind:     by_value
      - .actual_access:  read_only
        .address_space:  global
        .offset:         16
        .size:           8
        .value_kind:     global_buffer
      - .actual_access:  read_only
        .address_space:  global
        .offset:         24
        .size:           8
        .value_kind:     global_buffer
      - .actual_access:  read_only
        .address_space:  global
        .offset:         32
        .size:           8
        .value_kind:     global_buffer
      - .actual_access:  read_only
        .address_space:  global
        .offset:         40
        .size:           8
        .value_kind:     global_buffer
      - .offset:         48
        .size:           8
        .value_kind:     by_value
      - .address_space:  global
        .offset:         56
        .size:           8
        .value_kind:     global_buffer
      - .offset:         64
        .size:           4
        .value_kind:     by_value
      - .offset:         68
        .size:           1
        .value_kind:     by_value
    .group_segment_fixed_size: 0
    .kernarg_segment_align: 8
    .kernarg_segment_size: 72
    .language:       OpenCL C
    .language_version:
      - 2
      - 0
    .max_flat_workgroup_size: 128
    .name:           _ZN9rocsparseL19gebsrmvn_2xn_kernelILj128ELj3ELj16EfEEvi20rocsparse_direction_NS_24const_host_device_scalarIT2_EEPKiS6_PKS3_S8_S4_PS3_21rocsparse_index_base_b
    .private_segment_fixed_size: 0
    .sgpr_count:     22
    .sgpr_spill_count: 0
    .symbol:         _ZN9rocsparseL19gebsrmvn_2xn_kernelILj128ELj3ELj16EfEEvi20rocsparse_direction_NS_24const_host_device_scalarIT2_EEPKiS6_PKS3_S8_S4_PS3_21rocsparse_index_base_b.kd
    .uniform_work_group_size: 1
    .uses_dynamic_stack: false
    .vgpr_count:     25
    .vgpr_spill_count: 0
    .wavefront_size: 32
    .workgroup_processor_mode: 1
  - .args:
      - .offset:         0
        .size:           4
        .value_kind:     by_value
      - .offset:         4
        .size:           4
        .value_kind:     by_value
      - .offset:         8
        .size:           8
        .value_kind:     by_value
      - .actual_access:  read_only
        .address_space:  global
        .offset:         16
        .size:           8
        .value_kind:     global_buffer
      - .actual_access:  read_only
        .address_space:  global
        .offset:         24
        .size:           8
        .value_kind:     global_buffer
      - .actual_access:  read_only
        .address_space:  global
        .offset:         32
        .size:           8
        .value_kind:     global_buffer
      - .actual_access:  read_only
        .address_space:  global
        .offset:         40
        .size:           8
        .value_kind:     global_buffer
      - .offset:         48
        .size:           8
        .value_kind:     by_value
      - .address_space:  global
        .offset:         56
        .size:           8
        .value_kind:     global_buffer
      - .offset:         64
        .size:           4
        .value_kind:     by_value
      - .offset:         68
        .size:           1
        .value_kind:     by_value
    .group_segment_fixed_size: 0
    .kernarg_segment_align: 8
    .kernarg_segment_size: 72
    .language:       OpenCL C
    .language_version:
      - 2
      - 0
    .max_flat_workgroup_size: 128
    .name:           _ZN9rocsparseL19gebsrmvn_2xn_kernelILj128ELj3ELj32EfEEvi20rocsparse_direction_NS_24const_host_device_scalarIT2_EEPKiS6_PKS3_S8_S4_PS3_21rocsparse_index_base_b
    .private_segment_fixed_size: 0
    .sgpr_count:     22
    .sgpr_spill_count: 0
    .symbol:         _ZN9rocsparseL19gebsrmvn_2xn_kernelILj128ELj3ELj32EfEEvi20rocsparse_direction_NS_24const_host_device_scalarIT2_EEPKiS6_PKS3_S8_S4_PS3_21rocsparse_index_base_b.kd
    .uniform_work_group_size: 1
    .uses_dynamic_stack: false
    .vgpr_count:     25
    .vgpr_spill_count: 0
    .wavefront_size: 32
    .workgroup_processor_mode: 1
  - .args:
      - .offset:         0
        .size:           4
        .value_kind:     by_value
      - .offset:         4
        .size:           4
        .value_kind:     by_value
      - .offset:         8
        .size:           8
        .value_kind:     by_value
      - .actual_access:  read_only
        .address_space:  global
        .offset:         16
        .size:           8
        .value_kind:     global_buffer
      - .actual_access:  read_only
        .address_space:  global
        .offset:         24
        .size:           8
        .value_kind:     global_buffer
      - .actual_access:  read_only
        .address_space:  global
        .offset:         32
        .size:           8
        .value_kind:     global_buffer
      - .actual_access:  read_only
        .address_space:  global
        .offset:         40
        .size:           8
        .value_kind:     global_buffer
      - .offset:         48
        .size:           8
        .value_kind:     by_value
      - .address_space:  global
        .offset:         56
        .size:           8
        .value_kind:     global_buffer
      - .offset:         64
        .size:           4
        .value_kind:     by_value
      - .offset:         68
        .size:           1
        .value_kind:     by_value
    .group_segment_fixed_size: 0
    .kernarg_segment_align: 8
    .kernarg_segment_size: 72
    .language:       OpenCL C
    .language_version:
      - 2
      - 0
    .max_flat_workgroup_size: 128
    .name:           _ZN9rocsparseL19gebsrmvn_2xn_kernelILj128ELj3ELj64EfEEvi20rocsparse_direction_NS_24const_host_device_scalarIT2_EEPKiS6_PKS3_S8_S4_PS3_21rocsparse_index_base_b
    .private_segment_fixed_size: 0
    .sgpr_count:     22
    .sgpr_spill_count: 0
    .symbol:         _ZN9rocsparseL19gebsrmvn_2xn_kernelILj128ELj3ELj64EfEEvi20rocsparse_direction_NS_24const_host_device_scalarIT2_EEPKiS6_PKS3_S8_S4_PS3_21rocsparse_index_base_b.kd
    .uniform_work_group_size: 1
    .uses_dynamic_stack: false
    .vgpr_count:     25
    .vgpr_spill_count: 0
    .wavefront_size: 32
    .workgroup_processor_mode: 1
  - .args:
      - .offset:         0
        .size:           4
        .value_kind:     by_value
      - .offset:         4
        .size:           4
        .value_kind:     by_value
      - .offset:         8
        .size:           8
        .value_kind:     by_value
      - .actual_access:  read_only
        .address_space:  global
        .offset:         16
        .size:           8
        .value_kind:     global_buffer
      - .actual_access:  read_only
        .address_space:  global
        .offset:         24
        .size:           8
        .value_kind:     global_buffer
      - .actual_access:  read_only
        .address_space:  global
        .offset:         32
        .size:           8
        .value_kind:     global_buffer
      - .actual_access:  read_only
        .address_space:  global
        .offset:         40
        .size:           8
        .value_kind:     global_buffer
      - .offset:         48
        .size:           8
        .value_kind:     by_value
      - .address_space:  global
        .offset:         56
        .size:           8
        .value_kind:     global_buffer
      - .offset:         64
        .size:           4
        .value_kind:     by_value
      - .offset:         68
        .size:           1
        .value_kind:     by_value
    .group_segment_fixed_size: 0
    .kernarg_segment_align: 8
    .kernarg_segment_size: 72
    .language:       OpenCL C
    .language_version:
      - 2
      - 0
    .max_flat_workgroup_size: 128
    .name:           _ZN9rocsparseL19gebsrmvn_2xn_kernelILj128ELj4ELj4EfEEvi20rocsparse_direction_NS_24const_host_device_scalarIT2_EEPKiS6_PKS3_S8_S4_PS3_21rocsparse_index_base_b
    .private_segment_fixed_size: 0
    .sgpr_count:     22
    .sgpr_spill_count: 0
    .symbol:         _ZN9rocsparseL19gebsrmvn_2xn_kernelILj128ELj4ELj4EfEEvi20rocsparse_direction_NS_24const_host_device_scalarIT2_EEPKiS6_PKS3_S8_S4_PS3_21rocsparse_index_base_b.kd
    .uniform_work_group_size: 1
    .uses_dynamic_stack: false
    .vgpr_count:     22
    .vgpr_spill_count: 0
    .wavefront_size: 32
    .workgroup_processor_mode: 1
  - .args:
      - .offset:         0
        .size:           4
        .value_kind:     by_value
      - .offset:         4
        .size:           4
        .value_kind:     by_value
      - .offset:         8
        .size:           8
        .value_kind:     by_value
      - .actual_access:  read_only
        .address_space:  global
        .offset:         16
        .size:           8
        .value_kind:     global_buffer
      - .actual_access:  read_only
        .address_space:  global
        .offset:         24
        .size:           8
        .value_kind:     global_buffer
      - .actual_access:  read_only
        .address_space:  global
        .offset:         32
        .size:           8
        .value_kind:     global_buffer
      - .actual_access:  read_only
        .address_space:  global
        .offset:         40
        .size:           8
        .value_kind:     global_buffer
      - .offset:         48
        .size:           8
        .value_kind:     by_value
      - .address_space:  global
        .offset:         56
        .size:           8
        .value_kind:     global_buffer
      - .offset:         64
        .size:           4
        .value_kind:     by_value
      - .offset:         68
        .size:           1
        .value_kind:     by_value
    .group_segment_fixed_size: 0
    .kernarg_segment_align: 8
    .kernarg_segment_size: 72
    .language:       OpenCL C
    .language_version:
      - 2
      - 0
    .max_flat_workgroup_size: 128
    .name:           _ZN9rocsparseL19gebsrmvn_2xn_kernelILj128ELj4ELj8EfEEvi20rocsparse_direction_NS_24const_host_device_scalarIT2_EEPKiS6_PKS3_S8_S4_PS3_21rocsparse_index_base_b
    .private_segment_fixed_size: 0
    .sgpr_count:     22
    .sgpr_spill_count: 0
    .symbol:         _ZN9rocsparseL19gebsrmvn_2xn_kernelILj128ELj4ELj8EfEEvi20rocsparse_direction_NS_24const_host_device_scalarIT2_EEPKiS6_PKS3_S8_S4_PS3_21rocsparse_index_base_b.kd
    .uniform_work_group_size: 1
    .uses_dynamic_stack: false
    .vgpr_count:     22
    .vgpr_spill_count: 0
    .wavefront_size: 32
    .workgroup_processor_mode: 1
  - .args:
      - .offset:         0
        .size:           4
        .value_kind:     by_value
      - .offset:         4
        .size:           4
        .value_kind:     by_value
      - .offset:         8
        .size:           8
        .value_kind:     by_value
      - .actual_access:  read_only
        .address_space:  global
        .offset:         16
        .size:           8
        .value_kind:     global_buffer
      - .actual_access:  read_only
        .address_space:  global
        .offset:         24
        .size:           8
        .value_kind:     global_buffer
      - .actual_access:  read_only
        .address_space:  global
        .offset:         32
        .size:           8
        .value_kind:     global_buffer
      - .actual_access:  read_only
        .address_space:  global
        .offset:         40
        .size:           8
        .value_kind:     global_buffer
      - .offset:         48
        .size:           8
        .value_kind:     by_value
      - .address_space:  global
        .offset:         56
        .size:           8
        .value_kind:     global_buffer
      - .offset:         64
        .size:           4
        .value_kind:     by_value
      - .offset:         68
        .size:           1
        .value_kind:     by_value
    .group_segment_fixed_size: 0
    .kernarg_segment_align: 8
    .kernarg_segment_size: 72
    .language:       OpenCL C
    .language_version:
      - 2
      - 0
    .max_flat_workgroup_size: 128
    .name:           _ZN9rocsparseL19gebsrmvn_2xn_kernelILj128ELj4ELj16EfEEvi20rocsparse_direction_NS_24const_host_device_scalarIT2_EEPKiS6_PKS3_S8_S4_PS3_21rocsparse_index_base_b
    .private_segment_fixed_size: 0
    .sgpr_count:     22
    .sgpr_spill_count: 0
    .symbol:         _ZN9rocsparseL19gebsrmvn_2xn_kernelILj128ELj4ELj16EfEEvi20rocsparse_direction_NS_24const_host_device_scalarIT2_EEPKiS6_PKS3_S8_S4_PS3_21rocsparse_index_base_b.kd
    .uniform_work_group_size: 1
    .uses_dynamic_stack: false
    .vgpr_count:     22
    .vgpr_spill_count: 0
    .wavefront_size: 32
    .workgroup_processor_mode: 1
  - .args:
      - .offset:         0
        .size:           4
        .value_kind:     by_value
      - .offset:         4
        .size:           4
        .value_kind:     by_value
      - .offset:         8
        .size:           8
        .value_kind:     by_value
      - .actual_access:  read_only
        .address_space:  global
        .offset:         16
        .size:           8
        .value_kind:     global_buffer
      - .actual_access:  read_only
        .address_space:  global
        .offset:         24
        .size:           8
        .value_kind:     global_buffer
      - .actual_access:  read_only
        .address_space:  global
        .offset:         32
        .size:           8
        .value_kind:     global_buffer
      - .actual_access:  read_only
        .address_space:  global
        .offset:         40
        .size:           8
        .value_kind:     global_buffer
      - .offset:         48
        .size:           8
        .value_kind:     by_value
      - .address_space:  global
        .offset:         56
        .size:           8
        .value_kind:     global_buffer
      - .offset:         64
        .size:           4
        .value_kind:     by_value
      - .offset:         68
        .size:           1
        .value_kind:     by_value
    .group_segment_fixed_size: 0
    .kernarg_segment_align: 8
    .kernarg_segment_size: 72
    .language:       OpenCL C
    .language_version:
      - 2
      - 0
    .max_flat_workgroup_size: 128
    .name:           _ZN9rocsparseL19gebsrmvn_2xn_kernelILj128ELj4ELj32EfEEvi20rocsparse_direction_NS_24const_host_device_scalarIT2_EEPKiS6_PKS3_S8_S4_PS3_21rocsparse_index_base_b
    .private_segment_fixed_size: 0
    .sgpr_count:     22
    .sgpr_spill_count: 0
    .symbol:         _ZN9rocsparseL19gebsrmvn_2xn_kernelILj128ELj4ELj32EfEEvi20rocsparse_direction_NS_24const_host_device_scalarIT2_EEPKiS6_PKS3_S8_S4_PS3_21rocsparse_index_base_b.kd
    .uniform_work_group_size: 1
    .uses_dynamic_stack: false
    .vgpr_count:     22
    .vgpr_spill_count: 0
    .wavefront_size: 32
    .workgroup_processor_mode: 1
  - .args:
      - .offset:         0
        .size:           4
        .value_kind:     by_value
      - .offset:         4
        .size:           4
        .value_kind:     by_value
      - .offset:         8
        .size:           8
        .value_kind:     by_value
      - .actual_access:  read_only
        .address_space:  global
        .offset:         16
        .size:           8
        .value_kind:     global_buffer
      - .actual_access:  read_only
        .address_space:  global
        .offset:         24
        .size:           8
        .value_kind:     global_buffer
      - .actual_access:  read_only
        .address_space:  global
        .offset:         32
        .size:           8
        .value_kind:     global_buffer
      - .actual_access:  read_only
        .address_space:  global
        .offset:         40
        .size:           8
        .value_kind:     global_buffer
      - .offset:         48
        .size:           8
        .value_kind:     by_value
      - .address_space:  global
        .offset:         56
        .size:           8
        .value_kind:     global_buffer
      - .offset:         64
        .size:           4
        .value_kind:     by_value
      - .offset:         68
        .size:           1
        .value_kind:     by_value
    .group_segment_fixed_size: 0
    .kernarg_segment_align: 8
    .kernarg_segment_size: 72
    .language:       OpenCL C
    .language_version:
      - 2
      - 0
    .max_flat_workgroup_size: 128
    .name:           _ZN9rocsparseL19gebsrmvn_2xn_kernelILj128ELj4ELj64EfEEvi20rocsparse_direction_NS_24const_host_device_scalarIT2_EEPKiS6_PKS3_S8_S4_PS3_21rocsparse_index_base_b
    .private_segment_fixed_size: 0
    .sgpr_count:     22
    .sgpr_spill_count: 0
    .symbol:         _ZN9rocsparseL19gebsrmvn_2xn_kernelILj128ELj4ELj64EfEEvi20rocsparse_direction_NS_24const_host_device_scalarIT2_EEPKiS6_PKS3_S8_S4_PS3_21rocsparse_index_base_b.kd
    .uniform_work_group_size: 1
    .uses_dynamic_stack: false
    .vgpr_count:     22
    .vgpr_spill_count: 0
    .wavefront_size: 32
    .workgroup_processor_mode: 1
  - .args:
      - .offset:         0
        .size:           4
        .value_kind:     by_value
      - .offset:         4
        .size:           4
        .value_kind:     by_value
      - .offset:         8
        .size:           8
        .value_kind:     by_value
      - .actual_access:  read_only
        .address_space:  global
        .offset:         16
        .size:           8
        .value_kind:     global_buffer
      - .actual_access:  read_only
        .address_space:  global
        .offset:         24
        .size:           8
        .value_kind:     global_buffer
      - .actual_access:  read_only
        .address_space:  global
        .offset:         32
        .size:           8
        .value_kind:     global_buffer
      - .actual_access:  read_only
        .address_space:  global
        .offset:         40
        .size:           8
        .value_kind:     global_buffer
      - .offset:         48
        .size:           8
        .value_kind:     by_value
      - .address_space:  global
        .offset:         56
        .size:           8
        .value_kind:     global_buffer
      - .offset:         64
        .size:           4
        .value_kind:     by_value
      - .offset:         68
        .size:           1
        .value_kind:     by_value
    .group_segment_fixed_size: 0
    .kernarg_segment_align: 8
    .kernarg_segment_size: 72
    .language:       OpenCL C
    .language_version:
      - 2
      - 0
    .max_flat_workgroup_size: 128
    .name:           _ZN9rocsparseL19gebsrmvn_2xn_kernelILj128ELj5ELj4EfEEvi20rocsparse_direction_NS_24const_host_device_scalarIT2_EEPKiS6_PKS3_S8_S4_PS3_21rocsparse_index_base_b
    .private_segment_fixed_size: 0
    .sgpr_count:     22
    .sgpr_spill_count: 0
    .symbol:         _ZN9rocsparseL19gebsrmvn_2xn_kernelILj128ELj5ELj4EfEEvi20rocsparse_direction_NS_24const_host_device_scalarIT2_EEPKiS6_PKS3_S8_S4_PS3_21rocsparse_index_base_b.kd
    .uniform_work_group_size: 1
    .uses_dynamic_stack: false
    .vgpr_count:     30
    .vgpr_spill_count: 0
    .wavefront_size: 32
    .workgroup_processor_mode: 1
  - .args:
      - .offset:         0
        .size:           4
        .value_kind:     by_value
      - .offset:         4
        .size:           4
        .value_kind:     by_value
      - .offset:         8
        .size:           8
        .value_kind:     by_value
      - .actual_access:  read_only
        .address_space:  global
        .offset:         16
        .size:           8
        .value_kind:     global_buffer
      - .actual_access:  read_only
        .address_space:  global
        .offset:         24
        .size:           8
        .value_kind:     global_buffer
      - .actual_access:  read_only
        .address_space:  global
        .offset:         32
        .size:           8
        .value_kind:     global_buffer
      - .actual_access:  read_only
        .address_space:  global
        .offset:         40
        .size:           8
        .value_kind:     global_buffer
      - .offset:         48
        .size:           8
        .value_kind:     by_value
      - .address_space:  global
        .offset:         56
        .size:           8
        .value_kind:     global_buffer
      - .offset:         64
        .size:           4
        .value_kind:     by_value
      - .offset:         68
        .size:           1
        .value_kind:     by_value
    .group_segment_fixed_size: 0
    .kernarg_segment_align: 8
    .kernarg_segment_size: 72
    .language:       OpenCL C
    .language_version:
      - 2
      - 0
    .max_flat_workgroup_size: 128
    .name:           _ZN9rocsparseL19gebsrmvn_2xn_kernelILj128ELj5ELj8EfEEvi20rocsparse_direction_NS_24const_host_device_scalarIT2_EEPKiS6_PKS3_S8_S4_PS3_21rocsparse_index_base_b
    .private_segment_fixed_size: 0
    .sgpr_count:     22
    .sgpr_spill_count: 0
    .symbol:         _ZN9rocsparseL19gebsrmvn_2xn_kernelILj128ELj5ELj8EfEEvi20rocsparse_direction_NS_24const_host_device_scalarIT2_EEPKiS6_PKS3_S8_S4_PS3_21rocsparse_index_base_b.kd
    .uniform_work_group_size: 1
    .uses_dynamic_stack: false
    .vgpr_count:     30
    .vgpr_spill_count: 0
    .wavefront_size: 32
    .workgroup_processor_mode: 1
  - .args:
      - .offset:         0
        .size:           4
        .value_kind:     by_value
      - .offset:         4
        .size:           4
        .value_kind:     by_value
      - .offset:         8
        .size:           8
        .value_kind:     by_value
      - .actual_access:  read_only
        .address_space:  global
        .offset:         16
        .size:           8
        .value_kind:     global_buffer
      - .actual_access:  read_only
        .address_space:  global
        .offset:         24
        .size:           8
        .value_kind:     global_buffer
      - .actual_access:  read_only
        .address_space:  global
        .offset:         32
        .size:           8
        .value_kind:     global_buffer
      - .actual_access:  read_only
        .address_space:  global
        .offset:         40
        .size:           8
        .value_kind:     global_buffer
      - .offset:         48
        .size:           8
        .value_kind:     by_value
      - .address_space:  global
        .offset:         56
        .size:           8
        .value_kind:     global_buffer
      - .offset:         64
        .size:           4
        .value_kind:     by_value
      - .offset:         68
        .size:           1
        .value_kind:     by_value
    .group_segment_fixed_size: 0
    .kernarg_segment_align: 8
    .kernarg_segment_size: 72
    .language:       OpenCL C
    .language_version:
      - 2
      - 0
    .max_flat_workgroup_size: 128
    .name:           _ZN9rocsparseL19gebsrmvn_2xn_kernelILj128ELj5ELj16EfEEvi20rocsparse_direction_NS_24const_host_device_scalarIT2_EEPKiS6_PKS3_S8_S4_PS3_21rocsparse_index_base_b
    .private_segment_fixed_size: 0
    .sgpr_count:     22
    .sgpr_spill_count: 0
    .symbol:         _ZN9rocsparseL19gebsrmvn_2xn_kernelILj128ELj5ELj16EfEEvi20rocsparse_direction_NS_24const_host_device_scalarIT2_EEPKiS6_PKS3_S8_S4_PS3_21rocsparse_index_base_b.kd
    .uniform_work_group_size: 1
    .uses_dynamic_stack: false
    .vgpr_count:     30
    .vgpr_spill_count: 0
    .wavefront_size: 32
    .workgroup_processor_mode: 1
  - .args:
      - .offset:         0
        .size:           4
        .value_kind:     by_value
      - .offset:         4
        .size:           4
        .value_kind:     by_value
      - .offset:         8
        .size:           8
        .value_kind:     by_value
      - .actual_access:  read_only
        .address_space:  global
        .offset:         16
        .size:           8
        .value_kind:     global_buffer
      - .actual_access:  read_only
        .address_space:  global
        .offset:         24
        .size:           8
        .value_kind:     global_buffer
      - .actual_access:  read_only
        .address_space:  global
        .offset:         32
        .size:           8
        .value_kind:     global_buffer
      - .actual_access:  read_only
        .address_space:  global
        .offset:         40
        .size:           8
        .value_kind:     global_buffer
      - .offset:         48
        .size:           8
        .value_kind:     by_value
      - .address_space:  global
        .offset:         56
        .size:           8
        .value_kind:     global_buffer
      - .offset:         64
        .size:           4
        .value_kind:     by_value
      - .offset:         68
        .size:           1
        .value_kind:     by_value
    .group_segment_fixed_size: 0
    .kernarg_segment_align: 8
    .kernarg_segment_size: 72
    .language:       OpenCL C
    .language_version:
      - 2
      - 0
    .max_flat_workgroup_size: 128
    .name:           _ZN9rocsparseL19gebsrmvn_2xn_kernelILj128ELj5ELj32EfEEvi20rocsparse_direction_NS_24const_host_device_scalarIT2_EEPKiS6_PKS3_S8_S4_PS3_21rocsparse_index_base_b
    .private_segment_fixed_size: 0
    .sgpr_count:     22
    .sgpr_spill_count: 0
    .symbol:         _ZN9rocsparseL19gebsrmvn_2xn_kernelILj128ELj5ELj32EfEEvi20rocsparse_direction_NS_24const_host_device_scalarIT2_EEPKiS6_PKS3_S8_S4_PS3_21rocsparse_index_base_b.kd
    .uniform_work_group_size: 1
    .uses_dynamic_stack: false
    .vgpr_count:     30
    .vgpr_spill_count: 0
    .wavefront_size: 32
    .workgroup_processor_mode: 1
  - .args:
      - .offset:         0
        .size:           4
        .value_kind:     by_value
      - .offset:         4
        .size:           4
        .value_kind:     by_value
      - .offset:         8
        .size:           8
        .value_kind:     by_value
      - .actual_access:  read_only
        .address_space:  global
        .offset:         16
        .size:           8
        .value_kind:     global_buffer
      - .actual_access:  read_only
        .address_space:  global
        .offset:         24
        .size:           8
        .value_kind:     global_buffer
      - .actual_access:  read_only
        .address_space:  global
        .offset:         32
        .size:           8
        .value_kind:     global_buffer
      - .actual_access:  read_only
        .address_space:  global
        .offset:         40
        .size:           8
        .value_kind:     global_buffer
      - .offset:         48
        .size:           8
        .value_kind:     by_value
      - .address_space:  global
        .offset:         56
        .size:           8
        .value_kind:     global_buffer
      - .offset:         64
        .size:           4
        .value_kind:     by_value
      - .offset:         68
        .size:           1
        .value_kind:     by_value
    .group_segment_fixed_size: 0
    .kernarg_segment_align: 8
    .kernarg_segment_size: 72
    .language:       OpenCL C
    .language_version:
      - 2
      - 0
    .max_flat_workgroup_size: 128
    .name:           _ZN9rocsparseL19gebsrmvn_2xn_kernelILj128ELj5ELj64EfEEvi20rocsparse_direction_NS_24const_host_device_scalarIT2_EEPKiS6_PKS3_S8_S4_PS3_21rocsparse_index_base_b
    .private_segment_fixed_size: 0
    .sgpr_count:     22
    .sgpr_spill_count: 0
    .symbol:         _ZN9rocsparseL19gebsrmvn_2xn_kernelILj128ELj5ELj64EfEEvi20rocsparse_direction_NS_24const_host_device_scalarIT2_EEPKiS6_PKS3_S8_S4_PS3_21rocsparse_index_base_b.kd
    .uniform_work_group_size: 1
    .uses_dynamic_stack: false
    .vgpr_count:     30
    .vgpr_spill_count: 0
    .wavefront_size: 32
    .workgroup_processor_mode: 1
  - .args:
      - .offset:         0
        .size:           4
        .value_kind:     by_value
      - .offset:         4
        .size:           4
        .value_kind:     by_value
      - .offset:         8
        .size:           8
        .value_kind:     by_value
      - .actual_access:  read_only
        .address_space:  global
        .offset:         16
        .size:           8
        .value_kind:     global_buffer
      - .actual_access:  read_only
        .address_space:  global
        .offset:         24
        .size:           8
        .value_kind:     global_buffer
      - .actual_access:  read_only
        .address_space:  global
        .offset:         32
        .size:           8
        .value_kind:     global_buffer
      - .actual_access:  read_only
        .address_space:  global
        .offset:         40
        .size:           8
        .value_kind:     global_buffer
      - .offset:         48
        .size:           8
        .value_kind:     by_value
      - .address_space:  global
        .offset:         56
        .size:           8
        .value_kind:     global_buffer
      - .offset:         64
        .size:           4
        .value_kind:     by_value
      - .offset:         68
        .size:           1
        .value_kind:     by_value
    .group_segment_fixed_size: 0
    .kernarg_segment_align: 8
    .kernarg_segment_size: 72
    .language:       OpenCL C
    .language_version:
      - 2
      - 0
    .max_flat_workgroup_size: 128
    .name:           _ZN9rocsparseL19gebsrmvn_2xn_kernelILj128ELj6ELj4EfEEvi20rocsparse_direction_NS_24const_host_device_scalarIT2_EEPKiS6_PKS3_S8_S4_PS3_21rocsparse_index_base_b
    .private_segment_fixed_size: 0
    .sgpr_count:     22
    .sgpr_spill_count: 0
    .symbol:         _ZN9rocsparseL19gebsrmvn_2xn_kernelILj128ELj6ELj4EfEEvi20rocsparse_direction_NS_24const_host_device_scalarIT2_EEPKiS6_PKS3_S8_S4_PS3_21rocsparse_index_base_b.kd
    .uniform_work_group_size: 1
    .uses_dynamic_stack: false
    .vgpr_count:     32
    .vgpr_spill_count: 0
    .wavefront_size: 32
    .workgroup_processor_mode: 1
  - .args:
      - .offset:         0
        .size:           4
        .value_kind:     by_value
      - .offset:         4
        .size:           4
        .value_kind:     by_value
      - .offset:         8
        .size:           8
        .value_kind:     by_value
      - .actual_access:  read_only
        .address_space:  global
        .offset:         16
        .size:           8
        .value_kind:     global_buffer
      - .actual_access:  read_only
        .address_space:  global
        .offset:         24
        .size:           8
        .value_kind:     global_buffer
      - .actual_access:  read_only
        .address_space:  global
        .offset:         32
        .size:           8
        .value_kind:     global_buffer
      - .actual_access:  read_only
        .address_space:  global
        .offset:         40
        .size:           8
        .value_kind:     global_buffer
      - .offset:         48
        .size:           8
        .value_kind:     by_value
      - .address_space:  global
        .offset:         56
        .size:           8
        .value_kind:     global_buffer
      - .offset:         64
        .size:           4
        .value_kind:     by_value
      - .offset:         68
        .size:           1
        .value_kind:     by_value
    .group_segment_fixed_size: 0
    .kernarg_segment_align: 8
    .kernarg_segment_size: 72
    .language:       OpenCL C
    .language_version:
      - 2
      - 0
    .max_flat_workgroup_size: 128
    .name:           _ZN9rocsparseL19gebsrmvn_2xn_kernelILj128ELj6ELj8EfEEvi20rocsparse_direction_NS_24const_host_device_scalarIT2_EEPKiS6_PKS3_S8_S4_PS3_21rocsparse_index_base_b
    .private_segment_fixed_size: 0
    .sgpr_count:     22
    .sgpr_spill_count: 0
    .symbol:         _ZN9rocsparseL19gebsrmvn_2xn_kernelILj128ELj6ELj8EfEEvi20rocsparse_direction_NS_24const_host_device_scalarIT2_EEPKiS6_PKS3_S8_S4_PS3_21rocsparse_index_base_b.kd
    .uniform_work_group_size: 1
    .uses_dynamic_stack: false
    .vgpr_count:     32
    .vgpr_spill_count: 0
    .wavefront_size: 32
    .workgroup_processor_mode: 1
  - .args:
      - .offset:         0
        .size:           4
        .value_kind:     by_value
      - .offset:         4
        .size:           4
        .value_kind:     by_value
      - .offset:         8
        .size:           8
        .value_kind:     by_value
      - .actual_access:  read_only
        .address_space:  global
        .offset:         16
        .size:           8
        .value_kind:     global_buffer
      - .actual_access:  read_only
        .address_space:  global
        .offset:         24
        .size:           8
        .value_kind:     global_buffer
      - .actual_access:  read_only
        .address_space:  global
        .offset:         32
        .size:           8
        .value_kind:     global_buffer
      - .actual_access:  read_only
        .address_space:  global
        .offset:         40
        .size:           8
        .value_kind:     global_buffer
      - .offset:         48
        .size:           8
        .value_kind:     by_value
      - .address_space:  global
        .offset:         56
        .size:           8
        .value_kind:     global_buffer
      - .offset:         64
        .size:           4
        .value_kind:     by_value
      - .offset:         68
        .size:           1
        .value_kind:     by_value
    .group_segment_fixed_size: 0
    .kernarg_segment_align: 8
    .kernarg_segment_size: 72
    .language:       OpenCL C
    .language_version:
      - 2
      - 0
    .max_flat_workgroup_size: 128
    .name:           _ZN9rocsparseL19gebsrmvn_2xn_kernelILj128ELj6ELj16EfEEvi20rocsparse_direction_NS_24const_host_device_scalarIT2_EEPKiS6_PKS3_S8_S4_PS3_21rocsparse_index_base_b
    .private_segment_fixed_size: 0
    .sgpr_count:     22
    .sgpr_spill_count: 0
    .symbol:         _ZN9rocsparseL19gebsrmvn_2xn_kernelILj128ELj6ELj16EfEEvi20rocsparse_direction_NS_24const_host_device_scalarIT2_EEPKiS6_PKS3_S8_S4_PS3_21rocsparse_index_base_b.kd
    .uniform_work_group_size: 1
    .uses_dynamic_stack: false
    .vgpr_count:     32
    .vgpr_spill_count: 0
    .wavefront_size: 32
    .workgroup_processor_mode: 1
  - .args:
      - .offset:         0
        .size:           4
        .value_kind:     by_value
      - .offset:         4
        .size:           4
        .value_kind:     by_value
      - .offset:         8
        .size:           8
        .value_kind:     by_value
      - .actual_access:  read_only
        .address_space:  global
        .offset:         16
        .size:           8
        .value_kind:     global_buffer
      - .actual_access:  read_only
        .address_space:  global
        .offset:         24
        .size:           8
        .value_kind:     global_buffer
      - .actual_access:  read_only
        .address_space:  global
        .offset:         32
        .size:           8
        .value_kind:     global_buffer
      - .actual_access:  read_only
        .address_space:  global
        .offset:         40
        .size:           8
        .value_kind:     global_buffer
      - .offset:         48
        .size:           8
        .value_kind:     by_value
      - .address_space:  global
        .offset:         56
        .size:           8
        .value_kind:     global_buffer
      - .offset:         64
        .size:           4
        .value_kind:     by_value
      - .offset:         68
        .size:           1
        .value_kind:     by_value
    .group_segment_fixed_size: 0
    .kernarg_segment_align: 8
    .kernarg_segment_size: 72
    .language:       OpenCL C
    .language_version:
      - 2
      - 0
    .max_flat_workgroup_size: 128
    .name:           _ZN9rocsparseL19gebsrmvn_2xn_kernelILj128ELj6ELj32EfEEvi20rocsparse_direction_NS_24const_host_device_scalarIT2_EEPKiS6_PKS3_S8_S4_PS3_21rocsparse_index_base_b
    .private_segment_fixed_size: 0
    .sgpr_count:     22
    .sgpr_spill_count: 0
    .symbol:         _ZN9rocsparseL19gebsrmvn_2xn_kernelILj128ELj6ELj32EfEEvi20rocsparse_direction_NS_24const_host_device_scalarIT2_EEPKiS6_PKS3_S8_S4_PS3_21rocsparse_index_base_b.kd
    .uniform_work_group_size: 1
    .uses_dynamic_stack: false
    .vgpr_count:     32
    .vgpr_spill_count: 0
    .wavefront_size: 32
    .workgroup_processor_mode: 1
  - .args:
      - .offset:         0
        .size:           4
        .value_kind:     by_value
      - .offset:         4
        .size:           4
        .value_kind:     by_value
      - .offset:         8
        .size:           8
        .value_kind:     by_value
      - .actual_access:  read_only
        .address_space:  global
        .offset:         16
        .size:           8
        .value_kind:     global_buffer
      - .actual_access:  read_only
        .address_space:  global
        .offset:         24
        .size:           8
        .value_kind:     global_buffer
      - .actual_access:  read_only
        .address_space:  global
        .offset:         32
        .size:           8
        .value_kind:     global_buffer
      - .actual_access:  read_only
        .address_space:  global
        .offset:         40
        .size:           8
        .value_kind:     global_buffer
      - .offset:         48
        .size:           8
        .value_kind:     by_value
      - .address_space:  global
        .offset:         56
        .size:           8
        .value_kind:     global_buffer
      - .offset:         64
        .size:           4
        .value_kind:     by_value
      - .offset:         68
        .size:           1
        .value_kind:     by_value
    .group_segment_fixed_size: 0
    .kernarg_segment_align: 8
    .kernarg_segment_size: 72
    .language:       OpenCL C
    .language_version:
      - 2
      - 0
    .max_flat_workgroup_size: 128
    .name:           _ZN9rocsparseL19gebsrmvn_2xn_kernelILj128ELj6ELj64EfEEvi20rocsparse_direction_NS_24const_host_device_scalarIT2_EEPKiS6_PKS3_S8_S4_PS3_21rocsparse_index_base_b
    .private_segment_fixed_size: 0
    .sgpr_count:     22
    .sgpr_spill_count: 0
    .symbol:         _ZN9rocsparseL19gebsrmvn_2xn_kernelILj128ELj6ELj64EfEEvi20rocsparse_direction_NS_24const_host_device_scalarIT2_EEPKiS6_PKS3_S8_S4_PS3_21rocsparse_index_base_b.kd
    .uniform_work_group_size: 1
    .uses_dynamic_stack: false
    .vgpr_count:     32
    .vgpr_spill_count: 0
    .wavefront_size: 32
    .workgroup_processor_mode: 1
  - .args:
      - .offset:         0
        .size:           4
        .value_kind:     by_value
      - .offset:         4
        .size:           4
        .value_kind:     by_value
      - .offset:         8
        .size:           8
        .value_kind:     by_value
      - .actual_access:  read_only
        .address_space:  global
        .offset:         16
        .size:           8
        .value_kind:     global_buffer
      - .actual_access:  read_only
        .address_space:  global
        .offset:         24
        .size:           8
        .value_kind:     global_buffer
      - .actual_access:  read_only
        .address_space:  global
        .offset:         32
        .size:           8
        .value_kind:     global_buffer
      - .actual_access:  read_only
        .address_space:  global
        .offset:         40
        .size:           8
        .value_kind:     global_buffer
      - .offset:         48
        .size:           8
        .value_kind:     by_value
      - .address_space:  global
        .offset:         56
        .size:           8
        .value_kind:     global_buffer
      - .offset:         64
        .size:           4
        .value_kind:     by_value
      - .offset:         68
        .size:           1
        .value_kind:     by_value
    .group_segment_fixed_size: 0
    .kernarg_segment_align: 8
    .kernarg_segment_size: 72
    .language:       OpenCL C
    .language_version:
      - 2
      - 0
    .max_flat_workgroup_size: 128
    .name:           _ZN9rocsparseL19gebsrmvn_2xn_kernelILj128ELj7ELj4EfEEvi20rocsparse_direction_NS_24const_host_device_scalarIT2_EEPKiS6_PKS3_S8_S4_PS3_21rocsparse_index_base_b
    .private_segment_fixed_size: 0
    .sgpr_count:     22
    .sgpr_spill_count: 0
    .symbol:         _ZN9rocsparseL19gebsrmvn_2xn_kernelILj128ELj7ELj4EfEEvi20rocsparse_direction_NS_24const_host_device_scalarIT2_EEPKiS6_PKS3_S8_S4_PS3_21rocsparse_index_base_b.kd
    .uniform_work_group_size: 1
    .uses_dynamic_stack: false
    .vgpr_count:     36
    .vgpr_spill_count: 0
    .wavefront_size: 32
    .workgroup_processor_mode: 1
  - .args:
      - .offset:         0
        .size:           4
        .value_kind:     by_value
      - .offset:         4
        .size:           4
        .value_kind:     by_value
      - .offset:         8
        .size:           8
        .value_kind:     by_value
      - .actual_access:  read_only
        .address_space:  global
        .offset:         16
        .size:           8
        .value_kind:     global_buffer
      - .actual_access:  read_only
        .address_space:  global
        .offset:         24
        .size:           8
        .value_kind:     global_buffer
      - .actual_access:  read_only
        .address_space:  global
        .offset:         32
        .size:           8
        .value_kind:     global_buffer
      - .actual_access:  read_only
        .address_space:  global
        .offset:         40
        .size:           8
        .value_kind:     global_buffer
      - .offset:         48
        .size:           8
        .value_kind:     by_value
      - .address_space:  global
        .offset:         56
        .size:           8
        .value_kind:     global_buffer
      - .offset:         64
        .size:           4
        .value_kind:     by_value
      - .offset:         68
        .size:           1
        .value_kind:     by_value
    .group_segment_fixed_size: 0
    .kernarg_segment_align: 8
    .kernarg_segment_size: 72
    .language:       OpenCL C
    .language_version:
      - 2
      - 0
    .max_flat_workgroup_size: 128
    .name:           _ZN9rocsparseL19gebsrmvn_2xn_kernelILj128ELj7ELj8EfEEvi20rocsparse_direction_NS_24const_host_device_scalarIT2_EEPKiS6_PKS3_S8_S4_PS3_21rocsparse_index_base_b
    .private_segment_fixed_size: 0
    .sgpr_count:     22
    .sgpr_spill_count: 0
    .symbol:         _ZN9rocsparseL19gebsrmvn_2xn_kernelILj128ELj7ELj8EfEEvi20rocsparse_direction_NS_24const_host_device_scalarIT2_EEPKiS6_PKS3_S8_S4_PS3_21rocsparse_index_base_b.kd
    .uniform_work_group_size: 1
    .uses_dynamic_stack: false
    .vgpr_count:     36
    .vgpr_spill_count: 0
    .wavefront_size: 32
    .workgroup_processor_mode: 1
  - .args:
      - .offset:         0
        .size:           4
        .value_kind:     by_value
      - .offset:         4
        .size:           4
        .value_kind:     by_value
      - .offset:         8
        .size:           8
        .value_kind:     by_value
      - .actual_access:  read_only
        .address_space:  global
        .offset:         16
        .size:           8
        .value_kind:     global_buffer
      - .actual_access:  read_only
        .address_space:  global
        .offset:         24
        .size:           8
        .value_kind:     global_buffer
      - .actual_access:  read_only
        .address_space:  global
        .offset:         32
        .size:           8
        .value_kind:     global_buffer
      - .actual_access:  read_only
        .address_space:  global
        .offset:         40
        .size:           8
        .value_kind:     global_buffer
      - .offset:         48
        .size:           8
        .value_kind:     by_value
      - .address_space:  global
        .offset:         56
        .size:           8
        .value_kind:     global_buffer
      - .offset:         64
        .size:           4
        .value_kind:     by_value
      - .offset:         68
        .size:           1
        .value_kind:     by_value
    .group_segment_fixed_size: 0
    .kernarg_segment_align: 8
    .kernarg_segment_size: 72
    .language:       OpenCL C
    .language_version:
      - 2
      - 0
    .max_flat_workgroup_size: 128
    .name:           _ZN9rocsparseL19gebsrmvn_2xn_kernelILj128ELj7ELj16EfEEvi20rocsparse_direction_NS_24const_host_device_scalarIT2_EEPKiS6_PKS3_S8_S4_PS3_21rocsparse_index_base_b
    .private_segment_fixed_size: 0
    .sgpr_count:     22
    .sgpr_spill_count: 0
    .symbol:         _ZN9rocsparseL19gebsrmvn_2xn_kernelILj128ELj7ELj16EfEEvi20rocsparse_direction_NS_24const_host_device_scalarIT2_EEPKiS6_PKS3_S8_S4_PS3_21rocsparse_index_base_b.kd
    .uniform_work_group_size: 1
    .uses_dynamic_stack: false
    .vgpr_count:     36
    .vgpr_spill_count: 0
    .wavefront_size: 32
    .workgroup_processor_mode: 1
  - .args:
      - .offset:         0
        .size:           4
        .value_kind:     by_value
      - .offset:         4
        .size:           4
        .value_kind:     by_value
      - .offset:         8
        .size:           8
        .value_kind:     by_value
      - .actual_access:  read_only
        .address_space:  global
        .offset:         16
        .size:           8
        .value_kind:     global_buffer
      - .actual_access:  read_only
        .address_space:  global
        .offset:         24
        .size:           8
        .value_kind:     global_buffer
      - .actual_access:  read_only
        .address_space:  global
        .offset:         32
        .size:           8
        .value_kind:     global_buffer
      - .actual_access:  read_only
        .address_space:  global
        .offset:         40
        .size:           8
        .value_kind:     global_buffer
      - .offset:         48
        .size:           8
        .value_kind:     by_value
      - .address_space:  global
        .offset:         56
        .size:           8
        .value_kind:     global_buffer
      - .offset:         64
        .size:           4
        .value_kind:     by_value
      - .offset:         68
        .size:           1
        .value_kind:     by_value
    .group_segment_fixed_size: 0
    .kernarg_segment_align: 8
    .kernarg_segment_size: 72
    .language:       OpenCL C
    .language_version:
      - 2
      - 0
    .max_flat_workgroup_size: 128
    .name:           _ZN9rocsparseL19gebsrmvn_2xn_kernelILj128ELj7ELj32EfEEvi20rocsparse_direction_NS_24const_host_device_scalarIT2_EEPKiS6_PKS3_S8_S4_PS3_21rocsparse_index_base_b
    .private_segment_fixed_size: 0
    .sgpr_count:     22
    .sgpr_spill_count: 0
    .symbol:         _ZN9rocsparseL19gebsrmvn_2xn_kernelILj128ELj7ELj32EfEEvi20rocsparse_direction_NS_24const_host_device_scalarIT2_EEPKiS6_PKS3_S8_S4_PS3_21rocsparse_index_base_b.kd
    .uniform_work_group_size: 1
    .uses_dynamic_stack: false
    .vgpr_count:     36
    .vgpr_spill_count: 0
    .wavefront_size: 32
    .workgroup_processor_mode: 1
  - .args:
      - .offset:         0
        .size:           4
        .value_kind:     by_value
      - .offset:         4
        .size:           4
        .value_kind:     by_value
      - .offset:         8
        .size:           8
        .value_kind:     by_value
      - .actual_access:  read_only
        .address_space:  global
        .offset:         16
        .size:           8
        .value_kind:     global_buffer
      - .actual_access:  read_only
        .address_space:  global
        .offset:         24
        .size:           8
        .value_kind:     global_buffer
      - .actual_access:  read_only
        .address_space:  global
        .offset:         32
        .size:           8
        .value_kind:     global_buffer
      - .actual_access:  read_only
        .address_space:  global
        .offset:         40
        .size:           8
        .value_kind:     global_buffer
      - .offset:         48
        .size:           8
        .value_kind:     by_value
      - .address_space:  global
        .offset:         56
        .size:           8
        .value_kind:     global_buffer
      - .offset:         64
        .size:           4
        .value_kind:     by_value
      - .offset:         68
        .size:           1
        .value_kind:     by_value
    .group_segment_fixed_size: 0
    .kernarg_segment_align: 8
    .kernarg_segment_size: 72
    .language:       OpenCL C
    .language_version:
      - 2
      - 0
    .max_flat_workgroup_size: 128
    .name:           _ZN9rocsparseL19gebsrmvn_2xn_kernelILj128ELj7ELj64EfEEvi20rocsparse_direction_NS_24const_host_device_scalarIT2_EEPKiS6_PKS3_S8_S4_PS3_21rocsparse_index_base_b
    .private_segment_fixed_size: 0
    .sgpr_count:     22
    .sgpr_spill_count: 0
    .symbol:         _ZN9rocsparseL19gebsrmvn_2xn_kernelILj128ELj7ELj64EfEEvi20rocsparse_direction_NS_24const_host_device_scalarIT2_EEPKiS6_PKS3_S8_S4_PS3_21rocsparse_index_base_b.kd
    .uniform_work_group_size: 1
    .uses_dynamic_stack: false
    .vgpr_count:     36
    .vgpr_spill_count: 0
    .wavefront_size: 32
    .workgroup_processor_mode: 1
  - .args:
      - .offset:         0
        .size:           4
        .value_kind:     by_value
      - .offset:         4
        .size:           4
        .value_kind:     by_value
      - .offset:         8
        .size:           8
        .value_kind:     by_value
      - .actual_access:  read_only
        .address_space:  global
        .offset:         16
        .size:           8
        .value_kind:     global_buffer
      - .actual_access:  read_only
        .address_space:  global
        .offset:         24
        .size:           8
        .value_kind:     global_buffer
      - .actual_access:  read_only
        .address_space:  global
        .offset:         32
        .size:           8
        .value_kind:     global_buffer
      - .actual_access:  read_only
        .address_space:  global
        .offset:         40
        .size:           8
        .value_kind:     global_buffer
      - .offset:         48
        .size:           8
        .value_kind:     by_value
      - .address_space:  global
        .offset:         56
        .size:           8
        .value_kind:     global_buffer
      - .offset:         64
        .size:           4
        .value_kind:     by_value
      - .offset:         68
        .size:           1
        .value_kind:     by_value
    .group_segment_fixed_size: 0
    .kernarg_segment_align: 8
    .kernarg_segment_size: 72
    .language:       OpenCL C
    .language_version:
      - 2
      - 0
    .max_flat_workgroup_size: 128
    .name:           _ZN9rocsparseL19gebsrmvn_2xn_kernelILj128ELj8ELj4EfEEvi20rocsparse_direction_NS_24const_host_device_scalarIT2_EEPKiS6_PKS3_S8_S4_PS3_21rocsparse_index_base_b
    .private_segment_fixed_size: 0
    .sgpr_count:     22
    .sgpr_spill_count: 0
    .symbol:         _ZN9rocsparseL19gebsrmvn_2xn_kernelILj128ELj8ELj4EfEEvi20rocsparse_direction_NS_24const_host_device_scalarIT2_EEPKiS6_PKS3_S8_S4_PS3_21rocsparse_index_base_b.kd
    .uniform_work_group_size: 1
    .uses_dynamic_stack: false
    .vgpr_count:     34
    .vgpr_spill_count: 0
    .wavefront_size: 32
    .workgroup_processor_mode: 1
  - .args:
      - .offset:         0
        .size:           4
        .value_kind:     by_value
      - .offset:         4
        .size:           4
        .value_kind:     by_value
      - .offset:         8
        .size:           8
        .value_kind:     by_value
      - .actual_access:  read_only
        .address_space:  global
        .offset:         16
        .size:           8
        .value_kind:     global_buffer
      - .actual_access:  read_only
        .address_space:  global
        .offset:         24
        .size:           8
        .value_kind:     global_buffer
      - .actual_access:  read_only
        .address_space:  global
        .offset:         32
        .size:           8
        .value_kind:     global_buffer
      - .actual_access:  read_only
        .address_space:  global
        .offset:         40
        .size:           8
        .value_kind:     global_buffer
      - .offset:         48
        .size:           8
        .value_kind:     by_value
      - .address_space:  global
        .offset:         56
        .size:           8
        .value_kind:     global_buffer
      - .offset:         64
        .size:           4
        .value_kind:     by_value
      - .offset:         68
        .size:           1
        .value_kind:     by_value
    .group_segment_fixed_size: 0
    .kernarg_segment_align: 8
    .kernarg_segment_size: 72
    .language:       OpenCL C
    .language_version:
      - 2
      - 0
    .max_flat_workgroup_size: 128
    .name:           _ZN9rocsparseL19gebsrmvn_2xn_kernelILj128ELj8ELj8EfEEvi20rocsparse_direction_NS_24const_host_device_scalarIT2_EEPKiS6_PKS3_S8_S4_PS3_21rocsparse_index_base_b
    .private_segment_fixed_size: 0
    .sgpr_count:     22
    .sgpr_spill_count: 0
    .symbol:         _ZN9rocsparseL19gebsrmvn_2xn_kernelILj128ELj8ELj8EfEEvi20rocsparse_direction_NS_24const_host_device_scalarIT2_EEPKiS6_PKS3_S8_S4_PS3_21rocsparse_index_base_b.kd
    .uniform_work_group_size: 1
    .uses_dynamic_stack: false
    .vgpr_count:     34
    .vgpr_spill_count: 0
    .wavefront_size: 32
    .workgroup_processor_mode: 1
  - .args:
      - .offset:         0
        .size:           4
        .value_kind:     by_value
      - .offset:         4
        .size:           4
        .value_kind:     by_value
      - .offset:         8
        .size:           8
        .value_kind:     by_value
      - .actual_access:  read_only
        .address_space:  global
        .offset:         16
        .size:           8
        .value_kind:     global_buffer
      - .actual_access:  read_only
        .address_space:  global
        .offset:         24
        .size:           8
        .value_kind:     global_buffer
      - .actual_access:  read_only
        .address_space:  global
        .offset:         32
        .size:           8
        .value_kind:     global_buffer
      - .actual_access:  read_only
        .address_space:  global
        .offset:         40
        .size:           8
        .value_kind:     global_buffer
      - .offset:         48
        .size:           8
        .value_kind:     by_value
      - .address_space:  global
        .offset:         56
        .size:           8
        .value_kind:     global_buffer
      - .offset:         64
        .size:           4
        .value_kind:     by_value
      - .offset:         68
        .size:           1
        .value_kind:     by_value
    .group_segment_fixed_size: 0
    .kernarg_segment_align: 8
    .kernarg_segment_size: 72
    .language:       OpenCL C
    .language_version:
      - 2
      - 0
    .max_flat_workgroup_size: 128
    .name:           _ZN9rocsparseL19gebsrmvn_2xn_kernelILj128ELj8ELj16EfEEvi20rocsparse_direction_NS_24const_host_device_scalarIT2_EEPKiS6_PKS3_S8_S4_PS3_21rocsparse_index_base_b
    .private_segment_fixed_size: 0
    .sgpr_count:     22
    .sgpr_spill_count: 0
    .symbol:         _ZN9rocsparseL19gebsrmvn_2xn_kernelILj128ELj8ELj16EfEEvi20rocsparse_direction_NS_24const_host_device_scalarIT2_EEPKiS6_PKS3_S8_S4_PS3_21rocsparse_index_base_b.kd
    .uniform_work_group_size: 1
    .uses_dynamic_stack: false
    .vgpr_count:     34
    .vgpr_spill_count: 0
    .wavefront_size: 32
    .workgroup_processor_mode: 1
  - .args:
      - .offset:         0
        .size:           4
        .value_kind:     by_value
      - .offset:         4
        .size:           4
        .value_kind:     by_value
      - .offset:         8
        .size:           8
        .value_kind:     by_value
      - .actual_access:  read_only
        .address_space:  global
        .offset:         16
        .size:           8
        .value_kind:     global_buffer
      - .actual_access:  read_only
        .address_space:  global
        .offset:         24
        .size:           8
        .value_kind:     global_buffer
      - .actual_access:  read_only
        .address_space:  global
        .offset:         32
        .size:           8
        .value_kind:     global_buffer
      - .actual_access:  read_only
        .address_space:  global
        .offset:         40
        .size:           8
        .value_kind:     global_buffer
      - .offset:         48
        .size:           8
        .value_kind:     by_value
      - .address_space:  global
        .offset:         56
        .size:           8
        .value_kind:     global_buffer
      - .offset:         64
        .size:           4
        .value_kind:     by_value
      - .offset:         68
        .size:           1
        .value_kind:     by_value
    .group_segment_fixed_size: 0
    .kernarg_segment_align: 8
    .kernarg_segment_size: 72
    .language:       OpenCL C
    .language_version:
      - 2
      - 0
    .max_flat_workgroup_size: 128
    .name:           _ZN9rocsparseL19gebsrmvn_2xn_kernelILj128ELj8ELj32EfEEvi20rocsparse_direction_NS_24const_host_device_scalarIT2_EEPKiS6_PKS3_S8_S4_PS3_21rocsparse_index_base_b
    .private_segment_fixed_size: 0
    .sgpr_count:     22
    .sgpr_spill_count: 0
    .symbol:         _ZN9rocsparseL19gebsrmvn_2xn_kernelILj128ELj8ELj32EfEEvi20rocsparse_direction_NS_24const_host_device_scalarIT2_EEPKiS6_PKS3_S8_S4_PS3_21rocsparse_index_base_b.kd
    .uniform_work_group_size: 1
    .uses_dynamic_stack: false
    .vgpr_count:     34
    .vgpr_spill_count: 0
    .wavefront_size: 32
    .workgroup_processor_mode: 1
  - .args:
      - .offset:         0
        .size:           4
        .value_kind:     by_value
      - .offset:         4
        .size:           4
        .value_kind:     by_value
      - .offset:         8
        .size:           8
        .value_kind:     by_value
      - .actual_access:  read_only
        .address_space:  global
        .offset:         16
        .size:           8
        .value_kind:     global_buffer
      - .actual_access:  read_only
        .address_space:  global
        .offset:         24
        .size:           8
        .value_kind:     global_buffer
      - .actual_access:  read_only
        .address_space:  global
        .offset:         32
        .size:           8
        .value_kind:     global_buffer
      - .actual_access:  read_only
        .address_space:  global
        .offset:         40
        .size:           8
        .value_kind:     global_buffer
      - .offset:         48
        .size:           8
        .value_kind:     by_value
      - .address_space:  global
        .offset:         56
        .size:           8
        .value_kind:     global_buffer
      - .offset:         64
        .size:           4
        .value_kind:     by_value
      - .offset:         68
        .size:           1
        .value_kind:     by_value
    .group_segment_fixed_size: 0
    .kernarg_segment_align: 8
    .kernarg_segment_size: 72
    .language:       OpenCL C
    .language_version:
      - 2
      - 0
    .max_flat_workgroup_size: 128
    .name:           _ZN9rocsparseL19gebsrmvn_2xn_kernelILj128ELj8ELj64EfEEvi20rocsparse_direction_NS_24const_host_device_scalarIT2_EEPKiS6_PKS3_S8_S4_PS3_21rocsparse_index_base_b
    .private_segment_fixed_size: 0
    .sgpr_count:     22
    .sgpr_spill_count: 0
    .symbol:         _ZN9rocsparseL19gebsrmvn_2xn_kernelILj128ELj8ELj64EfEEvi20rocsparse_direction_NS_24const_host_device_scalarIT2_EEPKiS6_PKS3_S8_S4_PS3_21rocsparse_index_base_b.kd
    .uniform_work_group_size: 1
    .uses_dynamic_stack: false
    .vgpr_count:     34
    .vgpr_spill_count: 0
    .wavefront_size: 32
    .workgroup_processor_mode: 1
  - .args:
      - .offset:         0
        .size:           4
        .value_kind:     by_value
      - .offset:         4
        .size:           4
        .value_kind:     by_value
      - .offset:         8
        .size:           8
        .value_kind:     by_value
      - .actual_access:  read_only
        .address_space:  global
        .offset:         16
        .size:           8
        .value_kind:     global_buffer
      - .actual_access:  read_only
        .address_space:  global
        .offset:         24
        .size:           8
        .value_kind:     global_buffer
      - .actual_access:  read_only
        .address_space:  global
        .offset:         32
        .size:           8
        .value_kind:     global_buffer
      - .actual_access:  read_only
        .address_space:  global
        .offset:         40
        .size:           8
        .value_kind:     global_buffer
      - .offset:         48
        .size:           8
        .value_kind:     by_value
      - .address_space:  global
        .offset:         56
        .size:           8
        .value_kind:     global_buffer
      - .offset:         64
        .size:           4
        .value_kind:     by_value
      - .offset:         68
        .size:           1
        .value_kind:     by_value
    .group_segment_fixed_size: 0
    .kernarg_segment_align: 8
    .kernarg_segment_size: 72
    .language:       OpenCL C
    .language_version:
      - 2
      - 0
    .max_flat_workgroup_size: 128
    .name:           _ZN9rocsparseL19gebsrmvn_2xn_kernelILj128ELj9ELj4EfEEvi20rocsparse_direction_NS_24const_host_device_scalarIT2_EEPKiS6_PKS3_S8_S4_PS3_21rocsparse_index_base_b
    .private_segment_fixed_size: 0
    .sgpr_count:     22
    .sgpr_spill_count: 0
    .symbol:         _ZN9rocsparseL19gebsrmvn_2xn_kernelILj128ELj9ELj4EfEEvi20rocsparse_direction_NS_24const_host_device_scalarIT2_EEPKiS6_PKS3_S8_S4_PS3_21rocsparse_index_base_b.kd
    .uniform_work_group_size: 1
    .uses_dynamic_stack: false
    .vgpr_count:     42
    .vgpr_spill_count: 0
    .wavefront_size: 32
    .workgroup_processor_mode: 1
  - .args:
      - .offset:         0
        .size:           4
        .value_kind:     by_value
      - .offset:         4
        .size:           4
        .value_kind:     by_value
      - .offset:         8
        .size:           8
        .value_kind:     by_value
      - .actual_access:  read_only
        .address_space:  global
        .offset:         16
        .size:           8
        .value_kind:     global_buffer
      - .actual_access:  read_only
        .address_space:  global
        .offset:         24
        .size:           8
        .value_kind:     global_buffer
      - .actual_access:  read_only
        .address_space:  global
        .offset:         32
        .size:           8
        .value_kind:     global_buffer
      - .actual_access:  read_only
        .address_space:  global
        .offset:         40
        .size:           8
        .value_kind:     global_buffer
      - .offset:         48
        .size:           8
        .value_kind:     by_value
      - .address_space:  global
        .offset:         56
        .size:           8
        .value_kind:     global_buffer
      - .offset:         64
        .size:           4
        .value_kind:     by_value
      - .offset:         68
        .size:           1
        .value_kind:     by_value
    .group_segment_fixed_size: 0
    .kernarg_segment_align: 8
    .kernarg_segment_size: 72
    .language:       OpenCL C
    .language_version:
      - 2
      - 0
    .max_flat_workgroup_size: 128
    .name:           _ZN9rocsparseL19gebsrmvn_2xn_kernelILj128ELj9ELj8EfEEvi20rocsparse_direction_NS_24const_host_device_scalarIT2_EEPKiS6_PKS3_S8_S4_PS3_21rocsparse_index_base_b
    .private_segment_fixed_size: 0
    .sgpr_count:     22
    .sgpr_spill_count: 0
    .symbol:         _ZN9rocsparseL19gebsrmvn_2xn_kernelILj128ELj9ELj8EfEEvi20rocsparse_direction_NS_24const_host_device_scalarIT2_EEPKiS6_PKS3_S8_S4_PS3_21rocsparse_index_base_b.kd
    .uniform_work_group_size: 1
    .uses_dynamic_stack: false
    .vgpr_count:     42
    .vgpr_spill_count: 0
    .wavefront_size: 32
    .workgroup_processor_mode: 1
  - .args:
      - .offset:         0
        .size:           4
        .value_kind:     by_value
      - .offset:         4
        .size:           4
        .value_kind:     by_value
      - .offset:         8
        .size:           8
        .value_kind:     by_value
      - .actual_access:  read_only
        .address_space:  global
        .offset:         16
        .size:           8
        .value_kind:     global_buffer
      - .actual_access:  read_only
        .address_space:  global
        .offset:         24
        .size:           8
        .value_kind:     global_buffer
      - .actual_access:  read_only
        .address_space:  global
        .offset:         32
        .size:           8
        .value_kind:     global_buffer
      - .actual_access:  read_only
        .address_space:  global
        .offset:         40
        .size:           8
        .value_kind:     global_buffer
      - .offset:         48
        .size:           8
        .value_kind:     by_value
      - .address_space:  global
        .offset:         56
        .size:           8
        .value_kind:     global_buffer
      - .offset:         64
        .size:           4
        .value_kind:     by_value
      - .offset:         68
        .size:           1
        .value_kind:     by_value
    .group_segment_fixed_size: 0
    .kernarg_segment_align: 8
    .kernarg_segment_size: 72
    .language:       OpenCL C
    .language_version:
      - 2
      - 0
    .max_flat_workgroup_size: 128
    .name:           _ZN9rocsparseL19gebsrmvn_2xn_kernelILj128ELj9ELj16EfEEvi20rocsparse_direction_NS_24const_host_device_scalarIT2_EEPKiS6_PKS3_S8_S4_PS3_21rocsparse_index_base_b
    .private_segment_fixed_size: 0
    .sgpr_count:     22
    .sgpr_spill_count: 0
    .symbol:         _ZN9rocsparseL19gebsrmvn_2xn_kernelILj128ELj9ELj16EfEEvi20rocsparse_direction_NS_24const_host_device_scalarIT2_EEPKiS6_PKS3_S8_S4_PS3_21rocsparse_index_base_b.kd
    .uniform_work_group_size: 1
    .uses_dynamic_stack: false
    .vgpr_count:     42
    .vgpr_spill_count: 0
    .wavefront_size: 32
    .workgroup_processor_mode: 1
  - .args:
      - .offset:         0
        .size:           4
        .value_kind:     by_value
      - .offset:         4
        .size:           4
        .value_kind:     by_value
      - .offset:         8
        .size:           8
        .value_kind:     by_value
      - .actual_access:  read_only
        .address_space:  global
        .offset:         16
        .size:           8
        .value_kind:     global_buffer
      - .actual_access:  read_only
        .address_space:  global
        .offset:         24
        .size:           8
        .value_kind:     global_buffer
      - .actual_access:  read_only
        .address_space:  global
        .offset:         32
        .size:           8
        .value_kind:     global_buffer
      - .actual_access:  read_only
        .address_space:  global
        .offset:         40
        .size:           8
        .value_kind:     global_buffer
      - .offset:         48
        .size:           8
        .value_kind:     by_value
      - .address_space:  global
        .offset:         56
        .size:           8
        .value_kind:     global_buffer
      - .offset:         64
        .size:           4
        .value_kind:     by_value
      - .offset:         68
        .size:           1
        .value_kind:     by_value
    .group_segment_fixed_size: 0
    .kernarg_segment_align: 8
    .kernarg_segment_size: 72
    .language:       OpenCL C
    .language_version:
      - 2
      - 0
    .max_flat_workgroup_size: 128
    .name:           _ZN9rocsparseL19gebsrmvn_2xn_kernelILj128ELj9ELj32EfEEvi20rocsparse_direction_NS_24const_host_device_scalarIT2_EEPKiS6_PKS3_S8_S4_PS3_21rocsparse_index_base_b
    .private_segment_fixed_size: 0
    .sgpr_count:     22
    .sgpr_spill_count: 0
    .symbol:         _ZN9rocsparseL19gebsrmvn_2xn_kernelILj128ELj9ELj32EfEEvi20rocsparse_direction_NS_24const_host_device_scalarIT2_EEPKiS6_PKS3_S8_S4_PS3_21rocsparse_index_base_b.kd
    .uniform_work_group_size: 1
    .uses_dynamic_stack: false
    .vgpr_count:     42
    .vgpr_spill_count: 0
    .wavefront_size: 32
    .workgroup_processor_mode: 1
  - .args:
      - .offset:         0
        .size:           4
        .value_kind:     by_value
      - .offset:         4
        .size:           4
        .value_kind:     by_value
      - .offset:         8
        .size:           8
        .value_kind:     by_value
      - .actual_access:  read_only
        .address_space:  global
        .offset:         16
        .size:           8
        .value_kind:     global_buffer
      - .actual_access:  read_only
        .address_space:  global
        .offset:         24
        .size:           8
        .value_kind:     global_buffer
      - .actual_access:  read_only
        .address_space:  global
        .offset:         32
        .size:           8
        .value_kind:     global_buffer
      - .actual_access:  read_only
        .address_space:  global
        .offset:         40
        .size:           8
        .value_kind:     global_buffer
      - .offset:         48
        .size:           8
        .value_kind:     by_value
      - .address_space:  global
        .offset:         56
        .size:           8
        .value_kind:     global_buffer
      - .offset:         64
        .size:           4
        .value_kind:     by_value
      - .offset:         68
        .size:           1
        .value_kind:     by_value
    .group_segment_fixed_size: 0
    .kernarg_segment_align: 8
    .kernarg_segment_size: 72
    .language:       OpenCL C
    .language_version:
      - 2
      - 0
    .max_flat_workgroup_size: 128
    .name:           _ZN9rocsparseL19gebsrmvn_2xn_kernelILj128ELj9ELj64EfEEvi20rocsparse_direction_NS_24const_host_device_scalarIT2_EEPKiS6_PKS3_S8_S4_PS3_21rocsparse_index_base_b
    .private_segment_fixed_size: 0
    .sgpr_count:     22
    .sgpr_spill_count: 0
    .symbol:         _ZN9rocsparseL19gebsrmvn_2xn_kernelILj128ELj9ELj64EfEEvi20rocsparse_direction_NS_24const_host_device_scalarIT2_EEPKiS6_PKS3_S8_S4_PS3_21rocsparse_index_base_b.kd
    .uniform_work_group_size: 1
    .uses_dynamic_stack: false
    .vgpr_count:     42
    .vgpr_spill_count: 0
    .wavefront_size: 32
    .workgroup_processor_mode: 1
  - .args:
      - .offset:         0
        .size:           4
        .value_kind:     by_value
      - .offset:         4
        .size:           4
        .value_kind:     by_value
      - .offset:         8
        .size:           8
        .value_kind:     by_value
      - .actual_access:  read_only
        .address_space:  global
        .offset:         16
        .size:           8
        .value_kind:     global_buffer
      - .actual_access:  read_only
        .address_space:  global
        .offset:         24
        .size:           8
        .value_kind:     global_buffer
      - .actual_access:  read_only
        .address_space:  global
        .offset:         32
        .size:           8
        .value_kind:     global_buffer
      - .actual_access:  read_only
        .address_space:  global
        .offset:         40
        .size:           8
        .value_kind:     global_buffer
      - .offset:         48
        .size:           8
        .value_kind:     by_value
      - .address_space:  global
        .offset:         56
        .size:           8
        .value_kind:     global_buffer
      - .offset:         64
        .size:           4
        .value_kind:     by_value
      - .offset:         68
        .size:           1
        .value_kind:     by_value
    .group_segment_fixed_size: 0
    .kernarg_segment_align: 8
    .kernarg_segment_size: 72
    .language:       OpenCL C
    .language_version:
      - 2
      - 0
    .max_flat_workgroup_size: 128
    .name:           _ZN9rocsparseL19gebsrmvn_2xn_kernelILj128ELj10ELj4EfEEvi20rocsparse_direction_NS_24const_host_device_scalarIT2_EEPKiS6_PKS3_S8_S4_PS3_21rocsparse_index_base_b
    .private_segment_fixed_size: 0
    .sgpr_count:     22
    .sgpr_spill_count: 0
    .symbol:         _ZN9rocsparseL19gebsrmvn_2xn_kernelILj128ELj10ELj4EfEEvi20rocsparse_direction_NS_24const_host_device_scalarIT2_EEPKiS6_PKS3_S8_S4_PS3_21rocsparse_index_base_b.kd
    .uniform_work_group_size: 1
    .uses_dynamic_stack: false
    .vgpr_count:     43
    .vgpr_spill_count: 0
    .wavefront_size: 32
    .workgroup_processor_mode: 1
  - .args:
      - .offset:         0
        .size:           4
        .value_kind:     by_value
      - .offset:         4
        .size:           4
        .value_kind:     by_value
      - .offset:         8
        .size:           8
        .value_kind:     by_value
      - .actual_access:  read_only
        .address_space:  global
        .offset:         16
        .size:           8
        .value_kind:     global_buffer
      - .actual_access:  read_only
        .address_space:  global
        .offset:         24
        .size:           8
        .value_kind:     global_buffer
      - .actual_access:  read_only
        .address_space:  global
        .offset:         32
        .size:           8
        .value_kind:     global_buffer
      - .actual_access:  read_only
        .address_space:  global
        .offset:         40
        .size:           8
        .value_kind:     global_buffer
      - .offset:         48
        .size:           8
        .value_kind:     by_value
      - .address_space:  global
        .offset:         56
        .size:           8
        .value_kind:     global_buffer
      - .offset:         64
        .size:           4
        .value_kind:     by_value
      - .offset:         68
        .size:           1
        .value_kind:     by_value
    .group_segment_fixed_size: 0
    .kernarg_segment_align: 8
    .kernarg_segment_size: 72
    .language:       OpenCL C
    .language_version:
      - 2
      - 0
    .max_flat_workgroup_size: 128
    .name:           _ZN9rocsparseL19gebsrmvn_2xn_kernelILj128ELj10ELj8EfEEvi20rocsparse_direction_NS_24const_host_device_scalarIT2_EEPKiS6_PKS3_S8_S4_PS3_21rocsparse_index_base_b
    .private_segment_fixed_size: 0
    .sgpr_count:     22
    .sgpr_spill_count: 0
    .symbol:         _ZN9rocsparseL19gebsrmvn_2xn_kernelILj128ELj10ELj8EfEEvi20rocsparse_direction_NS_24const_host_device_scalarIT2_EEPKiS6_PKS3_S8_S4_PS3_21rocsparse_index_base_b.kd
    .uniform_work_group_size: 1
    .uses_dynamic_stack: false
    .vgpr_count:     43
    .vgpr_spill_count: 0
    .wavefront_size: 32
    .workgroup_processor_mode: 1
  - .args:
      - .offset:         0
        .size:           4
        .value_kind:     by_value
      - .offset:         4
        .size:           4
        .value_kind:     by_value
      - .offset:         8
        .size:           8
        .value_kind:     by_value
      - .actual_access:  read_only
        .address_space:  global
        .offset:         16
        .size:           8
        .value_kind:     global_buffer
      - .actual_access:  read_only
        .address_space:  global
        .offset:         24
        .size:           8
        .value_kind:     global_buffer
      - .actual_access:  read_only
        .address_space:  global
        .offset:         32
        .size:           8
        .value_kind:     global_buffer
      - .actual_access:  read_only
        .address_space:  global
        .offset:         40
        .size:           8
        .value_kind:     global_buffer
      - .offset:         48
        .size:           8
        .value_kind:     by_value
      - .address_space:  global
        .offset:         56
        .size:           8
        .value_kind:     global_buffer
      - .offset:         64
        .size:           4
        .value_kind:     by_value
      - .offset:         68
        .size:           1
        .value_kind:     by_value
    .group_segment_fixed_size: 0
    .kernarg_segment_align: 8
    .kernarg_segment_size: 72
    .language:       OpenCL C
    .language_version:
      - 2
      - 0
    .max_flat_workgroup_size: 128
    .name:           _ZN9rocsparseL19gebsrmvn_2xn_kernelILj128ELj10ELj16EfEEvi20rocsparse_direction_NS_24const_host_device_scalarIT2_EEPKiS6_PKS3_S8_S4_PS3_21rocsparse_index_base_b
    .private_segment_fixed_size: 0
    .sgpr_count:     22
    .sgpr_spill_count: 0
    .symbol:         _ZN9rocsparseL19gebsrmvn_2xn_kernelILj128ELj10ELj16EfEEvi20rocsparse_direction_NS_24const_host_device_scalarIT2_EEPKiS6_PKS3_S8_S4_PS3_21rocsparse_index_base_b.kd
    .uniform_work_group_size: 1
    .uses_dynamic_stack: false
    .vgpr_count:     43
    .vgpr_spill_count: 0
    .wavefront_size: 32
    .workgroup_processor_mode: 1
  - .args:
      - .offset:         0
        .size:           4
        .value_kind:     by_value
      - .offset:         4
        .size:           4
        .value_kind:     by_value
      - .offset:         8
        .size:           8
        .value_kind:     by_value
      - .actual_access:  read_only
        .address_space:  global
        .offset:         16
        .size:           8
        .value_kind:     global_buffer
      - .actual_access:  read_only
        .address_space:  global
        .offset:         24
        .size:           8
        .value_kind:     global_buffer
      - .actual_access:  read_only
        .address_space:  global
        .offset:         32
        .size:           8
        .value_kind:     global_buffer
      - .actual_access:  read_only
        .address_space:  global
        .offset:         40
        .size:           8
        .value_kind:     global_buffer
      - .offset:         48
        .size:           8
        .value_kind:     by_value
      - .address_space:  global
        .offset:         56
        .size:           8
        .value_kind:     global_buffer
      - .offset:         64
        .size:           4
        .value_kind:     by_value
      - .offset:         68
        .size:           1
        .value_kind:     by_value
    .group_segment_fixed_size: 0
    .kernarg_segment_align: 8
    .kernarg_segment_size: 72
    .language:       OpenCL C
    .language_version:
      - 2
      - 0
    .max_flat_workgroup_size: 128
    .name:           _ZN9rocsparseL19gebsrmvn_2xn_kernelILj128ELj10ELj32EfEEvi20rocsparse_direction_NS_24const_host_device_scalarIT2_EEPKiS6_PKS3_S8_S4_PS3_21rocsparse_index_base_b
    .private_segment_fixed_size: 0
    .sgpr_count:     22
    .sgpr_spill_count: 0
    .symbol:         _ZN9rocsparseL19gebsrmvn_2xn_kernelILj128ELj10ELj32EfEEvi20rocsparse_direction_NS_24const_host_device_scalarIT2_EEPKiS6_PKS3_S8_S4_PS3_21rocsparse_index_base_b.kd
    .uniform_work_group_size: 1
    .uses_dynamic_stack: false
    .vgpr_count:     43
    .vgpr_spill_count: 0
    .wavefront_size: 32
    .workgroup_processor_mode: 1
  - .args:
      - .offset:         0
        .size:           4
        .value_kind:     by_value
      - .offset:         4
        .size:           4
        .value_kind:     by_value
      - .offset:         8
        .size:           8
        .value_kind:     by_value
      - .actual_access:  read_only
        .address_space:  global
        .offset:         16
        .size:           8
        .value_kind:     global_buffer
      - .actual_access:  read_only
        .address_space:  global
        .offset:         24
        .size:           8
        .value_kind:     global_buffer
      - .actual_access:  read_only
        .address_space:  global
        .offset:         32
        .size:           8
        .value_kind:     global_buffer
      - .actual_access:  read_only
        .address_space:  global
        .offset:         40
        .size:           8
        .value_kind:     global_buffer
      - .offset:         48
        .size:           8
        .value_kind:     by_value
      - .address_space:  global
        .offset:         56
        .size:           8
        .value_kind:     global_buffer
      - .offset:         64
        .size:           4
        .value_kind:     by_value
      - .offset:         68
        .size:           1
        .value_kind:     by_value
    .group_segment_fixed_size: 0
    .kernarg_segment_align: 8
    .kernarg_segment_size: 72
    .language:       OpenCL C
    .language_version:
      - 2
      - 0
    .max_flat_workgroup_size: 128
    .name:           _ZN9rocsparseL19gebsrmvn_2xn_kernelILj128ELj10ELj64EfEEvi20rocsparse_direction_NS_24const_host_device_scalarIT2_EEPKiS6_PKS3_S8_S4_PS3_21rocsparse_index_base_b
    .private_segment_fixed_size: 0
    .sgpr_count:     22
    .sgpr_spill_count: 0
    .symbol:         _ZN9rocsparseL19gebsrmvn_2xn_kernelILj128ELj10ELj64EfEEvi20rocsparse_direction_NS_24const_host_device_scalarIT2_EEPKiS6_PKS3_S8_S4_PS3_21rocsparse_index_base_b.kd
    .uniform_work_group_size: 1
    .uses_dynamic_stack: false
    .vgpr_count:     43
    .vgpr_spill_count: 0
    .wavefront_size: 32
    .workgroup_processor_mode: 1
  - .args:
      - .offset:         0
        .size:           4
        .value_kind:     by_value
      - .offset:         4
        .size:           4
        .value_kind:     by_value
      - .offset:         8
        .size:           8
        .value_kind:     by_value
      - .actual_access:  read_only
        .address_space:  global
        .offset:         16
        .size:           8
        .value_kind:     global_buffer
      - .actual_access:  read_only
        .address_space:  global
        .offset:         24
        .size:           8
        .value_kind:     global_buffer
      - .actual_access:  read_only
        .address_space:  global
        .offset:         32
        .size:           8
        .value_kind:     global_buffer
      - .actual_access:  read_only
        .address_space:  global
        .offset:         40
        .size:           8
        .value_kind:     global_buffer
      - .offset:         48
        .size:           8
        .value_kind:     by_value
      - .address_space:  global
        .offset:         56
        .size:           8
        .value_kind:     global_buffer
      - .offset:         64
        .size:           4
        .value_kind:     by_value
      - .offset:         68
        .size:           1
        .value_kind:     by_value
    .group_segment_fixed_size: 0
    .kernarg_segment_align: 8
    .kernarg_segment_size: 72
    .language:       OpenCL C
    .language_version:
      - 2
      - 0
    .max_flat_workgroup_size: 128
    .name:           _ZN9rocsparseL19gebsrmvn_2xn_kernelILj128ELj11ELj4EfEEvi20rocsparse_direction_NS_24const_host_device_scalarIT2_EEPKiS6_PKS3_S8_S4_PS3_21rocsparse_index_base_b
    .private_segment_fixed_size: 0
    .sgpr_count:     22
    .sgpr_spill_count: 0
    .symbol:         _ZN9rocsparseL19gebsrmvn_2xn_kernelILj128ELj11ELj4EfEEvi20rocsparse_direction_NS_24const_host_device_scalarIT2_EEPKiS6_PKS3_S8_S4_PS3_21rocsparse_index_base_b.kd
    .uniform_work_group_size: 1
    .uses_dynamic_stack: false
    .vgpr_count:     48
    .vgpr_spill_count: 0
    .wavefront_size: 32
    .workgroup_processor_mode: 1
  - .args:
      - .offset:         0
        .size:           4
        .value_kind:     by_value
      - .offset:         4
        .size:           4
        .value_kind:     by_value
      - .offset:         8
        .size:           8
        .value_kind:     by_value
      - .actual_access:  read_only
        .address_space:  global
        .offset:         16
        .size:           8
        .value_kind:     global_buffer
      - .actual_access:  read_only
        .address_space:  global
        .offset:         24
        .size:           8
        .value_kind:     global_buffer
      - .actual_access:  read_only
        .address_space:  global
        .offset:         32
        .size:           8
        .value_kind:     global_buffer
      - .actual_access:  read_only
        .address_space:  global
        .offset:         40
        .size:           8
        .value_kind:     global_buffer
      - .offset:         48
        .size:           8
        .value_kind:     by_value
      - .address_space:  global
        .offset:         56
        .size:           8
        .value_kind:     global_buffer
      - .offset:         64
        .size:           4
        .value_kind:     by_value
      - .offset:         68
        .size:           1
        .value_kind:     by_value
    .group_segment_fixed_size: 0
    .kernarg_segment_align: 8
    .kernarg_segment_size: 72
    .language:       OpenCL C
    .language_version:
      - 2
      - 0
    .max_flat_workgroup_size: 128
    .name:           _ZN9rocsparseL19gebsrmvn_2xn_kernelILj128ELj11ELj8EfEEvi20rocsparse_direction_NS_24const_host_device_scalarIT2_EEPKiS6_PKS3_S8_S4_PS3_21rocsparse_index_base_b
    .private_segment_fixed_size: 0
    .sgpr_count:     22
    .sgpr_spill_count: 0
    .symbol:         _ZN9rocsparseL19gebsrmvn_2xn_kernelILj128ELj11ELj8EfEEvi20rocsparse_direction_NS_24const_host_device_scalarIT2_EEPKiS6_PKS3_S8_S4_PS3_21rocsparse_index_base_b.kd
    .uniform_work_group_size: 1
    .uses_dynamic_stack: false
    .vgpr_count:     48
    .vgpr_spill_count: 0
    .wavefront_size: 32
    .workgroup_processor_mode: 1
  - .args:
      - .offset:         0
        .size:           4
        .value_kind:     by_value
      - .offset:         4
        .size:           4
        .value_kind:     by_value
      - .offset:         8
        .size:           8
        .value_kind:     by_value
      - .actual_access:  read_only
        .address_space:  global
        .offset:         16
        .size:           8
        .value_kind:     global_buffer
      - .actual_access:  read_only
        .address_space:  global
        .offset:         24
        .size:           8
        .value_kind:     global_buffer
      - .actual_access:  read_only
        .address_space:  global
        .offset:         32
        .size:           8
        .value_kind:     global_buffer
      - .actual_access:  read_only
        .address_space:  global
        .offset:         40
        .size:           8
        .value_kind:     global_buffer
      - .offset:         48
        .size:           8
        .value_kind:     by_value
      - .address_space:  global
        .offset:         56
        .size:           8
        .value_kind:     global_buffer
      - .offset:         64
        .size:           4
        .value_kind:     by_value
      - .offset:         68
        .size:           1
        .value_kind:     by_value
    .group_segment_fixed_size: 0
    .kernarg_segment_align: 8
    .kernarg_segment_size: 72
    .language:       OpenCL C
    .language_version:
      - 2
      - 0
    .max_flat_workgroup_size: 128
    .name:           _ZN9rocsparseL19gebsrmvn_2xn_kernelILj128ELj11ELj16EfEEvi20rocsparse_direction_NS_24const_host_device_scalarIT2_EEPKiS6_PKS3_S8_S4_PS3_21rocsparse_index_base_b
    .private_segment_fixed_size: 0
    .sgpr_count:     22
    .sgpr_spill_count: 0
    .symbol:         _ZN9rocsparseL19gebsrmvn_2xn_kernelILj128ELj11ELj16EfEEvi20rocsparse_direction_NS_24const_host_device_scalarIT2_EEPKiS6_PKS3_S8_S4_PS3_21rocsparse_index_base_b.kd
    .uniform_work_group_size: 1
    .uses_dynamic_stack: false
    .vgpr_count:     48
    .vgpr_spill_count: 0
    .wavefront_size: 32
    .workgroup_processor_mode: 1
  - .args:
      - .offset:         0
        .size:           4
        .value_kind:     by_value
      - .offset:         4
        .size:           4
        .value_kind:     by_value
      - .offset:         8
        .size:           8
        .value_kind:     by_value
      - .actual_access:  read_only
        .address_space:  global
        .offset:         16
        .size:           8
        .value_kind:     global_buffer
      - .actual_access:  read_only
        .address_space:  global
        .offset:         24
        .size:           8
        .value_kind:     global_buffer
      - .actual_access:  read_only
        .address_space:  global
        .offset:         32
        .size:           8
        .value_kind:     global_buffer
      - .actual_access:  read_only
        .address_space:  global
        .offset:         40
        .size:           8
        .value_kind:     global_buffer
      - .offset:         48
        .size:           8
        .value_kind:     by_value
      - .address_space:  global
        .offset:         56
        .size:           8
        .value_kind:     global_buffer
      - .offset:         64
        .size:           4
        .value_kind:     by_value
      - .offset:         68
        .size:           1
        .value_kind:     by_value
    .group_segment_fixed_size: 0
    .kernarg_segment_align: 8
    .kernarg_segment_size: 72
    .language:       OpenCL C
    .language_version:
      - 2
      - 0
    .max_flat_workgroup_size: 128
    .name:           _ZN9rocsparseL19gebsrmvn_2xn_kernelILj128ELj11ELj32EfEEvi20rocsparse_direction_NS_24const_host_device_scalarIT2_EEPKiS6_PKS3_S8_S4_PS3_21rocsparse_index_base_b
    .private_segment_fixed_size: 0
    .sgpr_count:     22
    .sgpr_spill_count: 0
    .symbol:         _ZN9rocsparseL19gebsrmvn_2xn_kernelILj128ELj11ELj32EfEEvi20rocsparse_direction_NS_24const_host_device_scalarIT2_EEPKiS6_PKS3_S8_S4_PS3_21rocsparse_index_base_b.kd
    .uniform_work_group_size: 1
    .uses_dynamic_stack: false
    .vgpr_count:     48
    .vgpr_spill_count: 0
    .wavefront_size: 32
    .workgroup_processor_mode: 1
  - .args:
      - .offset:         0
        .size:           4
        .value_kind:     by_value
      - .offset:         4
        .size:           4
        .value_kind:     by_value
      - .offset:         8
        .size:           8
        .value_kind:     by_value
      - .actual_access:  read_only
        .address_space:  global
        .offset:         16
        .size:           8
        .value_kind:     global_buffer
      - .actual_access:  read_only
        .address_space:  global
        .offset:         24
        .size:           8
        .value_kind:     global_buffer
      - .actual_access:  read_only
        .address_space:  global
        .offset:         32
        .size:           8
        .value_kind:     global_buffer
      - .actual_access:  read_only
        .address_space:  global
        .offset:         40
        .size:           8
        .value_kind:     global_buffer
      - .offset:         48
        .size:           8
        .value_kind:     by_value
      - .address_space:  global
        .offset:         56
        .size:           8
        .value_kind:     global_buffer
      - .offset:         64
        .size:           4
        .value_kind:     by_value
      - .offset:         68
        .size:           1
        .value_kind:     by_value
    .group_segment_fixed_size: 0
    .kernarg_segment_align: 8
    .kernarg_segment_size: 72
    .language:       OpenCL C
    .language_version:
      - 2
      - 0
    .max_flat_workgroup_size: 128
    .name:           _ZN9rocsparseL19gebsrmvn_2xn_kernelILj128ELj11ELj64EfEEvi20rocsparse_direction_NS_24const_host_device_scalarIT2_EEPKiS6_PKS3_S8_S4_PS3_21rocsparse_index_base_b
    .private_segment_fixed_size: 0
    .sgpr_count:     22
    .sgpr_spill_count: 0
    .symbol:         _ZN9rocsparseL19gebsrmvn_2xn_kernelILj128ELj11ELj64EfEEvi20rocsparse_direction_NS_24const_host_device_scalarIT2_EEPKiS6_PKS3_S8_S4_PS3_21rocsparse_index_base_b.kd
    .uniform_work_group_size: 1
    .uses_dynamic_stack: false
    .vgpr_count:     48
    .vgpr_spill_count: 0
    .wavefront_size: 32
    .workgroup_processor_mode: 1
  - .args:
      - .offset:         0
        .size:           4
        .value_kind:     by_value
      - .offset:         4
        .size:           4
        .value_kind:     by_value
      - .offset:         8
        .size:           8
        .value_kind:     by_value
      - .actual_access:  read_only
        .address_space:  global
        .offset:         16
        .size:           8
        .value_kind:     global_buffer
      - .actual_access:  read_only
        .address_space:  global
        .offset:         24
        .size:           8
        .value_kind:     global_buffer
      - .actual_access:  read_only
        .address_space:  global
        .offset:         32
        .size:           8
        .value_kind:     global_buffer
      - .actual_access:  read_only
        .address_space:  global
        .offset:         40
        .size:           8
        .value_kind:     global_buffer
      - .offset:         48
        .size:           8
        .value_kind:     by_value
      - .address_space:  global
        .offset:         56
        .size:           8
        .value_kind:     global_buffer
      - .offset:         64
        .size:           4
        .value_kind:     by_value
      - .offset:         68
        .size:           1
        .value_kind:     by_value
    .group_segment_fixed_size: 0
    .kernarg_segment_align: 8
    .kernarg_segment_size: 72
    .language:       OpenCL C
    .language_version:
      - 2
      - 0
    .max_flat_workgroup_size: 128
    .name:           _ZN9rocsparseL19gebsrmvn_2xn_kernelILj128ELj12ELj4EfEEvi20rocsparse_direction_NS_24const_host_device_scalarIT2_EEPKiS6_PKS3_S8_S4_PS3_21rocsparse_index_base_b
    .private_segment_fixed_size: 0
    .sgpr_count:     22
    .sgpr_spill_count: 0
    .symbol:         _ZN9rocsparseL19gebsrmvn_2xn_kernelILj128ELj12ELj4EfEEvi20rocsparse_direction_NS_24const_host_device_scalarIT2_EEPKiS6_PKS3_S8_S4_PS3_21rocsparse_index_base_b.kd
    .uniform_work_group_size: 1
    .uses_dynamic_stack: false
    .vgpr_count:     49
    .vgpr_spill_count: 0
    .wavefront_size: 32
    .workgroup_processor_mode: 1
  - .args:
      - .offset:         0
        .size:           4
        .value_kind:     by_value
      - .offset:         4
        .size:           4
        .value_kind:     by_value
      - .offset:         8
        .size:           8
        .value_kind:     by_value
      - .actual_access:  read_only
        .address_space:  global
        .offset:         16
        .size:           8
        .value_kind:     global_buffer
      - .actual_access:  read_only
        .address_space:  global
        .offset:         24
        .size:           8
        .value_kind:     global_buffer
      - .actual_access:  read_only
        .address_space:  global
        .offset:         32
        .size:           8
        .value_kind:     global_buffer
      - .actual_access:  read_only
        .address_space:  global
        .offset:         40
        .size:           8
        .value_kind:     global_buffer
      - .offset:         48
        .size:           8
        .value_kind:     by_value
      - .address_space:  global
        .offset:         56
        .size:           8
        .value_kind:     global_buffer
      - .offset:         64
        .size:           4
        .value_kind:     by_value
      - .offset:         68
        .size:           1
        .value_kind:     by_value
    .group_segment_fixed_size: 0
    .kernarg_segment_align: 8
    .kernarg_segment_size: 72
    .language:       OpenCL C
    .language_version:
      - 2
      - 0
    .max_flat_workgroup_size: 128
    .name:           _ZN9rocsparseL19gebsrmvn_2xn_kernelILj128ELj12ELj8EfEEvi20rocsparse_direction_NS_24const_host_device_scalarIT2_EEPKiS6_PKS3_S8_S4_PS3_21rocsparse_index_base_b
    .private_segment_fixed_size: 0
    .sgpr_count:     22
    .sgpr_spill_count: 0
    .symbol:         _ZN9rocsparseL19gebsrmvn_2xn_kernelILj128ELj12ELj8EfEEvi20rocsparse_direction_NS_24const_host_device_scalarIT2_EEPKiS6_PKS3_S8_S4_PS3_21rocsparse_index_base_b.kd
    .uniform_work_group_size: 1
    .uses_dynamic_stack: false
    .vgpr_count:     49
    .vgpr_spill_count: 0
    .wavefront_size: 32
    .workgroup_processor_mode: 1
  - .args:
      - .offset:         0
        .size:           4
        .value_kind:     by_value
      - .offset:         4
        .size:           4
        .value_kind:     by_value
      - .offset:         8
        .size:           8
        .value_kind:     by_value
      - .actual_access:  read_only
        .address_space:  global
        .offset:         16
        .size:           8
        .value_kind:     global_buffer
      - .actual_access:  read_only
        .address_space:  global
        .offset:         24
        .size:           8
        .value_kind:     global_buffer
      - .actual_access:  read_only
        .address_space:  global
        .offset:         32
        .size:           8
        .value_kind:     global_buffer
      - .actual_access:  read_only
        .address_space:  global
        .offset:         40
        .size:           8
        .value_kind:     global_buffer
      - .offset:         48
        .size:           8
        .value_kind:     by_value
      - .address_space:  global
        .offset:         56
        .size:           8
        .value_kind:     global_buffer
      - .offset:         64
        .size:           4
        .value_kind:     by_value
      - .offset:         68
        .size:           1
        .value_kind:     by_value
    .group_segment_fixed_size: 0
    .kernarg_segment_align: 8
    .kernarg_segment_size: 72
    .language:       OpenCL C
    .language_version:
      - 2
      - 0
    .max_flat_workgroup_size: 128
    .name:           _ZN9rocsparseL19gebsrmvn_2xn_kernelILj128ELj12ELj16EfEEvi20rocsparse_direction_NS_24const_host_device_scalarIT2_EEPKiS6_PKS3_S8_S4_PS3_21rocsparse_index_base_b
    .private_segment_fixed_size: 0
    .sgpr_count:     22
    .sgpr_spill_count: 0
    .symbol:         _ZN9rocsparseL19gebsrmvn_2xn_kernelILj128ELj12ELj16EfEEvi20rocsparse_direction_NS_24const_host_device_scalarIT2_EEPKiS6_PKS3_S8_S4_PS3_21rocsparse_index_base_b.kd
    .uniform_work_group_size: 1
    .uses_dynamic_stack: false
    .vgpr_count:     49
    .vgpr_spill_count: 0
    .wavefront_size: 32
    .workgroup_processor_mode: 1
  - .args:
      - .offset:         0
        .size:           4
        .value_kind:     by_value
      - .offset:         4
        .size:           4
        .value_kind:     by_value
      - .offset:         8
        .size:           8
        .value_kind:     by_value
      - .actual_access:  read_only
        .address_space:  global
        .offset:         16
        .size:           8
        .value_kind:     global_buffer
      - .actual_access:  read_only
        .address_space:  global
        .offset:         24
        .size:           8
        .value_kind:     global_buffer
      - .actual_access:  read_only
        .address_space:  global
        .offset:         32
        .size:           8
        .value_kind:     global_buffer
      - .actual_access:  read_only
        .address_space:  global
        .offset:         40
        .size:           8
        .value_kind:     global_buffer
      - .offset:         48
        .size:           8
        .value_kind:     by_value
      - .address_space:  global
        .offset:         56
        .size:           8
        .value_kind:     global_buffer
      - .offset:         64
        .size:           4
        .value_kind:     by_value
      - .offset:         68
        .size:           1
        .value_kind:     by_value
    .group_segment_fixed_size: 0
    .kernarg_segment_align: 8
    .kernarg_segment_size: 72
    .language:       OpenCL C
    .language_version:
      - 2
      - 0
    .max_flat_workgroup_size: 128
    .name:           _ZN9rocsparseL19gebsrmvn_2xn_kernelILj128ELj12ELj32EfEEvi20rocsparse_direction_NS_24const_host_device_scalarIT2_EEPKiS6_PKS3_S8_S4_PS3_21rocsparse_index_base_b
    .private_segment_fixed_size: 0
    .sgpr_count:     22
    .sgpr_spill_count: 0
    .symbol:         _ZN9rocsparseL19gebsrmvn_2xn_kernelILj128ELj12ELj32EfEEvi20rocsparse_direction_NS_24const_host_device_scalarIT2_EEPKiS6_PKS3_S8_S4_PS3_21rocsparse_index_base_b.kd
    .uniform_work_group_size: 1
    .uses_dynamic_stack: false
    .vgpr_count:     49
    .vgpr_spill_count: 0
    .wavefront_size: 32
    .workgroup_processor_mode: 1
  - .args:
      - .offset:         0
        .size:           4
        .value_kind:     by_value
      - .offset:         4
        .size:           4
        .value_kind:     by_value
      - .offset:         8
        .size:           8
        .value_kind:     by_value
      - .actual_access:  read_only
        .address_space:  global
        .offset:         16
        .size:           8
        .value_kind:     global_buffer
      - .actual_access:  read_only
        .address_space:  global
        .offset:         24
        .size:           8
        .value_kind:     global_buffer
      - .actual_access:  read_only
        .address_space:  global
        .offset:         32
        .size:           8
        .value_kind:     global_buffer
      - .actual_access:  read_only
        .address_space:  global
        .offset:         40
        .size:           8
        .value_kind:     global_buffer
      - .offset:         48
        .size:           8
        .value_kind:     by_value
      - .address_space:  global
        .offset:         56
        .size:           8
        .value_kind:     global_buffer
      - .offset:         64
        .size:           4
        .value_kind:     by_value
      - .offset:         68
        .size:           1
        .value_kind:     by_value
    .group_segment_fixed_size: 0
    .kernarg_segment_align: 8
    .kernarg_segment_size: 72
    .language:       OpenCL C
    .language_version:
      - 2
      - 0
    .max_flat_workgroup_size: 128
    .name:           _ZN9rocsparseL19gebsrmvn_2xn_kernelILj128ELj12ELj64EfEEvi20rocsparse_direction_NS_24const_host_device_scalarIT2_EEPKiS6_PKS3_S8_S4_PS3_21rocsparse_index_base_b
    .private_segment_fixed_size: 0
    .sgpr_count:     22
    .sgpr_spill_count: 0
    .symbol:         _ZN9rocsparseL19gebsrmvn_2xn_kernelILj128ELj12ELj64EfEEvi20rocsparse_direction_NS_24const_host_device_scalarIT2_EEPKiS6_PKS3_S8_S4_PS3_21rocsparse_index_base_b.kd
    .uniform_work_group_size: 1
    .uses_dynamic_stack: false
    .vgpr_count:     49
    .vgpr_spill_count: 0
    .wavefront_size: 32
    .workgroup_processor_mode: 1
  - .args:
      - .offset:         0
        .size:           4
        .value_kind:     by_value
      - .offset:         4
        .size:           4
        .value_kind:     by_value
      - .offset:         8
        .size:           8
        .value_kind:     by_value
      - .actual_access:  read_only
        .address_space:  global
        .offset:         16
        .size:           8
        .value_kind:     global_buffer
      - .actual_access:  read_only
        .address_space:  global
        .offset:         24
        .size:           8
        .value_kind:     global_buffer
      - .actual_access:  read_only
        .address_space:  global
        .offset:         32
        .size:           8
        .value_kind:     global_buffer
      - .actual_access:  read_only
        .address_space:  global
        .offset:         40
        .size:           8
        .value_kind:     global_buffer
      - .offset:         48
        .size:           8
        .value_kind:     by_value
      - .address_space:  global
        .offset:         56
        .size:           8
        .value_kind:     global_buffer
      - .offset:         64
        .size:           4
        .value_kind:     by_value
      - .offset:         68
        .size:           1
        .value_kind:     by_value
    .group_segment_fixed_size: 0
    .kernarg_segment_align: 8
    .kernarg_segment_size: 72
    .language:       OpenCL C
    .language_version:
      - 2
      - 0
    .max_flat_workgroup_size: 128
    .name:           _ZN9rocsparseL19gebsrmvn_2xn_kernelILj128ELj13ELj4EfEEvi20rocsparse_direction_NS_24const_host_device_scalarIT2_EEPKiS6_PKS3_S8_S4_PS3_21rocsparse_index_base_b
    .private_segment_fixed_size: 0
    .sgpr_count:     22
    .sgpr_spill_count: 0
    .symbol:         _ZN9rocsparseL19gebsrmvn_2xn_kernelILj128ELj13ELj4EfEEvi20rocsparse_direction_NS_24const_host_device_scalarIT2_EEPKiS6_PKS3_S8_S4_PS3_21rocsparse_index_base_b.kd
    .uniform_work_group_size: 1
    .uses_dynamic_stack: false
    .vgpr_count:     54
    .vgpr_spill_count: 0
    .wavefront_size: 32
    .workgroup_processor_mode: 1
  - .args:
      - .offset:         0
        .size:           4
        .value_kind:     by_value
      - .offset:         4
        .size:           4
        .value_kind:     by_value
      - .offset:         8
        .size:           8
        .value_kind:     by_value
      - .actual_access:  read_only
        .address_space:  global
        .offset:         16
        .size:           8
        .value_kind:     global_buffer
      - .actual_access:  read_only
        .address_space:  global
        .offset:         24
        .size:           8
        .value_kind:     global_buffer
      - .actual_access:  read_only
        .address_space:  global
        .offset:         32
        .size:           8
        .value_kind:     global_buffer
      - .actual_access:  read_only
        .address_space:  global
        .offset:         40
        .size:           8
        .value_kind:     global_buffer
      - .offset:         48
        .size:           8
        .value_kind:     by_value
      - .address_space:  global
        .offset:         56
        .size:           8
        .value_kind:     global_buffer
      - .offset:         64
        .size:           4
        .value_kind:     by_value
      - .offset:         68
        .size:           1
        .value_kind:     by_value
    .group_segment_fixed_size: 0
    .kernarg_segment_align: 8
    .kernarg_segment_size: 72
    .language:       OpenCL C
    .language_version:
      - 2
      - 0
    .max_flat_workgroup_size: 128
    .name:           _ZN9rocsparseL19gebsrmvn_2xn_kernelILj128ELj13ELj8EfEEvi20rocsparse_direction_NS_24const_host_device_scalarIT2_EEPKiS6_PKS3_S8_S4_PS3_21rocsparse_index_base_b
    .private_segment_fixed_size: 0
    .sgpr_count:     22
    .sgpr_spill_count: 0
    .symbol:         _ZN9rocsparseL19gebsrmvn_2xn_kernelILj128ELj13ELj8EfEEvi20rocsparse_direction_NS_24const_host_device_scalarIT2_EEPKiS6_PKS3_S8_S4_PS3_21rocsparse_index_base_b.kd
    .uniform_work_group_size: 1
    .uses_dynamic_stack: false
    .vgpr_count:     54
    .vgpr_spill_count: 0
    .wavefront_size: 32
    .workgroup_processor_mode: 1
  - .args:
      - .offset:         0
        .size:           4
        .value_kind:     by_value
      - .offset:         4
        .size:           4
        .value_kind:     by_value
      - .offset:         8
        .size:           8
        .value_kind:     by_value
      - .actual_access:  read_only
        .address_space:  global
        .offset:         16
        .size:           8
        .value_kind:     global_buffer
      - .actual_access:  read_only
        .address_space:  global
        .offset:         24
        .size:           8
        .value_kind:     global_buffer
      - .actual_access:  read_only
        .address_space:  global
        .offset:         32
        .size:           8
        .value_kind:     global_buffer
      - .actual_access:  read_only
        .address_space:  global
        .offset:         40
        .size:           8
        .value_kind:     global_buffer
      - .offset:         48
        .size:           8
        .value_kind:     by_value
      - .address_space:  global
        .offset:         56
        .size:           8
        .value_kind:     global_buffer
      - .offset:         64
        .size:           4
        .value_kind:     by_value
      - .offset:         68
        .size:           1
        .value_kind:     by_value
    .group_segment_fixed_size: 0
    .kernarg_segment_align: 8
    .kernarg_segment_size: 72
    .language:       OpenCL C
    .language_version:
      - 2
      - 0
    .max_flat_workgroup_size: 128
    .name:           _ZN9rocsparseL19gebsrmvn_2xn_kernelILj128ELj13ELj16EfEEvi20rocsparse_direction_NS_24const_host_device_scalarIT2_EEPKiS6_PKS3_S8_S4_PS3_21rocsparse_index_base_b
    .private_segment_fixed_size: 0
    .sgpr_count:     22
    .sgpr_spill_count: 0
    .symbol:         _ZN9rocsparseL19gebsrmvn_2xn_kernelILj128ELj13ELj16EfEEvi20rocsparse_direction_NS_24const_host_device_scalarIT2_EEPKiS6_PKS3_S8_S4_PS3_21rocsparse_index_base_b.kd
    .uniform_work_group_size: 1
    .uses_dynamic_stack: false
    .vgpr_count:     54
    .vgpr_spill_count: 0
    .wavefront_size: 32
    .workgroup_processor_mode: 1
  - .args:
      - .offset:         0
        .size:           4
        .value_kind:     by_value
      - .offset:         4
        .size:           4
        .value_kind:     by_value
      - .offset:         8
        .size:           8
        .value_kind:     by_value
      - .actual_access:  read_only
        .address_space:  global
        .offset:         16
        .size:           8
        .value_kind:     global_buffer
      - .actual_access:  read_only
        .address_space:  global
        .offset:         24
        .size:           8
        .value_kind:     global_buffer
      - .actual_access:  read_only
        .address_space:  global
        .offset:         32
        .size:           8
        .value_kind:     global_buffer
      - .actual_access:  read_only
        .address_space:  global
        .offset:         40
        .size:           8
        .value_kind:     global_buffer
      - .offset:         48
        .size:           8
        .value_kind:     by_value
      - .address_space:  global
        .offset:         56
        .size:           8
        .value_kind:     global_buffer
      - .offset:         64
        .size:           4
        .value_kind:     by_value
      - .offset:         68
        .size:           1
        .value_kind:     by_value
    .group_segment_fixed_size: 0
    .kernarg_segment_align: 8
    .kernarg_segment_size: 72
    .language:       OpenCL C
    .language_version:
      - 2
      - 0
    .max_flat_workgroup_size: 128
    .name:           _ZN9rocsparseL19gebsrmvn_2xn_kernelILj128ELj13ELj32EfEEvi20rocsparse_direction_NS_24const_host_device_scalarIT2_EEPKiS6_PKS3_S8_S4_PS3_21rocsparse_index_base_b
    .private_segment_fixed_size: 0
    .sgpr_count:     22
    .sgpr_spill_count: 0
    .symbol:         _ZN9rocsparseL19gebsrmvn_2xn_kernelILj128ELj13ELj32EfEEvi20rocsparse_direction_NS_24const_host_device_scalarIT2_EEPKiS6_PKS3_S8_S4_PS3_21rocsparse_index_base_b.kd
    .uniform_work_group_size: 1
    .uses_dynamic_stack: false
    .vgpr_count:     54
    .vgpr_spill_count: 0
    .wavefront_size: 32
    .workgroup_processor_mode: 1
  - .args:
      - .offset:         0
        .size:           4
        .value_kind:     by_value
      - .offset:         4
        .size:           4
        .value_kind:     by_value
      - .offset:         8
        .size:           8
        .value_kind:     by_value
      - .actual_access:  read_only
        .address_space:  global
        .offset:         16
        .size:           8
        .value_kind:     global_buffer
      - .actual_access:  read_only
        .address_space:  global
        .offset:         24
        .size:           8
        .value_kind:     global_buffer
      - .actual_access:  read_only
        .address_space:  global
        .offset:         32
        .size:           8
        .value_kind:     global_buffer
      - .actual_access:  read_only
        .address_space:  global
        .offset:         40
        .size:           8
        .value_kind:     global_buffer
      - .offset:         48
        .size:           8
        .value_kind:     by_value
      - .address_space:  global
        .offset:         56
        .size:           8
        .value_kind:     global_buffer
      - .offset:         64
        .size:           4
        .value_kind:     by_value
      - .offset:         68
        .size:           1
        .value_kind:     by_value
    .group_segment_fixed_size: 0
    .kernarg_segment_align: 8
    .kernarg_segment_size: 72
    .language:       OpenCL C
    .language_version:
      - 2
      - 0
    .max_flat_workgroup_size: 128
    .name:           _ZN9rocsparseL19gebsrmvn_2xn_kernelILj128ELj13ELj64EfEEvi20rocsparse_direction_NS_24const_host_device_scalarIT2_EEPKiS6_PKS3_S8_S4_PS3_21rocsparse_index_base_b
    .private_segment_fixed_size: 0
    .sgpr_count:     22
    .sgpr_spill_count: 0
    .symbol:         _ZN9rocsparseL19gebsrmvn_2xn_kernelILj128ELj13ELj64EfEEvi20rocsparse_direction_NS_24const_host_device_scalarIT2_EEPKiS6_PKS3_S8_S4_PS3_21rocsparse_index_base_b.kd
    .uniform_work_group_size: 1
    .uses_dynamic_stack: false
    .vgpr_count:     54
    .vgpr_spill_count: 0
    .wavefront_size: 32
    .workgroup_processor_mode: 1
  - .args:
      - .offset:         0
        .size:           4
        .value_kind:     by_value
      - .offset:         4
        .size:           4
        .value_kind:     by_value
      - .offset:         8
        .size:           8
        .value_kind:     by_value
      - .actual_access:  read_only
        .address_space:  global
        .offset:         16
        .size:           8
        .value_kind:     global_buffer
      - .actual_access:  read_only
        .address_space:  global
        .offset:         24
        .size:           8
        .value_kind:     global_buffer
      - .actual_access:  read_only
        .address_space:  global
        .offset:         32
        .size:           8
        .value_kind:     global_buffer
      - .actual_access:  read_only
        .address_space:  global
        .offset:         40
        .size:           8
        .value_kind:     global_buffer
      - .offset:         48
        .size:           8
        .value_kind:     by_value
      - .address_space:  global
        .offset:         56
        .size:           8
        .value_kind:     global_buffer
      - .offset:         64
        .size:           4
        .value_kind:     by_value
      - .offset:         68
        .size:           1
        .value_kind:     by_value
    .group_segment_fixed_size: 0
    .kernarg_segment_align: 8
    .kernarg_segment_size: 72
    .language:       OpenCL C
    .language_version:
      - 2
      - 0
    .max_flat_workgroup_size: 128
    .name:           _ZN9rocsparseL19gebsrmvn_2xn_kernelILj128ELj14ELj4EfEEvi20rocsparse_direction_NS_24const_host_device_scalarIT2_EEPKiS6_PKS3_S8_S4_PS3_21rocsparse_index_base_b
    .private_segment_fixed_size: 0
    .sgpr_count:     22
    .sgpr_spill_count: 0
    .symbol:         _ZN9rocsparseL19gebsrmvn_2xn_kernelILj128ELj14ELj4EfEEvi20rocsparse_direction_NS_24const_host_device_scalarIT2_EEPKiS6_PKS3_S8_S4_PS3_21rocsparse_index_base_b.kd
    .uniform_work_group_size: 1
    .uses_dynamic_stack: false
    .vgpr_count:     55
    .vgpr_spill_count: 0
    .wavefront_size: 32
    .workgroup_processor_mode: 1
  - .args:
      - .offset:         0
        .size:           4
        .value_kind:     by_value
      - .offset:         4
        .size:           4
        .value_kind:     by_value
      - .offset:         8
        .size:           8
        .value_kind:     by_value
      - .actual_access:  read_only
        .address_space:  global
        .offset:         16
        .size:           8
        .value_kind:     global_buffer
      - .actual_access:  read_only
        .address_space:  global
        .offset:         24
        .size:           8
        .value_kind:     global_buffer
      - .actual_access:  read_only
        .address_space:  global
        .offset:         32
        .size:           8
        .value_kind:     global_buffer
      - .actual_access:  read_only
        .address_space:  global
        .offset:         40
        .size:           8
        .value_kind:     global_buffer
      - .offset:         48
        .size:           8
        .value_kind:     by_value
      - .address_space:  global
        .offset:         56
        .size:           8
        .value_kind:     global_buffer
      - .offset:         64
        .size:           4
        .value_kind:     by_value
      - .offset:         68
        .size:           1
        .value_kind:     by_value
    .group_segment_fixed_size: 0
    .kernarg_segment_align: 8
    .kernarg_segment_size: 72
    .language:       OpenCL C
    .language_version:
      - 2
      - 0
    .max_flat_workgroup_size: 128
    .name:           _ZN9rocsparseL19gebsrmvn_2xn_kernelILj128ELj14ELj8EfEEvi20rocsparse_direction_NS_24const_host_device_scalarIT2_EEPKiS6_PKS3_S8_S4_PS3_21rocsparse_index_base_b
    .private_segment_fixed_size: 0
    .sgpr_count:     22
    .sgpr_spill_count: 0
    .symbol:         _ZN9rocsparseL19gebsrmvn_2xn_kernelILj128ELj14ELj8EfEEvi20rocsparse_direction_NS_24const_host_device_scalarIT2_EEPKiS6_PKS3_S8_S4_PS3_21rocsparse_index_base_b.kd
    .uniform_work_group_size: 1
    .uses_dynamic_stack: false
    .vgpr_count:     55
    .vgpr_spill_count: 0
    .wavefront_size: 32
    .workgroup_processor_mode: 1
  - .args:
      - .offset:         0
        .size:           4
        .value_kind:     by_value
      - .offset:         4
        .size:           4
        .value_kind:     by_value
      - .offset:         8
        .size:           8
        .value_kind:     by_value
      - .actual_access:  read_only
        .address_space:  global
        .offset:         16
        .size:           8
        .value_kind:     global_buffer
      - .actual_access:  read_only
        .address_space:  global
        .offset:         24
        .size:           8
        .value_kind:     global_buffer
      - .actual_access:  read_only
        .address_space:  global
        .offset:         32
        .size:           8
        .value_kind:     global_buffer
      - .actual_access:  read_only
        .address_space:  global
        .offset:         40
        .size:           8
        .value_kind:     global_buffer
      - .offset:         48
        .size:           8
        .value_kind:     by_value
      - .address_space:  global
        .offset:         56
        .size:           8
        .value_kind:     global_buffer
      - .offset:         64
        .size:           4
        .value_kind:     by_value
      - .offset:         68
        .size:           1
        .value_kind:     by_value
    .group_segment_fixed_size: 0
    .kernarg_segment_align: 8
    .kernarg_segment_size: 72
    .language:       OpenCL C
    .language_version:
      - 2
      - 0
    .max_flat_workgroup_size: 128
    .name:           _ZN9rocsparseL19gebsrmvn_2xn_kernelILj128ELj14ELj16EfEEvi20rocsparse_direction_NS_24const_host_device_scalarIT2_EEPKiS6_PKS3_S8_S4_PS3_21rocsparse_index_base_b
    .private_segment_fixed_size: 0
    .sgpr_count:     22
    .sgpr_spill_count: 0
    .symbol:         _ZN9rocsparseL19gebsrmvn_2xn_kernelILj128ELj14ELj16EfEEvi20rocsparse_direction_NS_24const_host_device_scalarIT2_EEPKiS6_PKS3_S8_S4_PS3_21rocsparse_index_base_b.kd
    .uniform_work_group_size: 1
    .uses_dynamic_stack: false
    .vgpr_count:     55
    .vgpr_spill_count: 0
    .wavefront_size: 32
    .workgroup_processor_mode: 1
  - .args:
      - .offset:         0
        .size:           4
        .value_kind:     by_value
      - .offset:         4
        .size:           4
        .value_kind:     by_value
      - .offset:         8
        .size:           8
        .value_kind:     by_value
      - .actual_access:  read_only
        .address_space:  global
        .offset:         16
        .size:           8
        .value_kind:     global_buffer
      - .actual_access:  read_only
        .address_space:  global
        .offset:         24
        .size:           8
        .value_kind:     global_buffer
      - .actual_access:  read_only
        .address_space:  global
        .offset:         32
        .size:           8
        .value_kind:     global_buffer
      - .actual_access:  read_only
        .address_space:  global
        .offset:         40
        .size:           8
        .value_kind:     global_buffer
      - .offset:         48
        .size:           8
        .value_kind:     by_value
      - .address_space:  global
        .offset:         56
        .size:           8
        .value_kind:     global_buffer
      - .offset:         64
        .size:           4
        .value_kind:     by_value
      - .offset:         68
        .size:           1
        .value_kind:     by_value
    .group_segment_fixed_size: 0
    .kernarg_segment_align: 8
    .kernarg_segment_size: 72
    .language:       OpenCL C
    .language_version:
      - 2
      - 0
    .max_flat_workgroup_size: 128
    .name:           _ZN9rocsparseL19gebsrmvn_2xn_kernelILj128ELj14ELj32EfEEvi20rocsparse_direction_NS_24const_host_device_scalarIT2_EEPKiS6_PKS3_S8_S4_PS3_21rocsparse_index_base_b
    .private_segment_fixed_size: 0
    .sgpr_count:     22
    .sgpr_spill_count: 0
    .symbol:         _ZN9rocsparseL19gebsrmvn_2xn_kernelILj128ELj14ELj32EfEEvi20rocsparse_direction_NS_24const_host_device_scalarIT2_EEPKiS6_PKS3_S8_S4_PS3_21rocsparse_index_base_b.kd
    .uniform_work_group_size: 1
    .uses_dynamic_stack: false
    .vgpr_count:     55
    .vgpr_spill_count: 0
    .wavefront_size: 32
    .workgroup_processor_mode: 1
  - .args:
      - .offset:         0
        .size:           4
        .value_kind:     by_value
      - .offset:         4
        .size:           4
        .value_kind:     by_value
      - .offset:         8
        .size:           8
        .value_kind:     by_value
      - .actual_access:  read_only
        .address_space:  global
        .offset:         16
        .size:           8
        .value_kind:     global_buffer
      - .actual_access:  read_only
        .address_space:  global
        .offset:         24
        .size:           8
        .value_kind:     global_buffer
      - .actual_access:  read_only
        .address_space:  global
        .offset:         32
        .size:           8
        .value_kind:     global_buffer
      - .actual_access:  read_only
        .address_space:  global
        .offset:         40
        .size:           8
        .value_kind:     global_buffer
      - .offset:         48
        .size:           8
        .value_kind:     by_value
      - .address_space:  global
        .offset:         56
        .size:           8
        .value_kind:     global_buffer
      - .offset:         64
        .size:           4
        .value_kind:     by_value
      - .offset:         68
        .size:           1
        .value_kind:     by_value
    .group_segment_fixed_size: 0
    .kernarg_segment_align: 8
    .kernarg_segment_size: 72
    .language:       OpenCL C
    .language_version:
      - 2
      - 0
    .max_flat_workgroup_size: 128
    .name:           _ZN9rocsparseL19gebsrmvn_2xn_kernelILj128ELj14ELj64EfEEvi20rocsparse_direction_NS_24const_host_device_scalarIT2_EEPKiS6_PKS3_S8_S4_PS3_21rocsparse_index_base_b
    .private_segment_fixed_size: 0
    .sgpr_count:     22
    .sgpr_spill_count: 0
    .symbol:         _ZN9rocsparseL19gebsrmvn_2xn_kernelILj128ELj14ELj64EfEEvi20rocsparse_direction_NS_24const_host_device_scalarIT2_EEPKiS6_PKS3_S8_S4_PS3_21rocsparse_index_base_b.kd
    .uniform_work_group_size: 1
    .uses_dynamic_stack: false
    .vgpr_count:     55
    .vgpr_spill_count: 0
    .wavefront_size: 32
    .workgroup_processor_mode: 1
  - .args:
      - .offset:         0
        .size:           4
        .value_kind:     by_value
      - .offset:         4
        .size:           4
        .value_kind:     by_value
      - .offset:         8
        .size:           8
        .value_kind:     by_value
      - .actual_access:  read_only
        .address_space:  global
        .offset:         16
        .size:           8
        .value_kind:     global_buffer
      - .actual_access:  read_only
        .address_space:  global
        .offset:         24
        .size:           8
        .value_kind:     global_buffer
      - .actual_access:  read_only
        .address_space:  global
        .offset:         32
        .size:           8
        .value_kind:     global_buffer
      - .actual_access:  read_only
        .address_space:  global
        .offset:         40
        .size:           8
        .value_kind:     global_buffer
      - .offset:         48
        .size:           8
        .value_kind:     by_value
      - .address_space:  global
        .offset:         56
        .size:           8
        .value_kind:     global_buffer
      - .offset:         64
        .size:           4
        .value_kind:     by_value
      - .offset:         68
        .size:           1
        .value_kind:     by_value
    .group_segment_fixed_size: 0
    .kernarg_segment_align: 8
    .kernarg_segment_size: 72
    .language:       OpenCL C
    .language_version:
      - 2
      - 0
    .max_flat_workgroup_size: 128
    .name:           _ZN9rocsparseL19gebsrmvn_2xn_kernelILj128ELj15ELj4EfEEvi20rocsparse_direction_NS_24const_host_device_scalarIT2_EEPKiS6_PKS3_S8_S4_PS3_21rocsparse_index_base_b
    .private_segment_fixed_size: 0
    .sgpr_count:     22
    .sgpr_spill_count: 0
    .symbol:         _ZN9rocsparseL19gebsrmvn_2xn_kernelILj128ELj15ELj4EfEEvi20rocsparse_direction_NS_24const_host_device_scalarIT2_EEPKiS6_PKS3_S8_S4_PS3_21rocsparse_index_base_b.kd
    .uniform_work_group_size: 1
    .uses_dynamic_stack: false
    .vgpr_count:     60
    .vgpr_spill_count: 0
    .wavefront_size: 32
    .workgroup_processor_mode: 1
  - .args:
      - .offset:         0
        .size:           4
        .value_kind:     by_value
      - .offset:         4
        .size:           4
        .value_kind:     by_value
      - .offset:         8
        .size:           8
        .value_kind:     by_value
      - .actual_access:  read_only
        .address_space:  global
        .offset:         16
        .size:           8
        .value_kind:     global_buffer
      - .actual_access:  read_only
        .address_space:  global
        .offset:         24
        .size:           8
        .value_kind:     global_buffer
      - .actual_access:  read_only
        .address_space:  global
        .offset:         32
        .size:           8
        .value_kind:     global_buffer
      - .actual_access:  read_only
        .address_space:  global
        .offset:         40
        .size:           8
        .value_kind:     global_buffer
      - .offset:         48
        .size:           8
        .value_kind:     by_value
      - .address_space:  global
        .offset:         56
        .size:           8
        .value_kind:     global_buffer
      - .offset:         64
        .size:           4
        .value_kind:     by_value
      - .offset:         68
        .size:           1
        .value_kind:     by_value
    .group_segment_fixed_size: 0
    .kernarg_segment_align: 8
    .kernarg_segment_size: 72
    .language:       OpenCL C
    .language_version:
      - 2
      - 0
    .max_flat_workgroup_size: 128
    .name:           _ZN9rocsparseL19gebsrmvn_2xn_kernelILj128ELj15ELj8EfEEvi20rocsparse_direction_NS_24const_host_device_scalarIT2_EEPKiS6_PKS3_S8_S4_PS3_21rocsparse_index_base_b
    .private_segment_fixed_size: 0
    .sgpr_count:     22
    .sgpr_spill_count: 0
    .symbol:         _ZN9rocsparseL19gebsrmvn_2xn_kernelILj128ELj15ELj8EfEEvi20rocsparse_direction_NS_24const_host_device_scalarIT2_EEPKiS6_PKS3_S8_S4_PS3_21rocsparse_index_base_b.kd
    .uniform_work_group_size: 1
    .uses_dynamic_stack: false
    .vgpr_count:     60
    .vgpr_spill_count: 0
    .wavefront_size: 32
    .workgroup_processor_mode: 1
  - .args:
      - .offset:         0
        .size:           4
        .value_kind:     by_value
      - .offset:         4
        .size:           4
        .value_kind:     by_value
      - .offset:         8
        .size:           8
        .value_kind:     by_value
      - .actual_access:  read_only
        .address_space:  global
        .offset:         16
        .size:           8
        .value_kind:     global_buffer
      - .actual_access:  read_only
        .address_space:  global
        .offset:         24
        .size:           8
        .value_kind:     global_buffer
      - .actual_access:  read_only
        .address_space:  global
        .offset:         32
        .size:           8
        .value_kind:     global_buffer
      - .actual_access:  read_only
        .address_space:  global
        .offset:         40
        .size:           8
        .value_kind:     global_buffer
      - .offset:         48
        .size:           8
        .value_kind:     by_value
      - .address_space:  global
        .offset:         56
        .size:           8
        .value_kind:     global_buffer
      - .offset:         64
        .size:           4
        .value_kind:     by_value
      - .offset:         68
        .size:           1
        .value_kind:     by_value
    .group_segment_fixed_size: 0
    .kernarg_segment_align: 8
    .kernarg_segment_size: 72
    .language:       OpenCL C
    .language_version:
      - 2
      - 0
    .max_flat_workgroup_size: 128
    .name:           _ZN9rocsparseL19gebsrmvn_2xn_kernelILj128ELj15ELj16EfEEvi20rocsparse_direction_NS_24const_host_device_scalarIT2_EEPKiS6_PKS3_S8_S4_PS3_21rocsparse_index_base_b
    .private_segment_fixed_size: 0
    .sgpr_count:     22
    .sgpr_spill_count: 0
    .symbol:         _ZN9rocsparseL19gebsrmvn_2xn_kernelILj128ELj15ELj16EfEEvi20rocsparse_direction_NS_24const_host_device_scalarIT2_EEPKiS6_PKS3_S8_S4_PS3_21rocsparse_index_base_b.kd
    .uniform_work_group_size: 1
    .uses_dynamic_stack: false
    .vgpr_count:     60
    .vgpr_spill_count: 0
    .wavefront_size: 32
    .workgroup_processor_mode: 1
  - .args:
      - .offset:         0
        .size:           4
        .value_kind:     by_value
      - .offset:         4
        .size:           4
        .value_kind:     by_value
      - .offset:         8
        .size:           8
        .value_kind:     by_value
      - .actual_access:  read_only
        .address_space:  global
        .offset:         16
        .size:           8
        .value_kind:     global_buffer
      - .actual_access:  read_only
        .address_space:  global
        .offset:         24
        .size:           8
        .value_kind:     global_buffer
      - .actual_access:  read_only
        .address_space:  global
        .offset:         32
        .size:           8
        .value_kind:     global_buffer
      - .actual_access:  read_only
        .address_space:  global
        .offset:         40
        .size:           8
        .value_kind:     global_buffer
      - .offset:         48
        .size:           8
        .value_kind:     by_value
      - .address_space:  global
        .offset:         56
        .size:           8
        .value_kind:     global_buffer
      - .offset:         64
        .size:           4
        .value_kind:     by_value
      - .offset:         68
        .size:           1
        .value_kind:     by_value
    .group_segment_fixed_size: 0
    .kernarg_segment_align: 8
    .kernarg_segment_size: 72
    .language:       OpenCL C
    .language_version:
      - 2
      - 0
    .max_flat_workgroup_size: 128
    .name:           _ZN9rocsparseL19gebsrmvn_2xn_kernelILj128ELj15ELj32EfEEvi20rocsparse_direction_NS_24const_host_device_scalarIT2_EEPKiS6_PKS3_S8_S4_PS3_21rocsparse_index_base_b
    .private_segment_fixed_size: 0
    .sgpr_count:     22
    .sgpr_spill_count: 0
    .symbol:         _ZN9rocsparseL19gebsrmvn_2xn_kernelILj128ELj15ELj32EfEEvi20rocsparse_direction_NS_24const_host_device_scalarIT2_EEPKiS6_PKS3_S8_S4_PS3_21rocsparse_index_base_b.kd
    .uniform_work_group_size: 1
    .uses_dynamic_stack: false
    .vgpr_count:     60
    .vgpr_spill_count: 0
    .wavefront_size: 32
    .workgroup_processor_mode: 1
  - .args:
      - .offset:         0
        .size:           4
        .value_kind:     by_value
      - .offset:         4
        .size:           4
        .value_kind:     by_value
      - .offset:         8
        .size:           8
        .value_kind:     by_value
      - .actual_access:  read_only
        .address_space:  global
        .offset:         16
        .size:           8
        .value_kind:     global_buffer
      - .actual_access:  read_only
        .address_space:  global
        .offset:         24
        .size:           8
        .value_kind:     global_buffer
      - .actual_access:  read_only
        .address_space:  global
        .offset:         32
        .size:           8
        .value_kind:     global_buffer
      - .actual_access:  read_only
        .address_space:  global
        .offset:         40
        .size:           8
        .value_kind:     global_buffer
      - .offset:         48
        .size:           8
        .value_kind:     by_value
      - .address_space:  global
        .offset:         56
        .size:           8
        .value_kind:     global_buffer
      - .offset:         64
        .size:           4
        .value_kind:     by_value
      - .offset:         68
        .size:           1
        .value_kind:     by_value
    .group_segment_fixed_size: 0
    .kernarg_segment_align: 8
    .kernarg_segment_size: 72
    .language:       OpenCL C
    .language_version:
      - 2
      - 0
    .max_flat_workgroup_size: 128
    .name:           _ZN9rocsparseL19gebsrmvn_2xn_kernelILj128ELj15ELj64EfEEvi20rocsparse_direction_NS_24const_host_device_scalarIT2_EEPKiS6_PKS3_S8_S4_PS3_21rocsparse_index_base_b
    .private_segment_fixed_size: 0
    .sgpr_count:     22
    .sgpr_spill_count: 0
    .symbol:         _ZN9rocsparseL19gebsrmvn_2xn_kernelILj128ELj15ELj64EfEEvi20rocsparse_direction_NS_24const_host_device_scalarIT2_EEPKiS6_PKS3_S8_S4_PS3_21rocsparse_index_base_b.kd
    .uniform_work_group_size: 1
    .uses_dynamic_stack: false
    .vgpr_count:     60
    .vgpr_spill_count: 0
    .wavefront_size: 32
    .workgroup_processor_mode: 1
  - .args:
      - .offset:         0
        .size:           4
        .value_kind:     by_value
      - .offset:         4
        .size:           4
        .value_kind:     by_value
      - .offset:         8
        .size:           8
        .value_kind:     by_value
      - .actual_access:  read_only
        .address_space:  global
        .offset:         16
        .size:           8
        .value_kind:     global_buffer
      - .actual_access:  read_only
        .address_space:  global
        .offset:         24
        .size:           8
        .value_kind:     global_buffer
      - .actual_access:  read_only
        .address_space:  global
        .offset:         32
        .size:           8
        .value_kind:     global_buffer
      - .actual_access:  read_only
        .address_space:  global
        .offset:         40
        .size:           8
        .value_kind:     global_buffer
      - .offset:         48
        .size:           8
        .value_kind:     by_value
      - .address_space:  global
        .offset:         56
        .size:           8
        .value_kind:     global_buffer
      - .offset:         64
        .size:           4
        .value_kind:     by_value
      - .offset:         68
        .size:           1
        .value_kind:     by_value
    .group_segment_fixed_size: 0
    .kernarg_segment_align: 8
    .kernarg_segment_size: 72
    .language:       OpenCL C
    .language_version:
      - 2
      - 0
    .max_flat_workgroup_size: 128
    .name:           _ZN9rocsparseL19gebsrmvn_2xn_kernelILj128ELj16ELj4EfEEvi20rocsparse_direction_NS_24const_host_device_scalarIT2_EEPKiS6_PKS3_S8_S4_PS3_21rocsparse_index_base_b
    .private_segment_fixed_size: 0
    .sgpr_count:     22
    .sgpr_spill_count: 0
    .symbol:         _ZN9rocsparseL19gebsrmvn_2xn_kernelILj128ELj16ELj4EfEEvi20rocsparse_direction_NS_24const_host_device_scalarIT2_EEPKiS6_PKS3_S8_S4_PS3_21rocsparse_index_base_b.kd
    .uniform_work_group_size: 1
    .uses_dynamic_stack: false
    .vgpr_count:     58
    .vgpr_spill_count: 0
    .wavefront_size: 32
    .workgroup_processor_mode: 1
  - .args:
      - .offset:         0
        .size:           4
        .value_kind:     by_value
      - .offset:         4
        .size:           4
        .value_kind:     by_value
      - .offset:         8
        .size:           8
        .value_kind:     by_value
      - .actual_access:  read_only
        .address_space:  global
        .offset:         16
        .size:           8
        .value_kind:     global_buffer
      - .actual_access:  read_only
        .address_space:  global
        .offset:         24
        .size:           8
        .value_kind:     global_buffer
      - .actual_access:  read_only
        .address_space:  global
        .offset:         32
        .size:           8
        .value_kind:     global_buffer
      - .actual_access:  read_only
        .address_space:  global
        .offset:         40
        .size:           8
        .value_kind:     global_buffer
      - .offset:         48
        .size:           8
        .value_kind:     by_value
      - .address_space:  global
        .offset:         56
        .size:           8
        .value_kind:     global_buffer
      - .offset:         64
        .size:           4
        .value_kind:     by_value
      - .offset:         68
        .size:           1
        .value_kind:     by_value
    .group_segment_fixed_size: 0
    .kernarg_segment_align: 8
    .kernarg_segment_size: 72
    .language:       OpenCL C
    .language_version:
      - 2
      - 0
    .max_flat_workgroup_size: 128
    .name:           _ZN9rocsparseL19gebsrmvn_2xn_kernelILj128ELj16ELj8EfEEvi20rocsparse_direction_NS_24const_host_device_scalarIT2_EEPKiS6_PKS3_S8_S4_PS3_21rocsparse_index_base_b
    .private_segment_fixed_size: 0
    .sgpr_count:     22
    .sgpr_spill_count: 0
    .symbol:         _ZN9rocsparseL19gebsrmvn_2xn_kernelILj128ELj16ELj8EfEEvi20rocsparse_direction_NS_24const_host_device_scalarIT2_EEPKiS6_PKS3_S8_S4_PS3_21rocsparse_index_base_b.kd
    .uniform_work_group_size: 1
    .uses_dynamic_stack: false
    .vgpr_count:     58
    .vgpr_spill_count: 0
    .wavefront_size: 32
    .workgroup_processor_mode: 1
  - .args:
      - .offset:         0
        .size:           4
        .value_kind:     by_value
      - .offset:         4
        .size:           4
        .value_kind:     by_value
      - .offset:         8
        .size:           8
        .value_kind:     by_value
      - .actual_access:  read_only
        .address_space:  global
        .offset:         16
        .size:           8
        .value_kind:     global_buffer
      - .actual_access:  read_only
        .address_space:  global
        .offset:         24
        .size:           8
        .value_kind:     global_buffer
      - .actual_access:  read_only
        .address_space:  global
        .offset:         32
        .size:           8
        .value_kind:     global_buffer
      - .actual_access:  read_only
        .address_space:  global
        .offset:         40
        .size:           8
        .value_kind:     global_buffer
      - .offset:         48
        .size:           8
        .value_kind:     by_value
      - .address_space:  global
        .offset:         56
        .size:           8
        .value_kind:     global_buffer
      - .offset:         64
        .size:           4
        .value_kind:     by_value
      - .offset:         68
        .size:           1
        .value_kind:     by_value
    .group_segment_fixed_size: 0
    .kernarg_segment_align: 8
    .kernarg_segment_size: 72
    .language:       OpenCL C
    .language_version:
      - 2
      - 0
    .max_flat_workgroup_size: 128
    .name:           _ZN9rocsparseL19gebsrmvn_2xn_kernelILj128ELj16ELj16EfEEvi20rocsparse_direction_NS_24const_host_device_scalarIT2_EEPKiS6_PKS3_S8_S4_PS3_21rocsparse_index_base_b
    .private_segment_fixed_size: 0
    .sgpr_count:     22
    .sgpr_spill_count: 0
    .symbol:         _ZN9rocsparseL19gebsrmvn_2xn_kernelILj128ELj16ELj16EfEEvi20rocsparse_direction_NS_24const_host_device_scalarIT2_EEPKiS6_PKS3_S8_S4_PS3_21rocsparse_index_base_b.kd
    .uniform_work_group_size: 1
    .uses_dynamic_stack: false
    .vgpr_count:     58
    .vgpr_spill_count: 0
    .wavefront_size: 32
    .workgroup_processor_mode: 1
  - .args:
      - .offset:         0
        .size:           4
        .value_kind:     by_value
      - .offset:         4
        .size:           4
        .value_kind:     by_value
      - .offset:         8
        .size:           8
        .value_kind:     by_value
      - .actual_access:  read_only
        .address_space:  global
        .offset:         16
        .size:           8
        .value_kind:     global_buffer
      - .actual_access:  read_only
        .address_space:  global
        .offset:         24
        .size:           8
        .value_kind:     global_buffer
      - .actual_access:  read_only
        .address_space:  global
        .offset:         32
        .size:           8
        .value_kind:     global_buffer
      - .actual_access:  read_only
        .address_space:  global
        .offset:         40
        .size:           8
        .value_kind:     global_buffer
      - .offset:         48
        .size:           8
        .value_kind:     by_value
      - .address_space:  global
        .offset:         56
        .size:           8
        .value_kind:     global_buffer
      - .offset:         64
        .size:           4
        .value_kind:     by_value
      - .offset:         68
        .size:           1
        .value_kind:     by_value
    .group_segment_fixed_size: 0
    .kernarg_segment_align: 8
    .kernarg_segment_size: 72
    .language:       OpenCL C
    .language_version:
      - 2
      - 0
    .max_flat_workgroup_size: 128
    .name:           _ZN9rocsparseL19gebsrmvn_2xn_kernelILj128ELj16ELj32EfEEvi20rocsparse_direction_NS_24const_host_device_scalarIT2_EEPKiS6_PKS3_S8_S4_PS3_21rocsparse_index_base_b
    .private_segment_fixed_size: 0
    .sgpr_count:     22
    .sgpr_spill_count: 0
    .symbol:         _ZN9rocsparseL19gebsrmvn_2xn_kernelILj128ELj16ELj32EfEEvi20rocsparse_direction_NS_24const_host_device_scalarIT2_EEPKiS6_PKS3_S8_S4_PS3_21rocsparse_index_base_b.kd
    .uniform_work_group_size: 1
    .uses_dynamic_stack: false
    .vgpr_count:     58
    .vgpr_spill_count: 0
    .wavefront_size: 32
    .workgroup_processor_mode: 1
  - .args:
      - .offset:         0
        .size:           4
        .value_kind:     by_value
      - .offset:         4
        .size:           4
        .value_kind:     by_value
      - .offset:         8
        .size:           8
        .value_kind:     by_value
      - .actual_access:  read_only
        .address_space:  global
        .offset:         16
        .size:           8
        .value_kind:     global_buffer
      - .actual_access:  read_only
        .address_space:  global
        .offset:         24
        .size:           8
        .value_kind:     global_buffer
      - .actual_access:  read_only
        .address_space:  global
        .offset:         32
        .size:           8
        .value_kind:     global_buffer
      - .actual_access:  read_only
        .address_space:  global
        .offset:         40
        .size:           8
        .value_kind:     global_buffer
      - .offset:         48
        .size:           8
        .value_kind:     by_value
      - .address_space:  global
        .offset:         56
        .size:           8
        .value_kind:     global_buffer
      - .offset:         64
        .size:           4
        .value_kind:     by_value
      - .offset:         68
        .size:           1
        .value_kind:     by_value
    .group_segment_fixed_size: 0
    .kernarg_segment_align: 8
    .kernarg_segment_size: 72
    .language:       OpenCL C
    .language_version:
      - 2
      - 0
    .max_flat_workgroup_size: 128
    .name:           _ZN9rocsparseL19gebsrmvn_2xn_kernelILj128ELj16ELj64EfEEvi20rocsparse_direction_NS_24const_host_device_scalarIT2_EEPKiS6_PKS3_S8_S4_PS3_21rocsparse_index_base_b
    .private_segment_fixed_size: 0
    .sgpr_count:     22
    .sgpr_spill_count: 0
    .symbol:         _ZN9rocsparseL19gebsrmvn_2xn_kernelILj128ELj16ELj64EfEEvi20rocsparse_direction_NS_24const_host_device_scalarIT2_EEPKiS6_PKS3_S8_S4_PS3_21rocsparse_index_base_b.kd
    .uniform_work_group_size: 1
    .uses_dynamic_stack: false
    .vgpr_count:     58
    .vgpr_spill_count: 0
    .wavefront_size: 32
    .workgroup_processor_mode: 1
  - .args:
      - .offset:         0
        .size:           4
        .value_kind:     by_value
      - .offset:         4
        .size:           4
        .value_kind:     by_value
      - .offset:         8
        .size:           8
        .value_kind:     by_value
      - .actual_access:  read_only
        .address_space:  global
        .offset:         16
        .size:           8
        .value_kind:     global_buffer
      - .actual_access:  read_only
        .address_space:  global
        .offset:         24
        .size:           8
        .value_kind:     global_buffer
      - .actual_access:  read_only
        .address_space:  global
        .offset:         32
        .size:           8
        .value_kind:     global_buffer
      - .offset:         40
        .size:           4
        .value_kind:     by_value
      - .offset:         44
        .size:           4
        .value_kind:     by_value
      - .actual_access:  read_only
        .address_space:  global
        .offset:         48
        .size:           8
        .value_kind:     global_buffer
      - .offset:         56
        .size:           8
        .value_kind:     by_value
      - .address_space:  global
        .offset:         64
        .size:           8
        .value_kind:     global_buffer
      - .offset:         72
        .size:           4
        .value_kind:     by_value
      - .offset:         76
        .size:           1
        .value_kind:     by_value
    .group_segment_fixed_size: 0
    .kernarg_segment_align: 8
    .kernarg_segment_size: 80
    .language:       OpenCL C
    .language_version:
      - 2
      - 0
    .max_flat_workgroup_size: 32
    .name:           _ZN9rocsparseL23gebsrmvn_general_kernelILj32ELj32EfEEvi20rocsparse_direction_NS_24const_host_device_scalarIT1_EEPKiS6_PKS3_iiS8_S4_PS3_21rocsparse_index_base_b
    .private_segment_fixed_size: 0
    .sgpr_count:     30
    .sgpr_spill_count: 0
    .symbol:         _ZN9rocsparseL23gebsrmvn_general_kernelILj32ELj32EfEEvi20rocsparse_direction_NS_24const_host_device_scalarIT1_EEPKiS6_PKS3_iiS8_S4_PS3_21rocsparse_index_base_b.kd
    .uniform_work_group_size: 1
    .uses_dynamic_stack: false
    .vgpr_count:     15
    .vgpr_spill_count: 0
    .wavefront_size: 32
    .workgroup_processor_mode: 1
  - .args:
      - .offset:         0
        .size:           4
        .value_kind:     by_value
      - .offset:         4
        .size:           4
        .value_kind:     by_value
      - .offset:         8
        .size:           8
        .value_kind:     by_value
      - .actual_access:  read_only
        .address_space:  global
        .offset:         16
        .size:           8
        .value_kind:     global_buffer
      - .actual_access:  read_only
        .address_space:  global
        .offset:         24
        .size:           8
        .value_kind:     global_buffer
      - .actual_access:  read_only
        .address_space:  global
        .offset:         32
        .size:           8
        .value_kind:     global_buffer
      - .actual_access:  read_only
        .address_space:  global
        .offset:         40
        .size:           8
        .value_kind:     global_buffer
      - .offset:         48
        .size:           8
        .value_kind:     by_value
      - .address_space:  global
        .offset:         56
        .size:           8
        .value_kind:     global_buffer
      - .offset:         64
        .size:           4
        .value_kind:     by_value
      - .offset:         68
        .size:           1
        .value_kind:     by_value
    .group_segment_fixed_size: 0
    .kernarg_segment_align: 8
    .kernarg_segment_size: 72
    .language:       OpenCL C
    .language_version:
      - 2
      - 0
    .max_flat_workgroup_size: 128
    .name:           _ZN9rocsparseL19gebsrmvn_2xn_kernelILj128ELj1ELj4EdEEvi20rocsparse_direction_NS_24const_host_device_scalarIT2_EEPKiS6_PKS3_S8_S4_PS3_21rocsparse_index_base_b
    .private_segment_fixed_size: 0
    .sgpr_count:     18
    .sgpr_spill_count: 0
    .symbol:         _ZN9rocsparseL19gebsrmvn_2xn_kernelILj128ELj1ELj4EdEEvi20rocsparse_direction_NS_24const_host_device_scalarIT2_EEPKiS6_PKS3_S8_S4_PS3_21rocsparse_index_base_b.kd
    .uniform_work_group_size: 1
    .uses_dynamic_stack: false
    .vgpr_count:     22
    .vgpr_spill_count: 0
    .wavefront_size: 32
    .workgroup_processor_mode: 1
  - .args:
      - .offset:         0
        .size:           4
        .value_kind:     by_value
      - .offset:         4
        .size:           4
        .value_kind:     by_value
      - .offset:         8
        .size:           8
        .value_kind:     by_value
      - .actual_access:  read_only
        .address_space:  global
        .offset:         16
        .size:           8
        .value_kind:     global_buffer
      - .actual_access:  read_only
        .address_space:  global
        .offset:         24
        .size:           8
        .value_kind:     global_buffer
      - .actual_access:  read_only
        .address_space:  global
        .offset:         32
        .size:           8
        .value_kind:     global_buffer
      - .actual_access:  read_only
        .address_space:  global
        .offset:         40
        .size:           8
        .value_kind:     global_buffer
      - .offset:         48
        .size:           8
        .value_kind:     by_value
      - .address_space:  global
        .offset:         56
        .size:           8
        .value_kind:     global_buffer
      - .offset:         64
        .size:           4
        .value_kind:     by_value
      - .offset:         68
        .size:           1
        .value_kind:     by_value
    .group_segment_fixed_size: 0
    .kernarg_segment_align: 8
    .kernarg_segment_size: 72
    .language:       OpenCL C
    .language_version:
      - 2
      - 0
    .max_flat_workgroup_size: 128
    .name:           _ZN9rocsparseL19gebsrmvn_2xn_kernelILj128ELj1ELj8EdEEvi20rocsparse_direction_NS_24const_host_device_scalarIT2_EEPKiS6_PKS3_S8_S4_PS3_21rocsparse_index_base_b
    .private_segment_fixed_size: 0
    .sgpr_count:     18
    .sgpr_spill_count: 0
    .symbol:         _ZN9rocsparseL19gebsrmvn_2xn_kernelILj128ELj1ELj8EdEEvi20rocsparse_direction_NS_24const_host_device_scalarIT2_EEPKiS6_PKS3_S8_S4_PS3_21rocsparse_index_base_b.kd
    .uniform_work_group_size: 1
    .uses_dynamic_stack: false
    .vgpr_count:     22
    .vgpr_spill_count: 0
    .wavefront_size: 32
    .workgroup_processor_mode: 1
  - .args:
      - .offset:         0
        .size:           4
        .value_kind:     by_value
      - .offset:         4
        .size:           4
        .value_kind:     by_value
      - .offset:         8
        .size:           8
        .value_kind:     by_value
      - .actual_access:  read_only
        .address_space:  global
        .offset:         16
        .size:           8
        .value_kind:     global_buffer
      - .actual_access:  read_only
        .address_space:  global
        .offset:         24
        .size:           8
        .value_kind:     global_buffer
      - .actual_access:  read_only
        .address_space:  global
        .offset:         32
        .size:           8
        .value_kind:     global_buffer
      - .actual_access:  read_only
        .address_space:  global
        .offset:         40
        .size:           8
        .value_kind:     global_buffer
      - .offset:         48
        .size:           8
        .value_kind:     by_value
      - .address_space:  global
        .offset:         56
        .size:           8
        .value_kind:     global_buffer
      - .offset:         64
        .size:           4
        .value_kind:     by_value
      - .offset:         68
        .size:           1
        .value_kind:     by_value
    .group_segment_fixed_size: 0
    .kernarg_segment_align: 8
    .kernarg_segment_size: 72
    .language:       OpenCL C
    .language_version:
      - 2
      - 0
    .max_flat_workgroup_size: 128
    .name:           _ZN9rocsparseL19gebsrmvn_2xn_kernelILj128ELj1ELj16EdEEvi20rocsparse_direction_NS_24const_host_device_scalarIT2_EEPKiS6_PKS3_S8_S4_PS3_21rocsparse_index_base_b
    .private_segment_fixed_size: 0
    .sgpr_count:     18
    .sgpr_spill_count: 0
    .symbol:         _ZN9rocsparseL19gebsrmvn_2xn_kernelILj128ELj1ELj16EdEEvi20rocsparse_direction_NS_24const_host_device_scalarIT2_EEPKiS6_PKS3_S8_S4_PS3_21rocsparse_index_base_b.kd
    .uniform_work_group_size: 1
    .uses_dynamic_stack: false
    .vgpr_count:     22
    .vgpr_spill_count: 0
    .wavefront_size: 32
    .workgroup_processor_mode: 1
  - .args:
      - .offset:         0
        .size:           4
        .value_kind:     by_value
      - .offset:         4
        .size:           4
        .value_kind:     by_value
      - .offset:         8
        .size:           8
        .value_kind:     by_value
      - .actual_access:  read_only
        .address_space:  global
        .offset:         16
        .size:           8
        .value_kind:     global_buffer
      - .actual_access:  read_only
        .address_space:  global
        .offset:         24
        .size:           8
        .value_kind:     global_buffer
      - .actual_access:  read_only
        .address_space:  global
        .offset:         32
        .size:           8
        .value_kind:     global_buffer
      - .actual_access:  read_only
        .address_space:  global
        .offset:         40
        .size:           8
        .value_kind:     global_buffer
      - .offset:         48
        .size:           8
        .value_kind:     by_value
      - .address_space:  global
        .offset:         56
        .size:           8
        .value_kind:     global_buffer
      - .offset:         64
        .size:           4
        .value_kind:     by_value
      - .offset:         68
        .size:           1
        .value_kind:     by_value
    .group_segment_fixed_size: 0
    .kernarg_segment_align: 8
    .kernarg_segment_size: 72
    .language:       OpenCL C
    .language_version:
      - 2
      - 0
    .max_flat_workgroup_size: 128
    .name:           _ZN9rocsparseL19gebsrmvn_2xn_kernelILj128ELj1ELj32EdEEvi20rocsparse_direction_NS_24const_host_device_scalarIT2_EEPKiS6_PKS3_S8_S4_PS3_21rocsparse_index_base_b
    .private_segment_fixed_size: 0
    .sgpr_count:     18
    .sgpr_spill_count: 0
    .symbol:         _ZN9rocsparseL19gebsrmvn_2xn_kernelILj128ELj1ELj32EdEEvi20rocsparse_direction_NS_24const_host_device_scalarIT2_EEPKiS6_PKS3_S8_S4_PS3_21rocsparse_index_base_b.kd
    .uniform_work_group_size: 1
    .uses_dynamic_stack: false
    .vgpr_count:     22
    .vgpr_spill_count: 0
    .wavefront_size: 32
    .workgroup_processor_mode: 1
  - .args:
      - .offset:         0
        .size:           4
        .value_kind:     by_value
      - .offset:         4
        .size:           4
        .value_kind:     by_value
      - .offset:         8
        .size:           8
        .value_kind:     by_value
      - .actual_access:  read_only
        .address_space:  global
        .offset:         16
        .size:           8
        .value_kind:     global_buffer
      - .actual_access:  read_only
        .address_space:  global
        .offset:         24
        .size:           8
        .value_kind:     global_buffer
      - .actual_access:  read_only
        .address_space:  global
        .offset:         32
        .size:           8
        .value_kind:     global_buffer
      - .actual_access:  read_only
        .address_space:  global
        .offset:         40
        .size:           8
        .value_kind:     global_buffer
      - .offset:         48
        .size:           8
        .value_kind:     by_value
      - .address_space:  global
        .offset:         56
        .size:           8
        .value_kind:     global_buffer
      - .offset:         64
        .size:           4
        .value_kind:     by_value
      - .offset:         68
        .size:           1
        .value_kind:     by_value
    .group_segment_fixed_size: 0
    .kernarg_segment_align: 8
    .kernarg_segment_size: 72
    .language:       OpenCL C
    .language_version:
      - 2
      - 0
    .max_flat_workgroup_size: 128
    .name:           _ZN9rocsparseL19gebsrmvn_2xn_kernelILj128ELj1ELj64EdEEvi20rocsparse_direction_NS_24const_host_device_scalarIT2_EEPKiS6_PKS3_S8_S4_PS3_21rocsparse_index_base_b
    .private_segment_fixed_size: 0
    .sgpr_count:     18
    .sgpr_spill_count: 0
    .symbol:         _ZN9rocsparseL19gebsrmvn_2xn_kernelILj128ELj1ELj64EdEEvi20rocsparse_direction_NS_24const_host_device_scalarIT2_EEPKiS6_PKS3_S8_S4_PS3_21rocsparse_index_base_b.kd
    .uniform_work_group_size: 1
    .uses_dynamic_stack: false
    .vgpr_count:     22
    .vgpr_spill_count: 0
    .wavefront_size: 32
    .workgroup_processor_mode: 1
  - .args:
      - .offset:         0
        .size:           4
        .value_kind:     by_value
      - .offset:         4
        .size:           4
        .value_kind:     by_value
      - .offset:         8
        .size:           8
        .value_kind:     by_value
      - .actual_access:  read_only
        .address_space:  global
        .offset:         16
        .size:           8
        .value_kind:     global_buffer
      - .actual_access:  read_only
        .address_space:  global
        .offset:         24
        .size:           8
        .value_kind:     global_buffer
      - .actual_access:  read_only
        .address_space:  global
        .offset:         32
        .size:           8
        .value_kind:     global_buffer
      - .actual_access:  read_only
        .address_space:  global
        .offset:         40
        .size:           8
        .value_kind:     global_buffer
      - .offset:         48
        .size:           8
        .value_kind:     by_value
      - .address_space:  global
        .offset:         56
        .size:           8
        .value_kind:     global_buffer
      - .offset:         64
        .size:           4
        .value_kind:     by_value
      - .offset:         68
        .size:           1
        .value_kind:     by_value
    .group_segment_fixed_size: 0
    .kernarg_segment_align: 8
    .kernarg_segment_size: 72
    .language:       OpenCL C
    .language_version:
      - 2
      - 0
    .max_flat_workgroup_size: 128
    .name:           _ZN9rocsparseL19gebsrmvn_2xn_kernelILj128ELj3ELj4EdEEvi20rocsparse_direction_NS_24const_host_device_scalarIT2_EEPKiS6_PKS3_S8_S4_PS3_21rocsparse_index_base_b
    .private_segment_fixed_size: 0
    .sgpr_count:     18
    .sgpr_spill_count: 0
    .symbol:         _ZN9rocsparseL19gebsrmvn_2xn_kernelILj128ELj3ELj4EdEEvi20rocsparse_direction_NS_24const_host_device_scalarIT2_EEPKiS6_PKS3_S8_S4_PS3_21rocsparse_index_base_b.kd
    .uniform_work_group_size: 1
    .uses_dynamic_stack: false
    .vgpr_count:     36
    .vgpr_spill_count: 0
    .wavefront_size: 32
    .workgroup_processor_mode: 1
  - .args:
      - .offset:         0
        .size:           4
        .value_kind:     by_value
      - .offset:         4
        .size:           4
        .value_kind:     by_value
      - .offset:         8
        .size:           8
        .value_kind:     by_value
      - .actual_access:  read_only
        .address_space:  global
        .offset:         16
        .size:           8
        .value_kind:     global_buffer
      - .actual_access:  read_only
        .address_space:  global
        .offset:         24
        .size:           8
        .value_kind:     global_buffer
      - .actual_access:  read_only
        .address_space:  global
        .offset:         32
        .size:           8
        .value_kind:     global_buffer
      - .actual_access:  read_only
        .address_space:  global
        .offset:         40
        .size:           8
        .value_kind:     global_buffer
      - .offset:         48
        .size:           8
        .value_kind:     by_value
      - .address_space:  global
        .offset:         56
        .size:           8
        .value_kind:     global_buffer
      - .offset:         64
        .size:           4
        .value_kind:     by_value
      - .offset:         68
        .size:           1
        .value_kind:     by_value
    .group_segment_fixed_size: 0
    .kernarg_segment_align: 8
    .kernarg_segment_size: 72
    .language:       OpenCL C
    .language_version:
      - 2
      - 0
    .max_flat_workgroup_size: 128
    .name:           _ZN9rocsparseL19gebsrmvn_2xn_kernelILj128ELj3ELj8EdEEvi20rocsparse_direction_NS_24const_host_device_scalarIT2_EEPKiS6_PKS3_S8_S4_PS3_21rocsparse_index_base_b
    .private_segment_fixed_size: 0
    .sgpr_count:     18
    .sgpr_spill_count: 0
    .symbol:         _ZN9rocsparseL19gebsrmvn_2xn_kernelILj128ELj3ELj8EdEEvi20rocsparse_direction_NS_24const_host_device_scalarIT2_EEPKiS6_PKS3_S8_S4_PS3_21rocsparse_index_base_b.kd
    .uniform_work_group_size: 1
    .uses_dynamic_stack: false
    .vgpr_count:     35
    .vgpr_spill_count: 0
    .wavefront_size: 32
    .workgroup_processor_mode: 1
  - .args:
      - .offset:         0
        .size:           4
        .value_kind:     by_value
      - .offset:         4
        .size:           4
        .value_kind:     by_value
      - .offset:         8
        .size:           8
        .value_kind:     by_value
      - .actual_access:  read_only
        .address_space:  global
        .offset:         16
        .size:           8
        .value_kind:     global_buffer
      - .actual_access:  read_only
        .address_space:  global
        .offset:         24
        .size:           8
        .value_kind:     global_buffer
      - .actual_access:  read_only
        .address_space:  global
        .offset:         32
        .size:           8
        .value_kind:     global_buffer
      - .actual_access:  read_only
        .address_space:  global
        .offset:         40
        .size:           8
        .value_kind:     global_buffer
      - .offset:         48
        .size:           8
        .value_kind:     by_value
      - .address_space:  global
        .offset:         56
        .size:           8
        .value_kind:     global_buffer
      - .offset:         64
        .size:           4
        .value_kind:     by_value
      - .offset:         68
        .size:           1
        .value_kind:     by_value
    .group_segment_fixed_size: 0
    .kernarg_segment_align: 8
    .kernarg_segment_size: 72
    .language:       OpenCL C
    .language_version:
      - 2
      - 0
    .max_flat_workgroup_size: 128
    .name:           _ZN9rocsparseL19gebsrmvn_2xn_kernelILj128ELj3ELj16EdEEvi20rocsparse_direction_NS_24const_host_device_scalarIT2_EEPKiS6_PKS3_S8_S4_PS3_21rocsparse_index_base_b
    .private_segment_fixed_size: 0
    .sgpr_count:     18
    .sgpr_spill_count: 0
    .symbol:         _ZN9rocsparseL19gebsrmvn_2xn_kernelILj128ELj3ELj16EdEEvi20rocsparse_direction_NS_24const_host_device_scalarIT2_EEPKiS6_PKS3_S8_S4_PS3_21rocsparse_index_base_b.kd
    .uniform_work_group_size: 1
    .uses_dynamic_stack: false
    .vgpr_count:     35
    .vgpr_spill_count: 0
    .wavefront_size: 32
    .workgroup_processor_mode: 1
  - .args:
      - .offset:         0
        .size:           4
        .value_kind:     by_value
      - .offset:         4
        .size:           4
        .value_kind:     by_value
      - .offset:         8
        .size:           8
        .value_kind:     by_value
      - .actual_access:  read_only
        .address_space:  global
        .offset:         16
        .size:           8
        .value_kind:     global_buffer
      - .actual_access:  read_only
        .address_space:  global
        .offset:         24
        .size:           8
        .value_kind:     global_buffer
      - .actual_access:  read_only
        .address_space:  global
        .offset:         32
        .size:           8
        .value_kind:     global_buffer
      - .actual_access:  read_only
        .address_space:  global
        .offset:         40
        .size:           8
        .value_kind:     global_buffer
      - .offset:         48
        .size:           8
        .value_kind:     by_value
      - .address_space:  global
        .offset:         56
        .size:           8
        .value_kind:     global_buffer
      - .offset:         64
        .size:           4
        .value_kind:     by_value
      - .offset:         68
        .size:           1
        .value_kind:     by_value
    .group_segment_fixed_size: 0
    .kernarg_segment_align: 8
    .kernarg_segment_size: 72
    .language:       OpenCL C
    .language_version:
      - 2
      - 0
    .max_flat_workgroup_size: 128
    .name:           _ZN9rocsparseL19gebsrmvn_2xn_kernelILj128ELj3ELj32EdEEvi20rocsparse_direction_NS_24const_host_device_scalarIT2_EEPKiS6_PKS3_S8_S4_PS3_21rocsparse_index_base_b
    .private_segment_fixed_size: 0
    .sgpr_count:     18
    .sgpr_spill_count: 0
    .symbol:         _ZN9rocsparseL19gebsrmvn_2xn_kernelILj128ELj3ELj32EdEEvi20rocsparse_direction_NS_24const_host_device_scalarIT2_EEPKiS6_PKS3_S8_S4_PS3_21rocsparse_index_base_b.kd
    .uniform_work_group_size: 1
    .uses_dynamic_stack: false
    .vgpr_count:     35
    .vgpr_spill_count: 0
    .wavefront_size: 32
    .workgroup_processor_mode: 1
  - .args:
      - .offset:         0
        .size:           4
        .value_kind:     by_value
      - .offset:         4
        .size:           4
        .value_kind:     by_value
      - .offset:         8
        .size:           8
        .value_kind:     by_value
      - .actual_access:  read_only
        .address_space:  global
        .offset:         16
        .size:           8
        .value_kind:     global_buffer
      - .actual_access:  read_only
        .address_space:  global
        .offset:         24
        .size:           8
        .value_kind:     global_buffer
      - .actual_access:  read_only
        .address_space:  global
        .offset:         32
        .size:           8
        .value_kind:     global_buffer
      - .actual_access:  read_only
        .address_space:  global
        .offset:         40
        .size:           8
        .value_kind:     global_buffer
      - .offset:         48
        .size:           8
        .value_kind:     by_value
      - .address_space:  global
        .offset:         56
        .size:           8
        .value_kind:     global_buffer
      - .offset:         64
        .size:           4
        .value_kind:     by_value
      - .offset:         68
        .size:           1
        .value_kind:     by_value
    .group_segment_fixed_size: 0
    .kernarg_segment_align: 8
    .kernarg_segment_size: 72
    .language:       OpenCL C
    .language_version:
      - 2
      - 0
    .max_flat_workgroup_size: 128
    .name:           _ZN9rocsparseL19gebsrmvn_2xn_kernelILj128ELj3ELj64EdEEvi20rocsparse_direction_NS_24const_host_device_scalarIT2_EEPKiS6_PKS3_S8_S4_PS3_21rocsparse_index_base_b
    .private_segment_fixed_size: 0
    .sgpr_count:     18
    .sgpr_spill_count: 0
    .symbol:         _ZN9rocsparseL19gebsrmvn_2xn_kernelILj128ELj3ELj64EdEEvi20rocsparse_direction_NS_24const_host_device_scalarIT2_EEPKiS6_PKS3_S8_S4_PS3_21rocsparse_index_base_b.kd
    .uniform_work_group_size: 1
    .uses_dynamic_stack: false
    .vgpr_count:     35
    .vgpr_spill_count: 0
    .wavefront_size: 32
    .workgroup_processor_mode: 1
  - .args:
      - .offset:         0
        .size:           4
        .value_kind:     by_value
      - .offset:         4
        .size:           4
        .value_kind:     by_value
      - .offset:         8
        .size:           8
        .value_kind:     by_value
      - .actual_access:  read_only
        .address_space:  global
        .offset:         16
        .size:           8
        .value_kind:     global_buffer
      - .actual_access:  read_only
        .address_space:  global
        .offset:         24
        .size:           8
        .value_kind:     global_buffer
      - .actual_access:  read_only
        .address_space:  global
        .offset:         32
        .size:           8
        .value_kind:     global_buffer
      - .actual_access:  read_only
        .address_space:  global
        .offset:         40
        .size:           8
        .value_kind:     global_buffer
      - .offset:         48
        .size:           8
        .value_kind:     by_value
      - .address_space:  global
        .offset:         56
        .size:           8
        .value_kind:     global_buffer
      - .offset:         64
        .size:           4
        .value_kind:     by_value
      - .offset:         68
        .size:           1
        .value_kind:     by_value
    .group_segment_fixed_size: 0
    .kernarg_segment_align: 8
    .kernarg_segment_size: 72
    .language:       OpenCL C
    .language_version:
      - 2
      - 0
    .max_flat_workgroup_size: 128
    .name:           _ZN9rocsparseL19gebsrmvn_2xn_kernelILj128ELj4ELj4EdEEvi20rocsparse_direction_NS_24const_host_device_scalarIT2_EEPKiS6_PKS3_S8_S4_PS3_21rocsparse_index_base_b
    .private_segment_fixed_size: 0
    .sgpr_count:     18
    .sgpr_spill_count: 0
    .symbol:         _ZN9rocsparseL19gebsrmvn_2xn_kernelILj128ELj4ELj4EdEEvi20rocsparse_direction_NS_24const_host_device_scalarIT2_EEPKiS6_PKS3_S8_S4_PS3_21rocsparse_index_base_b.kd
    .uniform_work_group_size: 1
    .uses_dynamic_stack: false
    .vgpr_count:     41
    .vgpr_spill_count: 0
    .wavefront_size: 32
    .workgroup_processor_mode: 1
  - .args:
      - .offset:         0
        .size:           4
        .value_kind:     by_value
      - .offset:         4
        .size:           4
        .value_kind:     by_value
      - .offset:         8
        .size:           8
        .value_kind:     by_value
      - .actual_access:  read_only
        .address_space:  global
        .offset:         16
        .size:           8
        .value_kind:     global_buffer
      - .actual_access:  read_only
        .address_space:  global
        .offset:         24
        .size:           8
        .value_kind:     global_buffer
      - .actual_access:  read_only
        .address_space:  global
        .offset:         32
        .size:           8
        .value_kind:     global_buffer
      - .actual_access:  read_only
        .address_space:  global
        .offset:         40
        .size:           8
        .value_kind:     global_buffer
      - .offset:         48
        .size:           8
        .value_kind:     by_value
      - .address_space:  global
        .offset:         56
        .size:           8
        .value_kind:     global_buffer
      - .offset:         64
        .size:           4
        .value_kind:     by_value
      - .offset:         68
        .size:           1
        .value_kind:     by_value
    .group_segment_fixed_size: 0
    .kernarg_segment_align: 8
    .kernarg_segment_size: 72
    .language:       OpenCL C
    .language_version:
      - 2
      - 0
    .max_flat_workgroup_size: 128
    .name:           _ZN9rocsparseL19gebsrmvn_2xn_kernelILj128ELj4ELj8EdEEvi20rocsparse_direction_NS_24const_host_device_scalarIT2_EEPKiS6_PKS3_S8_S4_PS3_21rocsparse_index_base_b
    .private_segment_fixed_size: 0
    .sgpr_count:     18
    .sgpr_spill_count: 0
    .symbol:         _ZN9rocsparseL19gebsrmvn_2xn_kernelILj128ELj4ELj8EdEEvi20rocsparse_direction_NS_24const_host_device_scalarIT2_EEPKiS6_PKS3_S8_S4_PS3_21rocsparse_index_base_b.kd
    .uniform_work_group_size: 1
    .uses_dynamic_stack: false
    .vgpr_count:     41
    .vgpr_spill_count: 0
    .wavefront_size: 32
    .workgroup_processor_mode: 1
  - .args:
      - .offset:         0
        .size:           4
        .value_kind:     by_value
      - .offset:         4
        .size:           4
        .value_kind:     by_value
      - .offset:         8
        .size:           8
        .value_kind:     by_value
      - .actual_access:  read_only
        .address_space:  global
        .offset:         16
        .size:           8
        .value_kind:     global_buffer
      - .actual_access:  read_only
        .address_space:  global
        .offset:         24
        .size:           8
        .value_kind:     global_buffer
      - .actual_access:  read_only
        .address_space:  global
        .offset:         32
        .size:           8
        .value_kind:     global_buffer
      - .actual_access:  read_only
        .address_space:  global
        .offset:         40
        .size:           8
        .value_kind:     global_buffer
      - .offset:         48
        .size:           8
        .value_kind:     by_value
      - .address_space:  global
        .offset:         56
        .size:           8
        .value_kind:     global_buffer
      - .offset:         64
        .size:           4
        .value_kind:     by_value
      - .offset:         68
        .size:           1
        .value_kind:     by_value
    .group_segment_fixed_size: 0
    .kernarg_segment_align: 8
    .kernarg_segment_size: 72
    .language:       OpenCL C
    .language_version:
      - 2
      - 0
    .max_flat_workgroup_size: 128
    .name:           _ZN9rocsparseL19gebsrmvn_2xn_kernelILj128ELj4ELj16EdEEvi20rocsparse_direction_NS_24const_host_device_scalarIT2_EEPKiS6_PKS3_S8_S4_PS3_21rocsparse_index_base_b
    .private_segment_fixed_size: 0
    .sgpr_count:     18
    .sgpr_spill_count: 0
    .symbol:         _ZN9rocsparseL19gebsrmvn_2xn_kernelILj128ELj4ELj16EdEEvi20rocsparse_direction_NS_24const_host_device_scalarIT2_EEPKiS6_PKS3_S8_S4_PS3_21rocsparse_index_base_b.kd
    .uniform_work_group_size: 1
    .uses_dynamic_stack: false
    .vgpr_count:     40
    .vgpr_spill_count: 0
    .wavefront_size: 32
    .workgroup_processor_mode: 1
  - .args:
      - .offset:         0
        .size:           4
        .value_kind:     by_value
      - .offset:         4
        .size:           4
        .value_kind:     by_value
      - .offset:         8
        .size:           8
        .value_kind:     by_value
      - .actual_access:  read_only
        .address_space:  global
        .offset:         16
        .size:           8
        .value_kind:     global_buffer
      - .actual_access:  read_only
        .address_space:  global
        .offset:         24
        .size:           8
        .value_kind:     global_buffer
      - .actual_access:  read_only
        .address_space:  global
        .offset:         32
        .size:           8
        .value_kind:     global_buffer
      - .actual_access:  read_only
        .address_space:  global
        .offset:         40
        .size:           8
        .value_kind:     global_buffer
      - .offset:         48
        .size:           8
        .value_kind:     by_value
      - .address_space:  global
        .offset:         56
        .size:           8
        .value_kind:     global_buffer
      - .offset:         64
        .size:           4
        .value_kind:     by_value
      - .offset:         68
        .size:           1
        .value_kind:     by_value
    .group_segment_fixed_size: 0
    .kernarg_segment_align: 8
    .kernarg_segment_size: 72
    .language:       OpenCL C
    .language_version:
      - 2
      - 0
    .max_flat_workgroup_size: 128
    .name:           _ZN9rocsparseL19gebsrmvn_2xn_kernelILj128ELj4ELj32EdEEvi20rocsparse_direction_NS_24const_host_device_scalarIT2_EEPKiS6_PKS3_S8_S4_PS3_21rocsparse_index_base_b
    .private_segment_fixed_size: 0
    .sgpr_count:     18
    .sgpr_spill_count: 0
    .symbol:         _ZN9rocsparseL19gebsrmvn_2xn_kernelILj128ELj4ELj32EdEEvi20rocsparse_direction_NS_24const_host_device_scalarIT2_EEPKiS6_PKS3_S8_S4_PS3_21rocsparse_index_base_b.kd
    .uniform_work_group_size: 1
    .uses_dynamic_stack: false
    .vgpr_count:     40
    .vgpr_spill_count: 0
    .wavefront_size: 32
    .workgroup_processor_mode: 1
  - .args:
      - .offset:         0
        .size:           4
        .value_kind:     by_value
      - .offset:         4
        .size:           4
        .value_kind:     by_value
      - .offset:         8
        .size:           8
        .value_kind:     by_value
      - .actual_access:  read_only
        .address_space:  global
        .offset:         16
        .size:           8
        .value_kind:     global_buffer
      - .actual_access:  read_only
        .address_space:  global
        .offset:         24
        .size:           8
        .value_kind:     global_buffer
      - .actual_access:  read_only
        .address_space:  global
        .offset:         32
        .size:           8
        .value_kind:     global_buffer
      - .actual_access:  read_only
        .address_space:  global
        .offset:         40
        .size:           8
        .value_kind:     global_buffer
      - .offset:         48
        .size:           8
        .value_kind:     by_value
      - .address_space:  global
        .offset:         56
        .size:           8
        .value_kind:     global_buffer
      - .offset:         64
        .size:           4
        .value_kind:     by_value
      - .offset:         68
        .size:           1
        .value_kind:     by_value
    .group_segment_fixed_size: 0
    .kernarg_segment_align: 8
    .kernarg_segment_size: 72
    .language:       OpenCL C
    .language_version:
      - 2
      - 0
    .max_flat_workgroup_size: 128
    .name:           _ZN9rocsparseL19gebsrmvn_2xn_kernelILj128ELj4ELj64EdEEvi20rocsparse_direction_NS_24const_host_device_scalarIT2_EEPKiS6_PKS3_S8_S4_PS3_21rocsparse_index_base_b
    .private_segment_fixed_size: 0
    .sgpr_count:     18
    .sgpr_spill_count: 0
    .symbol:         _ZN9rocsparseL19gebsrmvn_2xn_kernelILj128ELj4ELj64EdEEvi20rocsparse_direction_NS_24const_host_device_scalarIT2_EEPKiS6_PKS3_S8_S4_PS3_21rocsparse_index_base_b.kd
    .uniform_work_group_size: 1
    .uses_dynamic_stack: false
    .vgpr_count:     40
    .vgpr_spill_count: 0
    .wavefront_size: 32
    .workgroup_processor_mode: 1
  - .args:
      - .offset:         0
        .size:           4
        .value_kind:     by_value
      - .offset:         4
        .size:           4
        .value_kind:     by_value
      - .offset:         8
        .size:           8
        .value_kind:     by_value
      - .actual_access:  read_only
        .address_space:  global
        .offset:         16
        .size:           8
        .value_kind:     global_buffer
      - .actual_access:  read_only
        .address_space:  global
        .offset:         24
        .size:           8
        .value_kind:     global_buffer
      - .actual_access:  read_only
        .address_space:  global
        .offset:         32
        .size:           8
        .value_kind:     global_buffer
      - .actual_access:  read_only
        .address_space:  global
        .offset:         40
        .size:           8
        .value_kind:     global_buffer
      - .offset:         48
        .size:           8
        .value_kind:     by_value
      - .address_space:  global
        .offset:         56
        .size:           8
        .value_kind:     global_buffer
      - .offset:         64
        .size:           4
        .value_kind:     by_value
      - .offset:         68
        .size:           1
        .value_kind:     by_value
    .group_segment_fixed_size: 0
    .kernarg_segment_align: 8
    .kernarg_segment_size: 72
    .language:       OpenCL C
    .language_version:
      - 2
      - 0
    .max_flat_workgroup_size: 128
    .name:           _ZN9rocsparseL19gebsrmvn_2xn_kernelILj128ELj5ELj4EdEEvi20rocsparse_direction_NS_24const_host_device_scalarIT2_EEPKiS6_PKS3_S8_S4_PS3_21rocsparse_index_base_b
    .private_segment_fixed_size: 0
    .sgpr_count:     18
    .sgpr_spill_count: 0
    .symbol:         _ZN9rocsparseL19gebsrmvn_2xn_kernelILj128ELj5ELj4EdEEvi20rocsparse_direction_NS_24const_host_device_scalarIT2_EEPKiS6_PKS3_S8_S4_PS3_21rocsparse_index_base_b.kd
    .uniform_work_group_size: 1
    .uses_dynamic_stack: false
    .vgpr_count:     48
    .vgpr_spill_count: 0
    .wavefront_size: 32
    .workgroup_processor_mode: 1
  - .args:
      - .offset:         0
        .size:           4
        .value_kind:     by_value
      - .offset:         4
        .size:           4
        .value_kind:     by_value
      - .offset:         8
        .size:           8
        .value_kind:     by_value
      - .actual_access:  read_only
        .address_space:  global
        .offset:         16
        .size:           8
        .value_kind:     global_buffer
      - .actual_access:  read_only
        .address_space:  global
        .offset:         24
        .size:           8
        .value_kind:     global_buffer
      - .actual_access:  read_only
        .address_space:  global
        .offset:         32
        .size:           8
        .value_kind:     global_buffer
      - .actual_access:  read_only
        .address_space:  global
        .offset:         40
        .size:           8
        .value_kind:     global_buffer
      - .offset:         48
        .size:           8
        .value_kind:     by_value
      - .address_space:  global
        .offset:         56
        .size:           8
        .value_kind:     global_buffer
      - .offset:         64
        .size:           4
        .value_kind:     by_value
      - .offset:         68
        .size:           1
        .value_kind:     by_value
    .group_segment_fixed_size: 0
    .kernarg_segment_align: 8
    .kernarg_segment_size: 72
    .language:       OpenCL C
    .language_version:
      - 2
      - 0
    .max_flat_workgroup_size: 128
    .name:           _ZN9rocsparseL19gebsrmvn_2xn_kernelILj128ELj5ELj8EdEEvi20rocsparse_direction_NS_24const_host_device_scalarIT2_EEPKiS6_PKS3_S8_S4_PS3_21rocsparse_index_base_b
    .private_segment_fixed_size: 0
    .sgpr_count:     18
    .sgpr_spill_count: 0
    .symbol:         _ZN9rocsparseL19gebsrmvn_2xn_kernelILj128ELj5ELj8EdEEvi20rocsparse_direction_NS_24const_host_device_scalarIT2_EEPKiS6_PKS3_S8_S4_PS3_21rocsparse_index_base_b.kd
    .uniform_work_group_size: 1
    .uses_dynamic_stack: false
    .vgpr_count:     48
    .vgpr_spill_count: 0
    .wavefront_size: 32
    .workgroup_processor_mode: 1
  - .args:
      - .offset:         0
        .size:           4
        .value_kind:     by_value
      - .offset:         4
        .size:           4
        .value_kind:     by_value
      - .offset:         8
        .size:           8
        .value_kind:     by_value
      - .actual_access:  read_only
        .address_space:  global
        .offset:         16
        .size:           8
        .value_kind:     global_buffer
      - .actual_access:  read_only
        .address_space:  global
        .offset:         24
        .size:           8
        .value_kind:     global_buffer
      - .actual_access:  read_only
        .address_space:  global
        .offset:         32
        .size:           8
        .value_kind:     global_buffer
      - .actual_access:  read_only
        .address_space:  global
        .offset:         40
        .size:           8
        .value_kind:     global_buffer
      - .offset:         48
        .size:           8
        .value_kind:     by_value
      - .address_space:  global
        .offset:         56
        .size:           8
        .value_kind:     global_buffer
      - .offset:         64
        .size:           4
        .value_kind:     by_value
      - .offset:         68
        .size:           1
        .value_kind:     by_value
    .group_segment_fixed_size: 0
    .kernarg_segment_align: 8
    .kernarg_segment_size: 72
    .language:       OpenCL C
    .language_version:
      - 2
      - 0
    .max_flat_workgroup_size: 128
    .name:           _ZN9rocsparseL19gebsrmvn_2xn_kernelILj128ELj5ELj16EdEEvi20rocsparse_direction_NS_24const_host_device_scalarIT2_EEPKiS6_PKS3_S8_S4_PS3_21rocsparse_index_base_b
    .private_segment_fixed_size: 0
    .sgpr_count:     18
    .sgpr_spill_count: 0
    .symbol:         _ZN9rocsparseL19gebsrmvn_2xn_kernelILj128ELj5ELj16EdEEvi20rocsparse_direction_NS_24const_host_device_scalarIT2_EEPKiS6_PKS3_S8_S4_PS3_21rocsparse_index_base_b.kd
    .uniform_work_group_size: 1
    .uses_dynamic_stack: false
    .vgpr_count:     48
    .vgpr_spill_count: 0
    .wavefront_size: 32
    .workgroup_processor_mode: 1
  - .args:
      - .offset:         0
        .size:           4
        .value_kind:     by_value
      - .offset:         4
        .size:           4
        .value_kind:     by_value
      - .offset:         8
        .size:           8
        .value_kind:     by_value
      - .actual_access:  read_only
        .address_space:  global
        .offset:         16
        .size:           8
        .value_kind:     global_buffer
      - .actual_access:  read_only
        .address_space:  global
        .offset:         24
        .size:           8
        .value_kind:     global_buffer
      - .actual_access:  read_only
        .address_space:  global
        .offset:         32
        .size:           8
        .value_kind:     global_buffer
      - .actual_access:  read_only
        .address_space:  global
        .offset:         40
        .size:           8
        .value_kind:     global_buffer
      - .offset:         48
        .size:           8
        .value_kind:     by_value
      - .address_space:  global
        .offset:         56
        .size:           8
        .value_kind:     global_buffer
      - .offset:         64
        .size:           4
        .value_kind:     by_value
      - .offset:         68
        .size:           1
        .value_kind:     by_value
    .group_segment_fixed_size: 0
    .kernarg_segment_align: 8
    .kernarg_segment_size: 72
    .language:       OpenCL C
    .language_version:
      - 2
      - 0
    .max_flat_workgroup_size: 128
    .name:           _ZN9rocsparseL19gebsrmvn_2xn_kernelILj128ELj5ELj32EdEEvi20rocsparse_direction_NS_24const_host_device_scalarIT2_EEPKiS6_PKS3_S8_S4_PS3_21rocsparse_index_base_b
    .private_segment_fixed_size: 0
    .sgpr_count:     18
    .sgpr_spill_count: 0
    .symbol:         _ZN9rocsparseL19gebsrmvn_2xn_kernelILj128ELj5ELj32EdEEvi20rocsparse_direction_NS_24const_host_device_scalarIT2_EEPKiS6_PKS3_S8_S4_PS3_21rocsparse_index_base_b.kd
    .uniform_work_group_size: 1
    .uses_dynamic_stack: false
    .vgpr_count:     48
    .vgpr_spill_count: 0
    .wavefront_size: 32
    .workgroup_processor_mode: 1
  - .args:
      - .offset:         0
        .size:           4
        .value_kind:     by_value
      - .offset:         4
        .size:           4
        .value_kind:     by_value
      - .offset:         8
        .size:           8
        .value_kind:     by_value
      - .actual_access:  read_only
        .address_space:  global
        .offset:         16
        .size:           8
        .value_kind:     global_buffer
      - .actual_access:  read_only
        .address_space:  global
        .offset:         24
        .size:           8
        .value_kind:     global_buffer
      - .actual_access:  read_only
        .address_space:  global
        .offset:         32
        .size:           8
        .value_kind:     global_buffer
      - .actual_access:  read_only
        .address_space:  global
        .offset:         40
        .size:           8
        .value_kind:     global_buffer
      - .offset:         48
        .size:           8
        .value_kind:     by_value
      - .address_space:  global
        .offset:         56
        .size:           8
        .value_kind:     global_buffer
      - .offset:         64
        .size:           4
        .value_kind:     by_value
      - .offset:         68
        .size:           1
        .value_kind:     by_value
    .group_segment_fixed_size: 0
    .kernarg_segment_align: 8
    .kernarg_segment_size: 72
    .language:       OpenCL C
    .language_version:
      - 2
      - 0
    .max_flat_workgroup_size: 128
    .name:           _ZN9rocsparseL19gebsrmvn_2xn_kernelILj128ELj5ELj64EdEEvi20rocsparse_direction_NS_24const_host_device_scalarIT2_EEPKiS6_PKS3_S8_S4_PS3_21rocsparse_index_base_b
    .private_segment_fixed_size: 0
    .sgpr_count:     18
    .sgpr_spill_count: 0
    .symbol:         _ZN9rocsparseL19gebsrmvn_2xn_kernelILj128ELj5ELj64EdEEvi20rocsparse_direction_NS_24const_host_device_scalarIT2_EEPKiS6_PKS3_S8_S4_PS3_21rocsparse_index_base_b.kd
    .uniform_work_group_size: 1
    .uses_dynamic_stack: false
    .vgpr_count:     48
    .vgpr_spill_count: 0
    .wavefront_size: 32
    .workgroup_processor_mode: 1
  - .args:
      - .offset:         0
        .size:           4
        .value_kind:     by_value
      - .offset:         4
        .size:           4
        .value_kind:     by_value
      - .offset:         8
        .size:           8
        .value_kind:     by_value
      - .actual_access:  read_only
        .address_space:  global
        .offset:         16
        .size:           8
        .value_kind:     global_buffer
      - .actual_access:  read_only
        .address_space:  global
        .offset:         24
        .size:           8
        .value_kind:     global_buffer
      - .actual_access:  read_only
        .address_space:  global
        .offset:         32
        .size:           8
        .value_kind:     global_buffer
      - .actual_access:  read_only
        .address_space:  global
        .offset:         40
        .size:           8
        .value_kind:     global_buffer
      - .offset:         48
        .size:           8
        .value_kind:     by_value
      - .address_space:  global
        .offset:         56
        .size:           8
        .value_kind:     global_buffer
      - .offset:         64
        .size:           4
        .value_kind:     by_value
      - .offset:         68
        .size:           1
        .value_kind:     by_value
    .group_segment_fixed_size: 0
    .kernarg_segment_align: 8
    .kernarg_segment_size: 72
    .language:       OpenCL C
    .language_version:
      - 2
      - 0
    .max_flat_workgroup_size: 128
    .name:           _ZN9rocsparseL19gebsrmvn_2xn_kernelILj128ELj6ELj4EdEEvi20rocsparse_direction_NS_24const_host_device_scalarIT2_EEPKiS6_PKS3_S8_S4_PS3_21rocsparse_index_base_b
    .private_segment_fixed_size: 0
    .sgpr_count:     18
    .sgpr_spill_count: 0
    .symbol:         _ZN9rocsparseL19gebsrmvn_2xn_kernelILj128ELj6ELj4EdEEvi20rocsparse_direction_NS_24const_host_device_scalarIT2_EEPKiS6_PKS3_S8_S4_PS3_21rocsparse_index_base_b.kd
    .uniform_work_group_size: 1
    .uses_dynamic_stack: false
    .vgpr_count:     54
    .vgpr_spill_count: 0
    .wavefront_size: 32
    .workgroup_processor_mode: 1
  - .args:
      - .offset:         0
        .size:           4
        .value_kind:     by_value
      - .offset:         4
        .size:           4
        .value_kind:     by_value
      - .offset:         8
        .size:           8
        .value_kind:     by_value
      - .actual_access:  read_only
        .address_space:  global
        .offset:         16
        .size:           8
        .value_kind:     global_buffer
      - .actual_access:  read_only
        .address_space:  global
        .offset:         24
        .size:           8
        .value_kind:     global_buffer
      - .actual_access:  read_only
        .address_space:  global
        .offset:         32
        .size:           8
        .value_kind:     global_buffer
      - .actual_access:  read_only
        .address_space:  global
        .offset:         40
        .size:           8
        .value_kind:     global_buffer
      - .offset:         48
        .size:           8
        .value_kind:     by_value
      - .address_space:  global
        .offset:         56
        .size:           8
        .value_kind:     global_buffer
      - .offset:         64
        .size:           4
        .value_kind:     by_value
      - .offset:         68
        .size:           1
        .value_kind:     by_value
    .group_segment_fixed_size: 0
    .kernarg_segment_align: 8
    .kernarg_segment_size: 72
    .language:       OpenCL C
    .language_version:
      - 2
      - 0
    .max_flat_workgroup_size: 128
    .name:           _ZN9rocsparseL19gebsrmvn_2xn_kernelILj128ELj6ELj8EdEEvi20rocsparse_direction_NS_24const_host_device_scalarIT2_EEPKiS6_PKS3_S8_S4_PS3_21rocsparse_index_base_b
    .private_segment_fixed_size: 0
    .sgpr_count:     18
    .sgpr_spill_count: 0
    .symbol:         _ZN9rocsparseL19gebsrmvn_2xn_kernelILj128ELj6ELj8EdEEvi20rocsparse_direction_NS_24const_host_device_scalarIT2_EEPKiS6_PKS3_S8_S4_PS3_21rocsparse_index_base_b.kd
    .uniform_work_group_size: 1
    .uses_dynamic_stack: false
    .vgpr_count:     54
    .vgpr_spill_count: 0
    .wavefront_size: 32
    .workgroup_processor_mode: 1
  - .args:
      - .offset:         0
        .size:           4
        .value_kind:     by_value
      - .offset:         4
        .size:           4
        .value_kind:     by_value
      - .offset:         8
        .size:           8
        .value_kind:     by_value
      - .actual_access:  read_only
        .address_space:  global
        .offset:         16
        .size:           8
        .value_kind:     global_buffer
      - .actual_access:  read_only
        .address_space:  global
        .offset:         24
        .size:           8
        .value_kind:     global_buffer
      - .actual_access:  read_only
        .address_space:  global
        .offset:         32
        .size:           8
        .value_kind:     global_buffer
      - .actual_access:  read_only
        .address_space:  global
        .offset:         40
        .size:           8
        .value_kind:     global_buffer
      - .offset:         48
        .size:           8
        .value_kind:     by_value
      - .address_space:  global
        .offset:         56
        .size:           8
        .value_kind:     global_buffer
      - .offset:         64
        .size:           4
        .value_kind:     by_value
      - .offset:         68
        .size:           1
        .value_kind:     by_value
    .group_segment_fixed_size: 0
    .kernarg_segment_align: 8
    .kernarg_segment_size: 72
    .language:       OpenCL C
    .language_version:
      - 2
      - 0
    .max_flat_workgroup_size: 128
    .name:           _ZN9rocsparseL19gebsrmvn_2xn_kernelILj128ELj6ELj16EdEEvi20rocsparse_direction_NS_24const_host_device_scalarIT2_EEPKiS6_PKS3_S8_S4_PS3_21rocsparse_index_base_b
    .private_segment_fixed_size: 0
    .sgpr_count:     18
    .sgpr_spill_count: 0
    .symbol:         _ZN9rocsparseL19gebsrmvn_2xn_kernelILj128ELj6ELj16EdEEvi20rocsparse_direction_NS_24const_host_device_scalarIT2_EEPKiS6_PKS3_S8_S4_PS3_21rocsparse_index_base_b.kd
    .uniform_work_group_size: 1
    .uses_dynamic_stack: false
    .vgpr_count:     54
    .vgpr_spill_count: 0
    .wavefront_size: 32
    .workgroup_processor_mode: 1
  - .args:
      - .offset:         0
        .size:           4
        .value_kind:     by_value
      - .offset:         4
        .size:           4
        .value_kind:     by_value
      - .offset:         8
        .size:           8
        .value_kind:     by_value
      - .actual_access:  read_only
        .address_space:  global
        .offset:         16
        .size:           8
        .value_kind:     global_buffer
      - .actual_access:  read_only
        .address_space:  global
        .offset:         24
        .size:           8
        .value_kind:     global_buffer
      - .actual_access:  read_only
        .address_space:  global
        .offset:         32
        .size:           8
        .value_kind:     global_buffer
      - .actual_access:  read_only
        .address_space:  global
        .offset:         40
        .size:           8
        .value_kind:     global_buffer
      - .offset:         48
        .size:           8
        .value_kind:     by_value
      - .address_space:  global
        .offset:         56
        .size:           8
        .value_kind:     global_buffer
      - .offset:         64
        .size:           4
        .value_kind:     by_value
      - .offset:         68
        .size:           1
        .value_kind:     by_value
    .group_segment_fixed_size: 0
    .kernarg_segment_align: 8
    .kernarg_segment_size: 72
    .language:       OpenCL C
    .language_version:
      - 2
      - 0
    .max_flat_workgroup_size: 128
    .name:           _ZN9rocsparseL19gebsrmvn_2xn_kernelILj128ELj6ELj32EdEEvi20rocsparse_direction_NS_24const_host_device_scalarIT2_EEPKiS6_PKS3_S8_S4_PS3_21rocsparse_index_base_b
    .private_segment_fixed_size: 0
    .sgpr_count:     18
    .sgpr_spill_count: 0
    .symbol:         _ZN9rocsparseL19gebsrmvn_2xn_kernelILj128ELj6ELj32EdEEvi20rocsparse_direction_NS_24const_host_device_scalarIT2_EEPKiS6_PKS3_S8_S4_PS3_21rocsparse_index_base_b.kd
    .uniform_work_group_size: 1
    .uses_dynamic_stack: false
    .vgpr_count:     54
    .vgpr_spill_count: 0
    .wavefront_size: 32
    .workgroup_processor_mode: 1
  - .args:
      - .offset:         0
        .size:           4
        .value_kind:     by_value
      - .offset:         4
        .size:           4
        .value_kind:     by_value
      - .offset:         8
        .size:           8
        .value_kind:     by_value
      - .actual_access:  read_only
        .address_space:  global
        .offset:         16
        .size:           8
        .value_kind:     global_buffer
      - .actual_access:  read_only
        .address_space:  global
        .offset:         24
        .size:           8
        .value_kind:     global_buffer
      - .actual_access:  read_only
        .address_space:  global
        .offset:         32
        .size:           8
        .value_kind:     global_buffer
      - .actual_access:  read_only
        .address_space:  global
        .offset:         40
        .size:           8
        .value_kind:     global_buffer
      - .offset:         48
        .size:           8
        .value_kind:     by_value
      - .address_space:  global
        .offset:         56
        .size:           8
        .value_kind:     global_buffer
      - .offset:         64
        .size:           4
        .value_kind:     by_value
      - .offset:         68
        .size:           1
        .value_kind:     by_value
    .group_segment_fixed_size: 0
    .kernarg_segment_align: 8
    .kernarg_segment_size: 72
    .language:       OpenCL C
    .language_version:
      - 2
      - 0
    .max_flat_workgroup_size: 128
    .name:           _ZN9rocsparseL19gebsrmvn_2xn_kernelILj128ELj6ELj64EdEEvi20rocsparse_direction_NS_24const_host_device_scalarIT2_EEPKiS6_PKS3_S8_S4_PS3_21rocsparse_index_base_b
    .private_segment_fixed_size: 0
    .sgpr_count:     18
    .sgpr_spill_count: 0
    .symbol:         _ZN9rocsparseL19gebsrmvn_2xn_kernelILj128ELj6ELj64EdEEvi20rocsparse_direction_NS_24const_host_device_scalarIT2_EEPKiS6_PKS3_S8_S4_PS3_21rocsparse_index_base_b.kd
    .uniform_work_group_size: 1
    .uses_dynamic_stack: false
    .vgpr_count:     53
    .vgpr_spill_count: 0
    .wavefront_size: 32
    .workgroup_processor_mode: 1
  - .args:
      - .offset:         0
        .size:           4
        .value_kind:     by_value
      - .offset:         4
        .size:           4
        .value_kind:     by_value
      - .offset:         8
        .size:           8
        .value_kind:     by_value
      - .actual_access:  read_only
        .address_space:  global
        .offset:         16
        .size:           8
        .value_kind:     global_buffer
      - .actual_access:  read_only
        .address_space:  global
        .offset:         24
        .size:           8
        .value_kind:     global_buffer
      - .actual_access:  read_only
        .address_space:  global
        .offset:         32
        .size:           8
        .value_kind:     global_buffer
      - .actual_access:  read_only
        .address_space:  global
        .offset:         40
        .size:           8
        .value_kind:     global_buffer
      - .offset:         48
        .size:           8
        .value_kind:     by_value
      - .address_space:  global
        .offset:         56
        .size:           8
        .value_kind:     global_buffer
      - .offset:         64
        .size:           4
        .value_kind:     by_value
      - .offset:         68
        .size:           1
        .value_kind:     by_value
    .group_segment_fixed_size: 0
    .kernarg_segment_align: 8
    .kernarg_segment_size: 72
    .language:       OpenCL C
    .language_version:
      - 2
      - 0
    .max_flat_workgroup_size: 128
    .name:           _ZN9rocsparseL19gebsrmvn_2xn_kernelILj128ELj7ELj4EdEEvi20rocsparse_direction_NS_24const_host_device_scalarIT2_EEPKiS6_PKS3_S8_S4_PS3_21rocsparse_index_base_b
    .private_segment_fixed_size: 0
    .sgpr_count:     18
    .sgpr_spill_count: 0
    .symbol:         _ZN9rocsparseL19gebsrmvn_2xn_kernelILj128ELj7ELj4EdEEvi20rocsparse_direction_NS_24const_host_device_scalarIT2_EEPKiS6_PKS3_S8_S4_PS3_21rocsparse_index_base_b.kd
    .uniform_work_group_size: 1
    .uses_dynamic_stack: false
    .vgpr_count:     60
    .vgpr_spill_count: 0
    .wavefront_size: 32
    .workgroup_processor_mode: 1
  - .args:
      - .offset:         0
        .size:           4
        .value_kind:     by_value
      - .offset:         4
        .size:           4
        .value_kind:     by_value
      - .offset:         8
        .size:           8
        .value_kind:     by_value
      - .actual_access:  read_only
        .address_space:  global
        .offset:         16
        .size:           8
        .value_kind:     global_buffer
      - .actual_access:  read_only
        .address_space:  global
        .offset:         24
        .size:           8
        .value_kind:     global_buffer
      - .actual_access:  read_only
        .address_space:  global
        .offset:         32
        .size:           8
        .value_kind:     global_buffer
      - .actual_access:  read_only
        .address_space:  global
        .offset:         40
        .size:           8
        .value_kind:     global_buffer
      - .offset:         48
        .size:           8
        .value_kind:     by_value
      - .address_space:  global
        .offset:         56
        .size:           8
        .value_kind:     global_buffer
      - .offset:         64
        .size:           4
        .value_kind:     by_value
      - .offset:         68
        .size:           1
        .value_kind:     by_value
    .group_segment_fixed_size: 0
    .kernarg_segment_align: 8
    .kernarg_segment_size: 72
    .language:       OpenCL C
    .language_version:
      - 2
      - 0
    .max_flat_workgroup_size: 128
    .name:           _ZN9rocsparseL19gebsrmvn_2xn_kernelILj128ELj7ELj8EdEEvi20rocsparse_direction_NS_24const_host_device_scalarIT2_EEPKiS6_PKS3_S8_S4_PS3_21rocsparse_index_base_b
    .private_segment_fixed_size: 0
    .sgpr_count:     18
    .sgpr_spill_count: 0
    .symbol:         _ZN9rocsparseL19gebsrmvn_2xn_kernelILj128ELj7ELj8EdEEvi20rocsparse_direction_NS_24const_host_device_scalarIT2_EEPKiS6_PKS3_S8_S4_PS3_21rocsparse_index_base_b.kd
    .uniform_work_group_size: 1
    .uses_dynamic_stack: false
    .vgpr_count:     60
    .vgpr_spill_count: 0
    .wavefront_size: 32
    .workgroup_processor_mode: 1
  - .args:
      - .offset:         0
        .size:           4
        .value_kind:     by_value
      - .offset:         4
        .size:           4
        .value_kind:     by_value
      - .offset:         8
        .size:           8
        .value_kind:     by_value
      - .actual_access:  read_only
        .address_space:  global
        .offset:         16
        .size:           8
        .value_kind:     global_buffer
      - .actual_access:  read_only
        .address_space:  global
        .offset:         24
        .size:           8
        .value_kind:     global_buffer
      - .actual_access:  read_only
        .address_space:  global
        .offset:         32
        .size:           8
        .value_kind:     global_buffer
      - .actual_access:  read_only
        .address_space:  global
        .offset:         40
        .size:           8
        .value_kind:     global_buffer
      - .offset:         48
        .size:           8
        .value_kind:     by_value
      - .address_space:  global
        .offset:         56
        .size:           8
        .value_kind:     global_buffer
      - .offset:         64
        .size:           4
        .value_kind:     by_value
      - .offset:         68
        .size:           1
        .value_kind:     by_value
    .group_segment_fixed_size: 0
    .kernarg_segment_align: 8
    .kernarg_segment_size: 72
    .language:       OpenCL C
    .language_version:
      - 2
      - 0
    .max_flat_workgroup_size: 128
    .name:           _ZN9rocsparseL19gebsrmvn_2xn_kernelILj128ELj7ELj16EdEEvi20rocsparse_direction_NS_24const_host_device_scalarIT2_EEPKiS6_PKS3_S8_S4_PS3_21rocsparse_index_base_b
    .private_segment_fixed_size: 0
    .sgpr_count:     18
    .sgpr_spill_count: 0
    .symbol:         _ZN9rocsparseL19gebsrmvn_2xn_kernelILj128ELj7ELj16EdEEvi20rocsparse_direction_NS_24const_host_device_scalarIT2_EEPKiS6_PKS3_S8_S4_PS3_21rocsparse_index_base_b.kd
    .uniform_work_group_size: 1
    .uses_dynamic_stack: false
    .vgpr_count:     60
    .vgpr_spill_count: 0
    .wavefront_size: 32
    .workgroup_processor_mode: 1
  - .args:
      - .offset:         0
        .size:           4
        .value_kind:     by_value
      - .offset:         4
        .size:           4
        .value_kind:     by_value
      - .offset:         8
        .size:           8
        .value_kind:     by_value
      - .actual_access:  read_only
        .address_space:  global
        .offset:         16
        .size:           8
        .value_kind:     global_buffer
      - .actual_access:  read_only
        .address_space:  global
        .offset:         24
        .size:           8
        .value_kind:     global_buffer
      - .actual_access:  read_only
        .address_space:  global
        .offset:         32
        .size:           8
        .value_kind:     global_buffer
      - .actual_access:  read_only
        .address_space:  global
        .offset:         40
        .size:           8
        .value_kind:     global_buffer
      - .offset:         48
        .size:           8
        .value_kind:     by_value
      - .address_space:  global
        .offset:         56
        .size:           8
        .value_kind:     global_buffer
      - .offset:         64
        .size:           4
        .value_kind:     by_value
      - .offset:         68
        .size:           1
        .value_kind:     by_value
    .group_segment_fixed_size: 0
    .kernarg_segment_align: 8
    .kernarg_segment_size: 72
    .language:       OpenCL C
    .language_version:
      - 2
      - 0
    .max_flat_workgroup_size: 128
    .name:           _ZN9rocsparseL19gebsrmvn_2xn_kernelILj128ELj7ELj32EdEEvi20rocsparse_direction_NS_24const_host_device_scalarIT2_EEPKiS6_PKS3_S8_S4_PS3_21rocsparse_index_base_b
    .private_segment_fixed_size: 0
    .sgpr_count:     18
    .sgpr_spill_count: 0
    .symbol:         _ZN9rocsparseL19gebsrmvn_2xn_kernelILj128ELj7ELj32EdEEvi20rocsparse_direction_NS_24const_host_device_scalarIT2_EEPKiS6_PKS3_S8_S4_PS3_21rocsparse_index_base_b.kd
    .uniform_work_group_size: 1
    .uses_dynamic_stack: false
    .vgpr_count:     60
    .vgpr_spill_count: 0
    .wavefront_size: 32
    .workgroup_processor_mode: 1
  - .args:
      - .offset:         0
        .size:           4
        .value_kind:     by_value
      - .offset:         4
        .size:           4
        .value_kind:     by_value
      - .offset:         8
        .size:           8
        .value_kind:     by_value
      - .actual_access:  read_only
        .address_space:  global
        .offset:         16
        .size:           8
        .value_kind:     global_buffer
      - .actual_access:  read_only
        .address_space:  global
        .offset:         24
        .size:           8
        .value_kind:     global_buffer
      - .actual_access:  read_only
        .address_space:  global
        .offset:         32
        .size:           8
        .value_kind:     global_buffer
      - .actual_access:  read_only
        .address_space:  global
        .offset:         40
        .size:           8
        .value_kind:     global_buffer
      - .offset:         48
        .size:           8
        .value_kind:     by_value
      - .address_space:  global
        .offset:         56
        .size:           8
        .value_kind:     global_buffer
      - .offset:         64
        .size:           4
        .value_kind:     by_value
      - .offset:         68
        .size:           1
        .value_kind:     by_value
    .group_segment_fixed_size: 0
    .kernarg_segment_align: 8
    .kernarg_segment_size: 72
    .language:       OpenCL C
    .language_version:
      - 2
      - 0
    .max_flat_workgroup_size: 128
    .name:           _ZN9rocsparseL19gebsrmvn_2xn_kernelILj128ELj7ELj64EdEEvi20rocsparse_direction_NS_24const_host_device_scalarIT2_EEPKiS6_PKS3_S8_S4_PS3_21rocsparse_index_base_b
    .private_segment_fixed_size: 0
    .sgpr_count:     18
    .sgpr_spill_count: 0
    .symbol:         _ZN9rocsparseL19gebsrmvn_2xn_kernelILj128ELj7ELj64EdEEvi20rocsparse_direction_NS_24const_host_device_scalarIT2_EEPKiS6_PKS3_S8_S4_PS3_21rocsparse_index_base_b.kd
    .uniform_work_group_size: 1
    .uses_dynamic_stack: false
    .vgpr_count:     60
    .vgpr_spill_count: 0
    .wavefront_size: 32
    .workgroup_processor_mode: 1
  - .args:
      - .offset:         0
        .size:           4
        .value_kind:     by_value
      - .offset:         4
        .size:           4
        .value_kind:     by_value
      - .offset:         8
        .size:           8
        .value_kind:     by_value
      - .actual_access:  read_only
        .address_space:  global
        .offset:         16
        .size:           8
        .value_kind:     global_buffer
      - .actual_access:  read_only
        .address_space:  global
        .offset:         24
        .size:           8
        .value_kind:     global_buffer
      - .actual_access:  read_only
        .address_space:  global
        .offset:         32
        .size:           8
        .value_kind:     global_buffer
      - .actual_access:  read_only
        .address_space:  global
        .offset:         40
        .size:           8
        .value_kind:     global_buffer
      - .offset:         48
        .size:           8
        .value_kind:     by_value
      - .address_space:  global
        .offset:         56
        .size:           8
        .value_kind:     global_buffer
      - .offset:         64
        .size:           4
        .value_kind:     by_value
      - .offset:         68
        .size:           1
        .value_kind:     by_value
    .group_segment_fixed_size: 0
    .kernarg_segment_align: 8
    .kernarg_segment_size: 72
    .language:       OpenCL C
    .language_version:
      - 2
      - 0
    .max_flat_workgroup_size: 128
    .name:           _ZN9rocsparseL19gebsrmvn_2xn_kernelILj128ELj8ELj4EdEEvi20rocsparse_direction_NS_24const_host_device_scalarIT2_EEPKiS6_PKS3_S8_S4_PS3_21rocsparse_index_base_b
    .private_segment_fixed_size: 0
    .sgpr_count:     18
    .sgpr_spill_count: 0
    .symbol:         _ZN9rocsparseL19gebsrmvn_2xn_kernelILj128ELj8ELj4EdEEvi20rocsparse_direction_NS_24const_host_device_scalarIT2_EEPKiS6_PKS3_S8_S4_PS3_21rocsparse_index_base_b.kd
    .uniform_work_group_size: 1
    .uses_dynamic_stack: false
    .vgpr_count:     65
    .vgpr_spill_count: 0
    .wavefront_size: 32
    .workgroup_processor_mode: 1
  - .args:
      - .offset:         0
        .size:           4
        .value_kind:     by_value
      - .offset:         4
        .size:           4
        .value_kind:     by_value
      - .offset:         8
        .size:           8
        .value_kind:     by_value
      - .actual_access:  read_only
        .address_space:  global
        .offset:         16
        .size:           8
        .value_kind:     global_buffer
      - .actual_access:  read_only
        .address_space:  global
        .offset:         24
        .size:           8
        .value_kind:     global_buffer
      - .actual_access:  read_only
        .address_space:  global
        .offset:         32
        .size:           8
        .value_kind:     global_buffer
      - .actual_access:  read_only
        .address_space:  global
        .offset:         40
        .size:           8
        .value_kind:     global_buffer
      - .offset:         48
        .size:           8
        .value_kind:     by_value
      - .address_space:  global
        .offset:         56
        .size:           8
        .value_kind:     global_buffer
      - .offset:         64
        .size:           4
        .value_kind:     by_value
      - .offset:         68
        .size:           1
        .value_kind:     by_value
    .group_segment_fixed_size: 0
    .kernarg_segment_align: 8
    .kernarg_segment_size: 72
    .language:       OpenCL C
    .language_version:
      - 2
      - 0
    .max_flat_workgroup_size: 128
    .name:           _ZN9rocsparseL19gebsrmvn_2xn_kernelILj128ELj8ELj8EdEEvi20rocsparse_direction_NS_24const_host_device_scalarIT2_EEPKiS6_PKS3_S8_S4_PS3_21rocsparse_index_base_b
    .private_segment_fixed_size: 0
    .sgpr_count:     18
    .sgpr_spill_count: 0
    .symbol:         _ZN9rocsparseL19gebsrmvn_2xn_kernelILj128ELj8ELj8EdEEvi20rocsparse_direction_NS_24const_host_device_scalarIT2_EEPKiS6_PKS3_S8_S4_PS3_21rocsparse_index_base_b.kd
    .uniform_work_group_size: 1
    .uses_dynamic_stack: false
    .vgpr_count:     65
    .vgpr_spill_count: 0
    .wavefront_size: 32
    .workgroup_processor_mode: 1
  - .args:
      - .offset:         0
        .size:           4
        .value_kind:     by_value
      - .offset:         4
        .size:           4
        .value_kind:     by_value
      - .offset:         8
        .size:           8
        .value_kind:     by_value
      - .actual_access:  read_only
        .address_space:  global
        .offset:         16
        .size:           8
        .value_kind:     global_buffer
      - .actual_access:  read_only
        .address_space:  global
        .offset:         24
        .size:           8
        .value_kind:     global_buffer
      - .actual_access:  read_only
        .address_space:  global
        .offset:         32
        .size:           8
        .value_kind:     global_buffer
      - .actual_access:  read_only
        .address_space:  global
        .offset:         40
        .size:           8
        .value_kind:     global_buffer
      - .offset:         48
        .size:           8
        .value_kind:     by_value
      - .address_space:  global
        .offset:         56
        .size:           8
        .value_kind:     global_buffer
      - .offset:         64
        .size:           4
        .value_kind:     by_value
      - .offset:         68
        .size:           1
        .value_kind:     by_value
    .group_segment_fixed_size: 0
    .kernarg_segment_align: 8
    .kernarg_segment_size: 72
    .language:       OpenCL C
    .language_version:
      - 2
      - 0
    .max_flat_workgroup_size: 128
    .name:           _ZN9rocsparseL19gebsrmvn_2xn_kernelILj128ELj8ELj16EdEEvi20rocsparse_direction_NS_24const_host_device_scalarIT2_EEPKiS6_PKS3_S8_S4_PS3_21rocsparse_index_base_b
    .private_segment_fixed_size: 0
    .sgpr_count:     18
    .sgpr_spill_count: 0
    .symbol:         _ZN9rocsparseL19gebsrmvn_2xn_kernelILj128ELj8ELj16EdEEvi20rocsparse_direction_NS_24const_host_device_scalarIT2_EEPKiS6_PKS3_S8_S4_PS3_21rocsparse_index_base_b.kd
    .uniform_work_group_size: 1
    .uses_dynamic_stack: false
    .vgpr_count:     65
    .vgpr_spill_count: 0
    .wavefront_size: 32
    .workgroup_processor_mode: 1
  - .args:
      - .offset:         0
        .size:           4
        .value_kind:     by_value
      - .offset:         4
        .size:           4
        .value_kind:     by_value
      - .offset:         8
        .size:           8
        .value_kind:     by_value
      - .actual_access:  read_only
        .address_space:  global
        .offset:         16
        .size:           8
        .value_kind:     global_buffer
      - .actual_access:  read_only
        .address_space:  global
        .offset:         24
        .size:           8
        .value_kind:     global_buffer
      - .actual_access:  read_only
        .address_space:  global
        .offset:         32
        .size:           8
        .value_kind:     global_buffer
      - .actual_access:  read_only
        .address_space:  global
        .offset:         40
        .size:           8
        .value_kind:     global_buffer
      - .offset:         48
        .size:           8
        .value_kind:     by_value
      - .address_space:  global
        .offset:         56
        .size:           8
        .value_kind:     global_buffer
      - .offset:         64
        .size:           4
        .value_kind:     by_value
      - .offset:         68
        .size:           1
        .value_kind:     by_value
    .group_segment_fixed_size: 0
    .kernarg_segment_align: 8
    .kernarg_segment_size: 72
    .language:       OpenCL C
    .language_version:
      - 2
      - 0
    .max_flat_workgroup_size: 128
    .name:           _ZN9rocsparseL19gebsrmvn_2xn_kernelILj128ELj8ELj32EdEEvi20rocsparse_direction_NS_24const_host_device_scalarIT2_EEPKiS6_PKS3_S8_S4_PS3_21rocsparse_index_base_b
    .private_segment_fixed_size: 0
    .sgpr_count:     18
    .sgpr_spill_count: 0
    .symbol:         _ZN9rocsparseL19gebsrmvn_2xn_kernelILj128ELj8ELj32EdEEvi20rocsparse_direction_NS_24const_host_device_scalarIT2_EEPKiS6_PKS3_S8_S4_PS3_21rocsparse_index_base_b.kd
    .uniform_work_group_size: 1
    .uses_dynamic_stack: false
    .vgpr_count:     65
    .vgpr_spill_count: 0
    .wavefront_size: 32
    .workgroup_processor_mode: 1
  - .args:
      - .offset:         0
        .size:           4
        .value_kind:     by_value
      - .offset:         4
        .size:           4
        .value_kind:     by_value
      - .offset:         8
        .size:           8
        .value_kind:     by_value
      - .actual_access:  read_only
        .address_space:  global
        .offset:         16
        .size:           8
        .value_kind:     global_buffer
      - .actual_access:  read_only
        .address_space:  global
        .offset:         24
        .size:           8
        .value_kind:     global_buffer
      - .actual_access:  read_only
        .address_space:  global
        .offset:         32
        .size:           8
        .value_kind:     global_buffer
      - .actual_access:  read_only
        .address_space:  global
        .offset:         40
        .size:           8
        .value_kind:     global_buffer
      - .offset:         48
        .size:           8
        .value_kind:     by_value
      - .address_space:  global
        .offset:         56
        .size:           8
        .value_kind:     global_buffer
      - .offset:         64
        .size:           4
        .value_kind:     by_value
      - .offset:         68
        .size:           1
        .value_kind:     by_value
    .group_segment_fixed_size: 0
    .kernarg_segment_align: 8
    .kernarg_segment_size: 72
    .language:       OpenCL C
    .language_version:
      - 2
      - 0
    .max_flat_workgroup_size: 128
    .name:           _ZN9rocsparseL19gebsrmvn_2xn_kernelILj128ELj8ELj64EdEEvi20rocsparse_direction_NS_24const_host_device_scalarIT2_EEPKiS6_PKS3_S8_S4_PS3_21rocsparse_index_base_b
    .private_segment_fixed_size: 0
    .sgpr_count:     18
    .sgpr_spill_count: 0
    .symbol:         _ZN9rocsparseL19gebsrmvn_2xn_kernelILj128ELj8ELj64EdEEvi20rocsparse_direction_NS_24const_host_device_scalarIT2_EEPKiS6_PKS3_S8_S4_PS3_21rocsparse_index_base_b.kd
    .uniform_work_group_size: 1
    .uses_dynamic_stack: false
    .vgpr_count:     65
    .vgpr_spill_count: 0
    .wavefront_size: 32
    .workgroup_processor_mode: 1
  - .args:
      - .offset:         0
        .size:           4
        .value_kind:     by_value
      - .offset:         4
        .size:           4
        .value_kind:     by_value
      - .offset:         8
        .size:           8
        .value_kind:     by_value
      - .actual_access:  read_only
        .address_space:  global
        .offset:         16
        .size:           8
        .value_kind:     global_buffer
      - .actual_access:  read_only
        .address_space:  global
        .offset:         24
        .size:           8
        .value_kind:     global_buffer
      - .actual_access:  read_only
        .address_space:  global
        .offset:         32
        .size:           8
        .value_kind:     global_buffer
      - .actual_access:  read_only
        .address_space:  global
        .offset:         40
        .size:           8
        .value_kind:     global_buffer
      - .offset:         48
        .size:           8
        .value_kind:     by_value
      - .address_space:  global
        .offset:         56
        .size:           8
        .value_kind:     global_buffer
      - .offset:         64
        .size:           4
        .value_kind:     by_value
      - .offset:         68
        .size:           1
        .value_kind:     by_value
    .group_segment_fixed_size: 0
    .kernarg_segment_align: 8
    .kernarg_segment_size: 72
    .language:       OpenCL C
    .language_version:
      - 2
      - 0
    .max_flat_workgroup_size: 128
    .name:           _ZN9rocsparseL19gebsrmvn_2xn_kernelILj128ELj9ELj4EdEEvi20rocsparse_direction_NS_24const_host_device_scalarIT2_EEPKiS6_PKS3_S8_S4_PS3_21rocsparse_index_base_b
    .private_segment_fixed_size: 0
    .sgpr_count:     18
    .sgpr_spill_count: 0
    .symbol:         _ZN9rocsparseL19gebsrmvn_2xn_kernelILj128ELj9ELj4EdEEvi20rocsparse_direction_NS_24const_host_device_scalarIT2_EEPKiS6_PKS3_S8_S4_PS3_21rocsparse_index_base_b.kd
    .uniform_work_group_size: 1
    .uses_dynamic_stack: false
    .vgpr_count:     72
    .vgpr_spill_count: 0
    .wavefront_size: 32
    .workgroup_processor_mode: 1
  - .args:
      - .offset:         0
        .size:           4
        .value_kind:     by_value
      - .offset:         4
        .size:           4
        .value_kind:     by_value
      - .offset:         8
        .size:           8
        .value_kind:     by_value
      - .actual_access:  read_only
        .address_space:  global
        .offset:         16
        .size:           8
        .value_kind:     global_buffer
      - .actual_access:  read_only
        .address_space:  global
        .offset:         24
        .size:           8
        .value_kind:     global_buffer
      - .actual_access:  read_only
        .address_space:  global
        .offset:         32
        .size:           8
        .value_kind:     global_buffer
      - .actual_access:  read_only
        .address_space:  global
        .offset:         40
        .size:           8
        .value_kind:     global_buffer
      - .offset:         48
        .size:           8
        .value_kind:     by_value
      - .address_space:  global
        .offset:         56
        .size:           8
        .value_kind:     global_buffer
      - .offset:         64
        .size:           4
        .value_kind:     by_value
      - .offset:         68
        .size:           1
        .value_kind:     by_value
    .group_segment_fixed_size: 0
    .kernarg_segment_align: 8
    .kernarg_segment_size: 72
    .language:       OpenCL C
    .language_version:
      - 2
      - 0
    .max_flat_workgroup_size: 128
    .name:           _ZN9rocsparseL19gebsrmvn_2xn_kernelILj128ELj9ELj8EdEEvi20rocsparse_direction_NS_24const_host_device_scalarIT2_EEPKiS6_PKS3_S8_S4_PS3_21rocsparse_index_base_b
    .private_segment_fixed_size: 0
    .sgpr_count:     18
    .sgpr_spill_count: 0
    .symbol:         _ZN9rocsparseL19gebsrmvn_2xn_kernelILj128ELj9ELj8EdEEvi20rocsparse_direction_NS_24const_host_device_scalarIT2_EEPKiS6_PKS3_S8_S4_PS3_21rocsparse_index_base_b.kd
    .uniform_work_group_size: 1
    .uses_dynamic_stack: false
    .vgpr_count:     72
    .vgpr_spill_count: 0
    .wavefront_size: 32
    .workgroup_processor_mode: 1
  - .args:
      - .offset:         0
        .size:           4
        .value_kind:     by_value
      - .offset:         4
        .size:           4
        .value_kind:     by_value
      - .offset:         8
        .size:           8
        .value_kind:     by_value
      - .actual_access:  read_only
        .address_space:  global
        .offset:         16
        .size:           8
        .value_kind:     global_buffer
      - .actual_access:  read_only
        .address_space:  global
        .offset:         24
        .size:           8
        .value_kind:     global_buffer
      - .actual_access:  read_only
        .address_space:  global
        .offset:         32
        .size:           8
        .value_kind:     global_buffer
      - .actual_access:  read_only
        .address_space:  global
        .offset:         40
        .size:           8
        .value_kind:     global_buffer
      - .offset:         48
        .size:           8
        .value_kind:     by_value
      - .address_space:  global
        .offset:         56
        .size:           8
        .value_kind:     global_buffer
      - .offset:         64
        .size:           4
        .value_kind:     by_value
      - .offset:         68
        .size:           1
        .value_kind:     by_value
    .group_segment_fixed_size: 0
    .kernarg_segment_align: 8
    .kernarg_segment_size: 72
    .language:       OpenCL C
    .language_version:
      - 2
      - 0
    .max_flat_workgroup_size: 128
    .name:           _ZN9rocsparseL19gebsrmvn_2xn_kernelILj128ELj9ELj16EdEEvi20rocsparse_direction_NS_24const_host_device_scalarIT2_EEPKiS6_PKS3_S8_S4_PS3_21rocsparse_index_base_b
    .private_segment_fixed_size: 0
    .sgpr_count:     18
    .sgpr_spill_count: 0
    .symbol:         _ZN9rocsparseL19gebsrmvn_2xn_kernelILj128ELj9ELj16EdEEvi20rocsparse_direction_NS_24const_host_device_scalarIT2_EEPKiS6_PKS3_S8_S4_PS3_21rocsparse_index_base_b.kd
    .uniform_work_group_size: 1
    .uses_dynamic_stack: false
    .vgpr_count:     72
    .vgpr_spill_count: 0
    .wavefront_size: 32
    .workgroup_processor_mode: 1
  - .args:
      - .offset:         0
        .size:           4
        .value_kind:     by_value
      - .offset:         4
        .size:           4
        .value_kind:     by_value
      - .offset:         8
        .size:           8
        .value_kind:     by_value
      - .actual_access:  read_only
        .address_space:  global
        .offset:         16
        .size:           8
        .value_kind:     global_buffer
      - .actual_access:  read_only
        .address_space:  global
        .offset:         24
        .size:           8
        .value_kind:     global_buffer
      - .actual_access:  read_only
        .address_space:  global
        .offset:         32
        .size:           8
        .value_kind:     global_buffer
      - .actual_access:  read_only
        .address_space:  global
        .offset:         40
        .size:           8
        .value_kind:     global_buffer
      - .offset:         48
        .size:           8
        .value_kind:     by_value
      - .address_space:  global
        .offset:         56
        .size:           8
        .value_kind:     global_buffer
      - .offset:         64
        .size:           4
        .value_kind:     by_value
      - .offset:         68
        .size:           1
        .value_kind:     by_value
    .group_segment_fixed_size: 0
    .kernarg_segment_align: 8
    .kernarg_segment_size: 72
    .language:       OpenCL C
    .language_version:
      - 2
      - 0
    .max_flat_workgroup_size: 128
    .name:           _ZN9rocsparseL19gebsrmvn_2xn_kernelILj128ELj9ELj32EdEEvi20rocsparse_direction_NS_24const_host_device_scalarIT2_EEPKiS6_PKS3_S8_S4_PS3_21rocsparse_index_base_b
    .private_segment_fixed_size: 0
    .sgpr_count:     18
    .sgpr_spill_count: 0
    .symbol:         _ZN9rocsparseL19gebsrmvn_2xn_kernelILj128ELj9ELj32EdEEvi20rocsparse_direction_NS_24const_host_device_scalarIT2_EEPKiS6_PKS3_S8_S4_PS3_21rocsparse_index_base_b.kd
    .uniform_work_group_size: 1
    .uses_dynamic_stack: false
    .vgpr_count:     72
    .vgpr_spill_count: 0
    .wavefront_size: 32
    .workgroup_processor_mode: 1
  - .args:
      - .offset:         0
        .size:           4
        .value_kind:     by_value
      - .offset:         4
        .size:           4
        .value_kind:     by_value
      - .offset:         8
        .size:           8
        .value_kind:     by_value
      - .actual_access:  read_only
        .address_space:  global
        .offset:         16
        .size:           8
        .value_kind:     global_buffer
      - .actual_access:  read_only
        .address_space:  global
        .offset:         24
        .size:           8
        .value_kind:     global_buffer
      - .actual_access:  read_only
        .address_space:  global
        .offset:         32
        .size:           8
        .value_kind:     global_buffer
      - .actual_access:  read_only
        .address_space:  global
        .offset:         40
        .size:           8
        .value_kind:     global_buffer
      - .offset:         48
        .size:           8
        .value_kind:     by_value
      - .address_space:  global
        .offset:         56
        .size:           8
        .value_kind:     global_buffer
      - .offset:         64
        .size:           4
        .value_kind:     by_value
      - .offset:         68
        .size:           1
        .value_kind:     by_value
    .group_segment_fixed_size: 0
    .kernarg_segment_align: 8
    .kernarg_segment_size: 72
    .language:       OpenCL C
    .language_version:
      - 2
      - 0
    .max_flat_workgroup_size: 128
    .name:           _ZN9rocsparseL19gebsrmvn_2xn_kernelILj128ELj9ELj64EdEEvi20rocsparse_direction_NS_24const_host_device_scalarIT2_EEPKiS6_PKS3_S8_S4_PS3_21rocsparse_index_base_b
    .private_segment_fixed_size: 0
    .sgpr_count:     18
    .sgpr_spill_count: 0
    .symbol:         _ZN9rocsparseL19gebsrmvn_2xn_kernelILj128ELj9ELj64EdEEvi20rocsparse_direction_NS_24const_host_device_scalarIT2_EEPKiS6_PKS3_S8_S4_PS3_21rocsparse_index_base_b.kd
    .uniform_work_group_size: 1
    .uses_dynamic_stack: false
    .vgpr_count:     72
    .vgpr_spill_count: 0
    .wavefront_size: 32
    .workgroup_processor_mode: 1
  - .args:
      - .offset:         0
        .size:           4
        .value_kind:     by_value
      - .offset:         4
        .size:           4
        .value_kind:     by_value
      - .offset:         8
        .size:           8
        .value_kind:     by_value
      - .actual_access:  read_only
        .address_space:  global
        .offset:         16
        .size:           8
        .value_kind:     global_buffer
      - .actual_access:  read_only
        .address_space:  global
        .offset:         24
        .size:           8
        .value_kind:     global_buffer
      - .actual_access:  read_only
        .address_space:  global
        .offset:         32
        .size:           8
        .value_kind:     global_buffer
      - .actual_access:  read_only
        .address_space:  global
        .offset:         40
        .size:           8
        .value_kind:     global_buffer
      - .offset:         48
        .size:           8
        .value_kind:     by_value
      - .address_space:  global
        .offset:         56
        .size:           8
        .value_kind:     global_buffer
      - .offset:         64
        .size:           4
        .value_kind:     by_value
      - .offset:         68
        .size:           1
        .value_kind:     by_value
    .group_segment_fixed_size: 0
    .kernarg_segment_align: 8
    .kernarg_segment_size: 72
    .language:       OpenCL C
    .language_version:
      - 2
      - 0
    .max_flat_workgroup_size: 128
    .name:           _ZN9rocsparseL19gebsrmvn_2xn_kernelILj128ELj10ELj4EdEEvi20rocsparse_direction_NS_24const_host_device_scalarIT2_EEPKiS6_PKS3_S8_S4_PS3_21rocsparse_index_base_b
    .private_segment_fixed_size: 0
    .sgpr_count:     18
    .sgpr_spill_count: 0
    .symbol:         _ZN9rocsparseL19gebsrmvn_2xn_kernelILj128ELj10ELj4EdEEvi20rocsparse_direction_NS_24const_host_device_scalarIT2_EEPKiS6_PKS3_S8_S4_PS3_21rocsparse_index_base_b.kd
    .uniform_work_group_size: 1
    .uses_dynamic_stack: false
    .vgpr_count:     74
    .vgpr_spill_count: 0
    .wavefront_size: 32
    .workgroup_processor_mode: 1
  - .args:
      - .offset:         0
        .size:           4
        .value_kind:     by_value
      - .offset:         4
        .size:           4
        .value_kind:     by_value
      - .offset:         8
        .size:           8
        .value_kind:     by_value
      - .actual_access:  read_only
        .address_space:  global
        .offset:         16
        .size:           8
        .value_kind:     global_buffer
      - .actual_access:  read_only
        .address_space:  global
        .offset:         24
        .size:           8
        .value_kind:     global_buffer
      - .actual_access:  read_only
        .address_space:  global
        .offset:         32
        .size:           8
        .value_kind:     global_buffer
      - .actual_access:  read_only
        .address_space:  global
        .offset:         40
        .size:           8
        .value_kind:     global_buffer
      - .offset:         48
        .size:           8
        .value_kind:     by_value
      - .address_space:  global
        .offset:         56
        .size:           8
        .value_kind:     global_buffer
      - .offset:         64
        .size:           4
        .value_kind:     by_value
      - .offset:         68
        .size:           1
        .value_kind:     by_value
    .group_segment_fixed_size: 0
    .kernarg_segment_align: 8
    .kernarg_segment_size: 72
    .language:       OpenCL C
    .language_version:
      - 2
      - 0
    .max_flat_workgroup_size: 128
    .name:           _ZN9rocsparseL19gebsrmvn_2xn_kernelILj128ELj10ELj8EdEEvi20rocsparse_direction_NS_24const_host_device_scalarIT2_EEPKiS6_PKS3_S8_S4_PS3_21rocsparse_index_base_b
    .private_segment_fixed_size: 0
    .sgpr_count:     18
    .sgpr_spill_count: 0
    .symbol:         _ZN9rocsparseL19gebsrmvn_2xn_kernelILj128ELj10ELj8EdEEvi20rocsparse_direction_NS_24const_host_device_scalarIT2_EEPKiS6_PKS3_S8_S4_PS3_21rocsparse_index_base_b.kd
    .uniform_work_group_size: 1
    .uses_dynamic_stack: false
    .vgpr_count:     74
    .vgpr_spill_count: 0
    .wavefront_size: 32
    .workgroup_processor_mode: 1
  - .args:
      - .offset:         0
        .size:           4
        .value_kind:     by_value
      - .offset:         4
        .size:           4
        .value_kind:     by_value
      - .offset:         8
        .size:           8
        .value_kind:     by_value
      - .actual_access:  read_only
        .address_space:  global
        .offset:         16
        .size:           8
        .value_kind:     global_buffer
      - .actual_access:  read_only
        .address_space:  global
        .offset:         24
        .size:           8
        .value_kind:     global_buffer
      - .actual_access:  read_only
        .address_space:  global
        .offset:         32
        .size:           8
        .value_kind:     global_buffer
      - .actual_access:  read_only
        .address_space:  global
        .offset:         40
        .size:           8
        .value_kind:     global_buffer
      - .offset:         48
        .size:           8
        .value_kind:     by_value
      - .address_space:  global
        .offset:         56
        .size:           8
        .value_kind:     global_buffer
      - .offset:         64
        .size:           4
        .value_kind:     by_value
      - .offset:         68
        .size:           1
        .value_kind:     by_value
    .group_segment_fixed_size: 0
    .kernarg_segment_align: 8
    .kernarg_segment_size: 72
    .language:       OpenCL C
    .language_version:
      - 2
      - 0
    .max_flat_workgroup_size: 128
    .name:           _ZN9rocsparseL19gebsrmvn_2xn_kernelILj128ELj10ELj16EdEEvi20rocsparse_direction_NS_24const_host_device_scalarIT2_EEPKiS6_PKS3_S8_S4_PS3_21rocsparse_index_base_b
    .private_segment_fixed_size: 0
    .sgpr_count:     18
    .sgpr_spill_count: 0
    .symbol:         _ZN9rocsparseL19gebsrmvn_2xn_kernelILj128ELj10ELj16EdEEvi20rocsparse_direction_NS_24const_host_device_scalarIT2_EEPKiS6_PKS3_S8_S4_PS3_21rocsparse_index_base_b.kd
    .uniform_work_group_size: 1
    .uses_dynamic_stack: false
    .vgpr_count:     74
    .vgpr_spill_count: 0
    .wavefront_size: 32
    .workgroup_processor_mode: 1
  - .args:
      - .offset:         0
        .size:           4
        .value_kind:     by_value
      - .offset:         4
        .size:           4
        .value_kind:     by_value
      - .offset:         8
        .size:           8
        .value_kind:     by_value
      - .actual_access:  read_only
        .address_space:  global
        .offset:         16
        .size:           8
        .value_kind:     global_buffer
      - .actual_access:  read_only
        .address_space:  global
        .offset:         24
        .size:           8
        .value_kind:     global_buffer
      - .actual_access:  read_only
        .address_space:  global
        .offset:         32
        .size:           8
        .value_kind:     global_buffer
      - .actual_access:  read_only
        .address_space:  global
        .offset:         40
        .size:           8
        .value_kind:     global_buffer
      - .offset:         48
        .size:           8
        .value_kind:     by_value
      - .address_space:  global
        .offset:         56
        .size:           8
        .value_kind:     global_buffer
      - .offset:         64
        .size:           4
        .value_kind:     by_value
      - .offset:         68
        .size:           1
        .value_kind:     by_value
    .group_segment_fixed_size: 0
    .kernarg_segment_align: 8
    .kernarg_segment_size: 72
    .language:       OpenCL C
    .language_version:
      - 2
      - 0
    .max_flat_workgroup_size: 128
    .name:           _ZN9rocsparseL19gebsrmvn_2xn_kernelILj128ELj10ELj32EdEEvi20rocsparse_direction_NS_24const_host_device_scalarIT2_EEPKiS6_PKS3_S8_S4_PS3_21rocsparse_index_base_b
    .private_segment_fixed_size: 0
    .sgpr_count:     18
    .sgpr_spill_count: 0
    .symbol:         _ZN9rocsparseL19gebsrmvn_2xn_kernelILj128ELj10ELj32EdEEvi20rocsparse_direction_NS_24const_host_device_scalarIT2_EEPKiS6_PKS3_S8_S4_PS3_21rocsparse_index_base_b.kd
    .uniform_work_group_size: 1
    .uses_dynamic_stack: false
    .vgpr_count:     74
    .vgpr_spill_count: 0
    .wavefront_size: 32
    .workgroup_processor_mode: 1
  - .args:
      - .offset:         0
        .size:           4
        .value_kind:     by_value
      - .offset:         4
        .size:           4
        .value_kind:     by_value
      - .offset:         8
        .size:           8
        .value_kind:     by_value
      - .actual_access:  read_only
        .address_space:  global
        .offset:         16
        .size:           8
        .value_kind:     global_buffer
      - .actual_access:  read_only
        .address_space:  global
        .offset:         24
        .size:           8
        .value_kind:     global_buffer
      - .actual_access:  read_only
        .address_space:  global
        .offset:         32
        .size:           8
        .value_kind:     global_buffer
      - .actual_access:  read_only
        .address_space:  global
        .offset:         40
        .size:           8
        .value_kind:     global_buffer
      - .offset:         48
        .size:           8
        .value_kind:     by_value
      - .address_space:  global
        .offset:         56
        .size:           8
        .value_kind:     global_buffer
      - .offset:         64
        .size:           4
        .value_kind:     by_value
      - .offset:         68
        .size:           1
        .value_kind:     by_value
    .group_segment_fixed_size: 0
    .kernarg_segment_align: 8
    .kernarg_segment_size: 72
    .language:       OpenCL C
    .language_version:
      - 2
      - 0
    .max_flat_workgroup_size: 128
    .name:           _ZN9rocsparseL19gebsrmvn_2xn_kernelILj128ELj10ELj64EdEEvi20rocsparse_direction_NS_24const_host_device_scalarIT2_EEPKiS6_PKS3_S8_S4_PS3_21rocsparse_index_base_b
    .private_segment_fixed_size: 0
    .sgpr_count:     18
    .sgpr_spill_count: 0
    .symbol:         _ZN9rocsparseL19gebsrmvn_2xn_kernelILj128ELj10ELj64EdEEvi20rocsparse_direction_NS_24const_host_device_scalarIT2_EEPKiS6_PKS3_S8_S4_PS3_21rocsparse_index_base_b.kd
    .uniform_work_group_size: 1
    .uses_dynamic_stack: false
    .vgpr_count:     74
    .vgpr_spill_count: 0
    .wavefront_size: 32
    .workgroup_processor_mode: 1
  - .args:
      - .offset:         0
        .size:           4
        .value_kind:     by_value
      - .offset:         4
        .size:           4
        .value_kind:     by_value
      - .offset:         8
        .size:           8
        .value_kind:     by_value
      - .actual_access:  read_only
        .address_space:  global
        .offset:         16
        .size:           8
        .value_kind:     global_buffer
      - .actual_access:  read_only
        .address_space:  global
        .offset:         24
        .size:           8
        .value_kind:     global_buffer
      - .actual_access:  read_only
        .address_space:  global
        .offset:         32
        .size:           8
        .value_kind:     global_buffer
      - .actual_access:  read_only
        .address_space:  global
        .offset:         40
        .size:           8
        .value_kind:     global_buffer
      - .offset:         48
        .size:           8
        .value_kind:     by_value
      - .address_space:  global
        .offset:         56
        .size:           8
        .value_kind:     global_buffer
      - .offset:         64
        .size:           4
        .value_kind:     by_value
      - .offset:         68
        .size:           1
        .value_kind:     by_value
    .group_segment_fixed_size: 0
    .kernarg_segment_align: 8
    .kernarg_segment_size: 72
    .language:       OpenCL C
    .language_version:
      - 2
      - 0
    .max_flat_workgroup_size: 128
    .name:           _ZN9rocsparseL19gebsrmvn_2xn_kernelILj128ELj11ELj4EdEEvi20rocsparse_direction_NS_24const_host_device_scalarIT2_EEPKiS6_PKS3_S8_S4_PS3_21rocsparse_index_base_b
    .private_segment_fixed_size: 0
    .sgpr_count:     18
    .sgpr_spill_count: 0
    .symbol:         _ZN9rocsparseL19gebsrmvn_2xn_kernelILj128ELj11ELj4EdEEvi20rocsparse_direction_NS_24const_host_device_scalarIT2_EEPKiS6_PKS3_S8_S4_PS3_21rocsparse_index_base_b.kd
    .uniform_work_group_size: 1
    .uses_dynamic_stack: false
    .vgpr_count:     73
    .vgpr_spill_count: 0
    .wavefront_size: 32
    .workgroup_processor_mode: 1
  - .args:
      - .offset:         0
        .size:           4
        .value_kind:     by_value
      - .offset:         4
        .size:           4
        .value_kind:     by_value
      - .offset:         8
        .size:           8
        .value_kind:     by_value
      - .actual_access:  read_only
        .address_space:  global
        .offset:         16
        .size:           8
        .value_kind:     global_buffer
      - .actual_access:  read_only
        .address_space:  global
        .offset:         24
        .size:           8
        .value_kind:     global_buffer
      - .actual_access:  read_only
        .address_space:  global
        .offset:         32
        .size:           8
        .value_kind:     global_buffer
      - .actual_access:  read_only
        .address_space:  global
        .offset:         40
        .size:           8
        .value_kind:     global_buffer
      - .offset:         48
        .size:           8
        .value_kind:     by_value
      - .address_space:  global
        .offset:         56
        .size:           8
        .value_kind:     global_buffer
      - .offset:         64
        .size:           4
        .value_kind:     by_value
      - .offset:         68
        .size:           1
        .value_kind:     by_value
    .group_segment_fixed_size: 0
    .kernarg_segment_align: 8
    .kernarg_segment_size: 72
    .language:       OpenCL C
    .language_version:
      - 2
      - 0
    .max_flat_workgroup_size: 128
    .name:           _ZN9rocsparseL19gebsrmvn_2xn_kernelILj128ELj11ELj8EdEEvi20rocsparse_direction_NS_24const_host_device_scalarIT2_EEPKiS6_PKS3_S8_S4_PS3_21rocsparse_index_base_b
    .private_segment_fixed_size: 0
    .sgpr_count:     18
    .sgpr_spill_count: 0
    .symbol:         _ZN9rocsparseL19gebsrmvn_2xn_kernelILj128ELj11ELj8EdEEvi20rocsparse_direction_NS_24const_host_device_scalarIT2_EEPKiS6_PKS3_S8_S4_PS3_21rocsparse_index_base_b.kd
    .uniform_work_group_size: 1
    .uses_dynamic_stack: false
    .vgpr_count:     73
    .vgpr_spill_count: 0
    .wavefront_size: 32
    .workgroup_processor_mode: 1
  - .args:
      - .offset:         0
        .size:           4
        .value_kind:     by_value
      - .offset:         4
        .size:           4
        .value_kind:     by_value
      - .offset:         8
        .size:           8
        .value_kind:     by_value
      - .actual_access:  read_only
        .address_space:  global
        .offset:         16
        .size:           8
        .value_kind:     global_buffer
      - .actual_access:  read_only
        .address_space:  global
        .offset:         24
        .size:           8
        .value_kind:     global_buffer
      - .actual_access:  read_only
        .address_space:  global
        .offset:         32
        .size:           8
        .value_kind:     global_buffer
      - .actual_access:  read_only
        .address_space:  global
        .offset:         40
        .size:           8
        .value_kind:     global_buffer
      - .offset:         48
        .size:           8
        .value_kind:     by_value
      - .address_space:  global
        .offset:         56
        .size:           8
        .value_kind:     global_buffer
      - .offset:         64
        .size:           4
        .value_kind:     by_value
      - .offset:         68
        .size:           1
        .value_kind:     by_value
    .group_segment_fixed_size: 0
    .kernarg_segment_align: 8
    .kernarg_segment_size: 72
    .language:       OpenCL C
    .language_version:
      - 2
      - 0
    .max_flat_workgroup_size: 128
    .name:           _ZN9rocsparseL19gebsrmvn_2xn_kernelILj128ELj11ELj16EdEEvi20rocsparse_direction_NS_24const_host_device_scalarIT2_EEPKiS6_PKS3_S8_S4_PS3_21rocsparse_index_base_b
    .private_segment_fixed_size: 0
    .sgpr_count:     18
    .sgpr_spill_count: 0
    .symbol:         _ZN9rocsparseL19gebsrmvn_2xn_kernelILj128ELj11ELj16EdEEvi20rocsparse_direction_NS_24const_host_device_scalarIT2_EEPKiS6_PKS3_S8_S4_PS3_21rocsparse_index_base_b.kd
    .uniform_work_group_size: 1
    .uses_dynamic_stack: false
    .vgpr_count:     73
    .vgpr_spill_count: 0
    .wavefront_size: 32
    .workgroup_processor_mode: 1
  - .args:
      - .offset:         0
        .size:           4
        .value_kind:     by_value
      - .offset:         4
        .size:           4
        .value_kind:     by_value
      - .offset:         8
        .size:           8
        .value_kind:     by_value
      - .actual_access:  read_only
        .address_space:  global
        .offset:         16
        .size:           8
        .value_kind:     global_buffer
      - .actual_access:  read_only
        .address_space:  global
        .offset:         24
        .size:           8
        .value_kind:     global_buffer
      - .actual_access:  read_only
        .address_space:  global
        .offset:         32
        .size:           8
        .value_kind:     global_buffer
      - .actual_access:  read_only
        .address_space:  global
        .offset:         40
        .size:           8
        .value_kind:     global_buffer
      - .offset:         48
        .size:           8
        .value_kind:     by_value
      - .address_space:  global
        .offset:         56
        .size:           8
        .value_kind:     global_buffer
      - .offset:         64
        .size:           4
        .value_kind:     by_value
      - .offset:         68
        .size:           1
        .value_kind:     by_value
    .group_segment_fixed_size: 0
    .kernarg_segment_align: 8
    .kernarg_segment_size: 72
    .language:       OpenCL C
    .language_version:
      - 2
      - 0
    .max_flat_workgroup_size: 128
    .name:           _ZN9rocsparseL19gebsrmvn_2xn_kernelILj128ELj11ELj32EdEEvi20rocsparse_direction_NS_24const_host_device_scalarIT2_EEPKiS6_PKS3_S8_S4_PS3_21rocsparse_index_base_b
    .private_segment_fixed_size: 0
    .sgpr_count:     18
    .sgpr_spill_count: 0
    .symbol:         _ZN9rocsparseL19gebsrmvn_2xn_kernelILj128ELj11ELj32EdEEvi20rocsparse_direction_NS_24const_host_device_scalarIT2_EEPKiS6_PKS3_S8_S4_PS3_21rocsparse_index_base_b.kd
    .uniform_work_group_size: 1
    .uses_dynamic_stack: false
    .vgpr_count:     73
    .vgpr_spill_count: 0
    .wavefront_size: 32
    .workgroup_processor_mode: 1
  - .args:
      - .offset:         0
        .size:           4
        .value_kind:     by_value
      - .offset:         4
        .size:           4
        .value_kind:     by_value
      - .offset:         8
        .size:           8
        .value_kind:     by_value
      - .actual_access:  read_only
        .address_space:  global
        .offset:         16
        .size:           8
        .value_kind:     global_buffer
      - .actual_access:  read_only
        .address_space:  global
        .offset:         24
        .size:           8
        .value_kind:     global_buffer
      - .actual_access:  read_only
        .address_space:  global
        .offset:         32
        .size:           8
        .value_kind:     global_buffer
      - .actual_access:  read_only
        .address_space:  global
        .offset:         40
        .size:           8
        .value_kind:     global_buffer
      - .offset:         48
        .size:           8
        .value_kind:     by_value
      - .address_space:  global
        .offset:         56
        .size:           8
        .value_kind:     global_buffer
      - .offset:         64
        .size:           4
        .value_kind:     by_value
      - .offset:         68
        .size:           1
        .value_kind:     by_value
    .group_segment_fixed_size: 0
    .kernarg_segment_align: 8
    .kernarg_segment_size: 72
    .language:       OpenCL C
    .language_version:
      - 2
      - 0
    .max_flat_workgroup_size: 128
    .name:           _ZN9rocsparseL19gebsrmvn_2xn_kernelILj128ELj11ELj64EdEEvi20rocsparse_direction_NS_24const_host_device_scalarIT2_EEPKiS6_PKS3_S8_S4_PS3_21rocsparse_index_base_b
    .private_segment_fixed_size: 0
    .sgpr_count:     18
    .sgpr_spill_count: 0
    .symbol:         _ZN9rocsparseL19gebsrmvn_2xn_kernelILj128ELj11ELj64EdEEvi20rocsparse_direction_NS_24const_host_device_scalarIT2_EEPKiS6_PKS3_S8_S4_PS3_21rocsparse_index_base_b.kd
    .uniform_work_group_size: 1
    .uses_dynamic_stack: false
    .vgpr_count:     73
    .vgpr_spill_count: 0
    .wavefront_size: 32
    .workgroup_processor_mode: 1
  - .args:
      - .offset:         0
        .size:           4
        .value_kind:     by_value
      - .offset:         4
        .size:           4
        .value_kind:     by_value
      - .offset:         8
        .size:           8
        .value_kind:     by_value
      - .actual_access:  read_only
        .address_space:  global
        .offset:         16
        .size:           8
        .value_kind:     global_buffer
      - .actual_access:  read_only
        .address_space:  global
        .offset:         24
        .size:           8
        .value_kind:     global_buffer
      - .actual_access:  read_only
        .address_space:  global
        .offset:         32
        .size:           8
        .value_kind:     global_buffer
      - .actual_access:  read_only
        .address_space:  global
        .offset:         40
        .size:           8
        .value_kind:     global_buffer
      - .offset:         48
        .size:           8
        .value_kind:     by_value
      - .address_space:  global
        .offset:         56
        .size:           8
        .value_kind:     global_buffer
      - .offset:         64
        .size:           4
        .value_kind:     by_value
      - .offset:         68
        .size:           1
        .value_kind:     by_value
    .group_segment_fixed_size: 0
    .kernarg_segment_align: 8
    .kernarg_segment_size: 72
    .language:       OpenCL C
    .language_version:
      - 2
      - 0
    .max_flat_workgroup_size: 128
    .name:           _ZN9rocsparseL19gebsrmvn_2xn_kernelILj128ELj12ELj4EdEEvi20rocsparse_direction_NS_24const_host_device_scalarIT2_EEPKiS6_PKS3_S8_S4_PS3_21rocsparse_index_base_b
    .private_segment_fixed_size: 0
    .sgpr_count:     18
    .sgpr_spill_count: 0
    .symbol:         _ZN9rocsparseL19gebsrmvn_2xn_kernelILj128ELj12ELj4EdEEvi20rocsparse_direction_NS_24const_host_device_scalarIT2_EEPKiS6_PKS3_S8_S4_PS3_21rocsparse_index_base_b.kd
    .uniform_work_group_size: 1
    .uses_dynamic_stack: false
    .vgpr_count:     78
    .vgpr_spill_count: 0
    .wavefront_size: 32
    .workgroup_processor_mode: 1
  - .args:
      - .offset:         0
        .size:           4
        .value_kind:     by_value
      - .offset:         4
        .size:           4
        .value_kind:     by_value
      - .offset:         8
        .size:           8
        .value_kind:     by_value
      - .actual_access:  read_only
        .address_space:  global
        .offset:         16
        .size:           8
        .value_kind:     global_buffer
      - .actual_access:  read_only
        .address_space:  global
        .offset:         24
        .size:           8
        .value_kind:     global_buffer
      - .actual_access:  read_only
        .address_space:  global
        .offset:         32
        .size:           8
        .value_kind:     global_buffer
      - .actual_access:  read_only
        .address_space:  global
        .offset:         40
        .size:           8
        .value_kind:     global_buffer
      - .offset:         48
        .size:           8
        .value_kind:     by_value
      - .address_space:  global
        .offset:         56
        .size:           8
        .value_kind:     global_buffer
      - .offset:         64
        .size:           4
        .value_kind:     by_value
      - .offset:         68
        .size:           1
        .value_kind:     by_value
    .group_segment_fixed_size: 0
    .kernarg_segment_align: 8
    .kernarg_segment_size: 72
    .language:       OpenCL C
    .language_version:
      - 2
      - 0
    .max_flat_workgroup_size: 128
    .name:           _ZN9rocsparseL19gebsrmvn_2xn_kernelILj128ELj12ELj8EdEEvi20rocsparse_direction_NS_24const_host_device_scalarIT2_EEPKiS6_PKS3_S8_S4_PS3_21rocsparse_index_base_b
    .private_segment_fixed_size: 0
    .sgpr_count:     18
    .sgpr_spill_count: 0
    .symbol:         _ZN9rocsparseL19gebsrmvn_2xn_kernelILj128ELj12ELj8EdEEvi20rocsparse_direction_NS_24const_host_device_scalarIT2_EEPKiS6_PKS3_S8_S4_PS3_21rocsparse_index_base_b.kd
    .uniform_work_group_size: 1
    .uses_dynamic_stack: false
    .vgpr_count:     78
    .vgpr_spill_count: 0
    .wavefront_size: 32
    .workgroup_processor_mode: 1
  - .args:
      - .offset:         0
        .size:           4
        .value_kind:     by_value
      - .offset:         4
        .size:           4
        .value_kind:     by_value
      - .offset:         8
        .size:           8
        .value_kind:     by_value
      - .actual_access:  read_only
        .address_space:  global
        .offset:         16
        .size:           8
        .value_kind:     global_buffer
      - .actual_access:  read_only
        .address_space:  global
        .offset:         24
        .size:           8
        .value_kind:     global_buffer
      - .actual_access:  read_only
        .address_space:  global
        .offset:         32
        .size:           8
        .value_kind:     global_buffer
      - .actual_access:  read_only
        .address_space:  global
        .offset:         40
        .size:           8
        .value_kind:     global_buffer
      - .offset:         48
        .size:           8
        .value_kind:     by_value
      - .address_space:  global
        .offset:         56
        .size:           8
        .value_kind:     global_buffer
      - .offset:         64
        .size:           4
        .value_kind:     by_value
      - .offset:         68
        .size:           1
        .value_kind:     by_value
    .group_segment_fixed_size: 0
    .kernarg_segment_align: 8
    .kernarg_segment_size: 72
    .language:       OpenCL C
    .language_version:
      - 2
      - 0
    .max_flat_workgroup_size: 128
    .name:           _ZN9rocsparseL19gebsrmvn_2xn_kernelILj128ELj12ELj16EdEEvi20rocsparse_direction_NS_24const_host_device_scalarIT2_EEPKiS6_PKS3_S8_S4_PS3_21rocsparse_index_base_b
    .private_segment_fixed_size: 0
    .sgpr_count:     18
    .sgpr_spill_count: 0
    .symbol:         _ZN9rocsparseL19gebsrmvn_2xn_kernelILj128ELj12ELj16EdEEvi20rocsparse_direction_NS_24const_host_device_scalarIT2_EEPKiS6_PKS3_S8_S4_PS3_21rocsparse_index_base_b.kd
    .uniform_work_group_size: 1
    .uses_dynamic_stack: false
    .vgpr_count:     78
    .vgpr_spill_count: 0
    .wavefront_size: 32
    .workgroup_processor_mode: 1
  - .args:
      - .offset:         0
        .size:           4
        .value_kind:     by_value
      - .offset:         4
        .size:           4
        .value_kind:     by_value
      - .offset:         8
        .size:           8
        .value_kind:     by_value
      - .actual_access:  read_only
        .address_space:  global
        .offset:         16
        .size:           8
        .value_kind:     global_buffer
      - .actual_access:  read_only
        .address_space:  global
        .offset:         24
        .size:           8
        .value_kind:     global_buffer
      - .actual_access:  read_only
        .address_space:  global
        .offset:         32
        .size:           8
        .value_kind:     global_buffer
      - .actual_access:  read_only
        .address_space:  global
        .offset:         40
        .size:           8
        .value_kind:     global_buffer
      - .offset:         48
        .size:           8
        .value_kind:     by_value
      - .address_space:  global
        .offset:         56
        .size:           8
        .value_kind:     global_buffer
      - .offset:         64
        .size:           4
        .value_kind:     by_value
      - .offset:         68
        .size:           1
        .value_kind:     by_value
    .group_segment_fixed_size: 0
    .kernarg_segment_align: 8
    .kernarg_segment_size: 72
    .language:       OpenCL C
    .language_version:
      - 2
      - 0
    .max_flat_workgroup_size: 128
    .name:           _ZN9rocsparseL19gebsrmvn_2xn_kernelILj128ELj12ELj32EdEEvi20rocsparse_direction_NS_24const_host_device_scalarIT2_EEPKiS6_PKS3_S8_S4_PS3_21rocsparse_index_base_b
    .private_segment_fixed_size: 0
    .sgpr_count:     18
    .sgpr_spill_count: 0
    .symbol:         _ZN9rocsparseL19gebsrmvn_2xn_kernelILj128ELj12ELj32EdEEvi20rocsparse_direction_NS_24const_host_device_scalarIT2_EEPKiS6_PKS3_S8_S4_PS3_21rocsparse_index_base_b.kd
    .uniform_work_group_size: 1
    .uses_dynamic_stack: false
    .vgpr_count:     78
    .vgpr_spill_count: 0
    .wavefront_size: 32
    .workgroup_processor_mode: 1
  - .args:
      - .offset:         0
        .size:           4
        .value_kind:     by_value
      - .offset:         4
        .size:           4
        .value_kind:     by_value
      - .offset:         8
        .size:           8
        .value_kind:     by_value
      - .actual_access:  read_only
        .address_space:  global
        .offset:         16
        .size:           8
        .value_kind:     global_buffer
      - .actual_access:  read_only
        .address_space:  global
        .offset:         24
        .size:           8
        .value_kind:     global_buffer
      - .actual_access:  read_only
        .address_space:  global
        .offset:         32
        .size:           8
        .value_kind:     global_buffer
      - .actual_access:  read_only
        .address_space:  global
        .offset:         40
        .size:           8
        .value_kind:     global_buffer
      - .offset:         48
        .size:           8
        .value_kind:     by_value
      - .address_space:  global
        .offset:         56
        .size:           8
        .value_kind:     global_buffer
      - .offset:         64
        .size:           4
        .value_kind:     by_value
      - .offset:         68
        .size:           1
        .value_kind:     by_value
    .group_segment_fixed_size: 0
    .kernarg_segment_align: 8
    .kernarg_segment_size: 72
    .language:       OpenCL C
    .language_version:
      - 2
      - 0
    .max_flat_workgroup_size: 128
    .name:           _ZN9rocsparseL19gebsrmvn_2xn_kernelILj128ELj12ELj64EdEEvi20rocsparse_direction_NS_24const_host_device_scalarIT2_EEPKiS6_PKS3_S8_S4_PS3_21rocsparse_index_base_b
    .private_segment_fixed_size: 0
    .sgpr_count:     18
    .sgpr_spill_count: 0
    .symbol:         _ZN9rocsparseL19gebsrmvn_2xn_kernelILj128ELj12ELj64EdEEvi20rocsparse_direction_NS_24const_host_device_scalarIT2_EEPKiS6_PKS3_S8_S4_PS3_21rocsparse_index_base_b.kd
    .uniform_work_group_size: 1
    .uses_dynamic_stack: false
    .vgpr_count:     78
    .vgpr_spill_count: 0
    .wavefront_size: 32
    .workgroup_processor_mode: 1
  - .args:
      - .offset:         0
        .size:           4
        .value_kind:     by_value
      - .offset:         4
        .size:           4
        .value_kind:     by_value
      - .offset:         8
        .size:           8
        .value_kind:     by_value
      - .actual_access:  read_only
        .address_space:  global
        .offset:         16
        .size:           8
        .value_kind:     global_buffer
      - .actual_access:  read_only
        .address_space:  global
        .offset:         24
        .size:           8
        .value_kind:     global_buffer
      - .actual_access:  read_only
        .address_space:  global
        .offset:         32
        .size:           8
        .value_kind:     global_buffer
      - .actual_access:  read_only
        .address_space:  global
        .offset:         40
        .size:           8
        .value_kind:     global_buffer
      - .offset:         48
        .size:           8
        .value_kind:     by_value
      - .address_space:  global
        .offset:         56
        .size:           8
        .value_kind:     global_buffer
      - .offset:         64
        .size:           4
        .value_kind:     by_value
      - .offset:         68
        .size:           1
        .value_kind:     by_value
    .group_segment_fixed_size: 0
    .kernarg_segment_align: 8
    .kernarg_segment_size: 72
    .language:       OpenCL C
    .language_version:
      - 2
      - 0
    .max_flat_workgroup_size: 128
    .name:           _ZN9rocsparseL19gebsrmvn_2xn_kernelILj128ELj13ELj4EdEEvi20rocsparse_direction_NS_24const_host_device_scalarIT2_EEPKiS6_PKS3_S8_S4_PS3_21rocsparse_index_base_b
    .private_segment_fixed_size: 0
    .sgpr_count:     18
    .sgpr_spill_count: 0
    .symbol:         _ZN9rocsparseL19gebsrmvn_2xn_kernelILj128ELj13ELj4EdEEvi20rocsparse_direction_NS_24const_host_device_scalarIT2_EEPKiS6_PKS3_S8_S4_PS3_21rocsparse_index_base_b.kd
    .uniform_work_group_size: 1
    .uses_dynamic_stack: false
    .vgpr_count:     73
    .vgpr_spill_count: 0
    .wavefront_size: 32
    .workgroup_processor_mode: 1
  - .args:
      - .offset:         0
        .size:           4
        .value_kind:     by_value
      - .offset:         4
        .size:           4
        .value_kind:     by_value
      - .offset:         8
        .size:           8
        .value_kind:     by_value
      - .actual_access:  read_only
        .address_space:  global
        .offset:         16
        .size:           8
        .value_kind:     global_buffer
      - .actual_access:  read_only
        .address_space:  global
        .offset:         24
        .size:           8
        .value_kind:     global_buffer
      - .actual_access:  read_only
        .address_space:  global
        .offset:         32
        .size:           8
        .value_kind:     global_buffer
      - .actual_access:  read_only
        .address_space:  global
        .offset:         40
        .size:           8
        .value_kind:     global_buffer
      - .offset:         48
        .size:           8
        .value_kind:     by_value
      - .address_space:  global
        .offset:         56
        .size:           8
        .value_kind:     global_buffer
      - .offset:         64
        .size:           4
        .value_kind:     by_value
      - .offset:         68
        .size:           1
        .value_kind:     by_value
    .group_segment_fixed_size: 0
    .kernarg_segment_align: 8
    .kernarg_segment_size: 72
    .language:       OpenCL C
    .language_version:
      - 2
      - 0
    .max_flat_workgroup_size: 128
    .name:           _ZN9rocsparseL19gebsrmvn_2xn_kernelILj128ELj13ELj8EdEEvi20rocsparse_direction_NS_24const_host_device_scalarIT2_EEPKiS6_PKS3_S8_S4_PS3_21rocsparse_index_base_b
    .private_segment_fixed_size: 0
    .sgpr_count:     18
    .sgpr_spill_count: 0
    .symbol:         _ZN9rocsparseL19gebsrmvn_2xn_kernelILj128ELj13ELj8EdEEvi20rocsparse_direction_NS_24const_host_device_scalarIT2_EEPKiS6_PKS3_S8_S4_PS3_21rocsparse_index_base_b.kd
    .uniform_work_group_size: 1
    .uses_dynamic_stack: false
    .vgpr_count:     73
    .vgpr_spill_count: 0
    .wavefront_size: 32
    .workgroup_processor_mode: 1
  - .args:
      - .offset:         0
        .size:           4
        .value_kind:     by_value
      - .offset:         4
        .size:           4
        .value_kind:     by_value
      - .offset:         8
        .size:           8
        .value_kind:     by_value
      - .actual_access:  read_only
        .address_space:  global
        .offset:         16
        .size:           8
        .value_kind:     global_buffer
      - .actual_access:  read_only
        .address_space:  global
        .offset:         24
        .size:           8
        .value_kind:     global_buffer
      - .actual_access:  read_only
        .address_space:  global
        .offset:         32
        .size:           8
        .value_kind:     global_buffer
      - .actual_access:  read_only
        .address_space:  global
        .offset:         40
        .size:           8
        .value_kind:     global_buffer
      - .offset:         48
        .size:           8
        .value_kind:     by_value
      - .address_space:  global
        .offset:         56
        .size:           8
        .value_kind:     global_buffer
      - .offset:         64
        .size:           4
        .value_kind:     by_value
      - .offset:         68
        .size:           1
        .value_kind:     by_value
    .group_segment_fixed_size: 0
    .kernarg_segment_align: 8
    .kernarg_segment_size: 72
    .language:       OpenCL C
    .language_version:
      - 2
      - 0
    .max_flat_workgroup_size: 128
    .name:           _ZN9rocsparseL19gebsrmvn_2xn_kernelILj128ELj13ELj16EdEEvi20rocsparse_direction_NS_24const_host_device_scalarIT2_EEPKiS6_PKS3_S8_S4_PS3_21rocsparse_index_base_b
    .private_segment_fixed_size: 0
    .sgpr_count:     18
    .sgpr_spill_count: 0
    .symbol:         _ZN9rocsparseL19gebsrmvn_2xn_kernelILj128ELj13ELj16EdEEvi20rocsparse_direction_NS_24const_host_device_scalarIT2_EEPKiS6_PKS3_S8_S4_PS3_21rocsparse_index_base_b.kd
    .uniform_work_group_size: 1
    .uses_dynamic_stack: false
    .vgpr_count:     73
    .vgpr_spill_count: 0
    .wavefront_size: 32
    .workgroup_processor_mode: 1
  - .args:
      - .offset:         0
        .size:           4
        .value_kind:     by_value
      - .offset:         4
        .size:           4
        .value_kind:     by_value
      - .offset:         8
        .size:           8
        .value_kind:     by_value
      - .actual_access:  read_only
        .address_space:  global
        .offset:         16
        .size:           8
        .value_kind:     global_buffer
      - .actual_access:  read_only
        .address_space:  global
        .offset:         24
        .size:           8
        .value_kind:     global_buffer
      - .actual_access:  read_only
        .address_space:  global
        .offset:         32
        .size:           8
        .value_kind:     global_buffer
      - .actual_access:  read_only
        .address_space:  global
        .offset:         40
        .size:           8
        .value_kind:     global_buffer
      - .offset:         48
        .size:           8
        .value_kind:     by_value
      - .address_space:  global
        .offset:         56
        .size:           8
        .value_kind:     global_buffer
      - .offset:         64
        .size:           4
        .value_kind:     by_value
      - .offset:         68
        .size:           1
        .value_kind:     by_value
    .group_segment_fixed_size: 0
    .kernarg_segment_align: 8
    .kernarg_segment_size: 72
    .language:       OpenCL C
    .language_version:
      - 2
      - 0
    .max_flat_workgroup_size: 128
    .name:           _ZN9rocsparseL19gebsrmvn_2xn_kernelILj128ELj13ELj32EdEEvi20rocsparse_direction_NS_24const_host_device_scalarIT2_EEPKiS6_PKS3_S8_S4_PS3_21rocsparse_index_base_b
    .private_segment_fixed_size: 0
    .sgpr_count:     18
    .sgpr_spill_count: 0
    .symbol:         _ZN9rocsparseL19gebsrmvn_2xn_kernelILj128ELj13ELj32EdEEvi20rocsparse_direction_NS_24const_host_device_scalarIT2_EEPKiS6_PKS3_S8_S4_PS3_21rocsparse_index_base_b.kd
    .uniform_work_group_size: 1
    .uses_dynamic_stack: false
    .vgpr_count:     73
    .vgpr_spill_count: 0
    .wavefront_size: 32
    .workgroup_processor_mode: 1
  - .args:
      - .offset:         0
        .size:           4
        .value_kind:     by_value
      - .offset:         4
        .size:           4
        .value_kind:     by_value
      - .offset:         8
        .size:           8
        .value_kind:     by_value
      - .actual_access:  read_only
        .address_space:  global
        .offset:         16
        .size:           8
        .value_kind:     global_buffer
      - .actual_access:  read_only
        .address_space:  global
        .offset:         24
        .size:           8
        .value_kind:     global_buffer
      - .actual_access:  read_only
        .address_space:  global
        .offset:         32
        .size:           8
        .value_kind:     global_buffer
      - .actual_access:  read_only
        .address_space:  global
        .offset:         40
        .size:           8
        .value_kind:     global_buffer
      - .offset:         48
        .size:           8
        .value_kind:     by_value
      - .address_space:  global
        .offset:         56
        .size:           8
        .value_kind:     global_buffer
      - .offset:         64
        .size:           4
        .value_kind:     by_value
      - .offset:         68
        .size:           1
        .value_kind:     by_value
    .group_segment_fixed_size: 0
    .kernarg_segment_align: 8
    .kernarg_segment_size: 72
    .language:       OpenCL C
    .language_version:
      - 2
      - 0
    .max_flat_workgroup_size: 128
    .name:           _ZN9rocsparseL19gebsrmvn_2xn_kernelILj128ELj13ELj64EdEEvi20rocsparse_direction_NS_24const_host_device_scalarIT2_EEPKiS6_PKS3_S8_S4_PS3_21rocsparse_index_base_b
    .private_segment_fixed_size: 0
    .sgpr_count:     18
    .sgpr_spill_count: 0
    .symbol:         _ZN9rocsparseL19gebsrmvn_2xn_kernelILj128ELj13ELj64EdEEvi20rocsparse_direction_NS_24const_host_device_scalarIT2_EEPKiS6_PKS3_S8_S4_PS3_21rocsparse_index_base_b.kd
    .uniform_work_group_size: 1
    .uses_dynamic_stack: false
    .vgpr_count:     73
    .vgpr_spill_count: 0
    .wavefront_size: 32
    .workgroup_processor_mode: 1
  - .args:
      - .offset:         0
        .size:           4
        .value_kind:     by_value
      - .offset:         4
        .size:           4
        .value_kind:     by_value
      - .offset:         8
        .size:           8
        .value_kind:     by_value
      - .actual_access:  read_only
        .address_space:  global
        .offset:         16
        .size:           8
        .value_kind:     global_buffer
      - .actual_access:  read_only
        .address_space:  global
        .offset:         24
        .size:           8
        .value_kind:     global_buffer
      - .actual_access:  read_only
        .address_space:  global
        .offset:         32
        .size:           8
        .value_kind:     global_buffer
      - .actual_access:  read_only
        .address_space:  global
        .offset:         40
        .size:           8
        .value_kind:     global_buffer
      - .offset:         48
        .size:           8
        .value_kind:     by_value
      - .address_space:  global
        .offset:         56
        .size:           8
        .value_kind:     global_buffer
      - .offset:         64
        .size:           4
        .value_kind:     by_value
      - .offset:         68
        .size:           1
        .value_kind:     by_value
    .group_segment_fixed_size: 0
    .kernarg_segment_align: 8
    .kernarg_segment_size: 72
    .language:       OpenCL C
    .language_version:
      - 2
      - 0
    .max_flat_workgroup_size: 128
    .name:           _ZN9rocsparseL19gebsrmvn_2xn_kernelILj128ELj14ELj4EdEEvi20rocsparse_direction_NS_24const_host_device_scalarIT2_EEPKiS6_PKS3_S8_S4_PS3_21rocsparse_index_base_b
    .private_segment_fixed_size: 0
    .sgpr_count:     18
    .sgpr_spill_count: 0
    .symbol:         _ZN9rocsparseL19gebsrmvn_2xn_kernelILj128ELj14ELj4EdEEvi20rocsparse_direction_NS_24const_host_device_scalarIT2_EEPKiS6_PKS3_S8_S4_PS3_21rocsparse_index_base_b.kd
    .uniform_work_group_size: 1
    .uses_dynamic_stack: false
    .vgpr_count:     76
    .vgpr_spill_count: 0
    .wavefront_size: 32
    .workgroup_processor_mode: 1
  - .args:
      - .offset:         0
        .size:           4
        .value_kind:     by_value
      - .offset:         4
        .size:           4
        .value_kind:     by_value
      - .offset:         8
        .size:           8
        .value_kind:     by_value
      - .actual_access:  read_only
        .address_space:  global
        .offset:         16
        .size:           8
        .value_kind:     global_buffer
      - .actual_access:  read_only
        .address_space:  global
        .offset:         24
        .size:           8
        .value_kind:     global_buffer
      - .actual_access:  read_only
        .address_space:  global
        .offset:         32
        .size:           8
        .value_kind:     global_buffer
      - .actual_access:  read_only
        .address_space:  global
        .offset:         40
        .size:           8
        .value_kind:     global_buffer
      - .offset:         48
        .size:           8
        .value_kind:     by_value
      - .address_space:  global
        .offset:         56
        .size:           8
        .value_kind:     global_buffer
      - .offset:         64
        .size:           4
        .value_kind:     by_value
      - .offset:         68
        .size:           1
        .value_kind:     by_value
    .group_segment_fixed_size: 0
    .kernarg_segment_align: 8
    .kernarg_segment_size: 72
    .language:       OpenCL C
    .language_version:
      - 2
      - 0
    .max_flat_workgroup_size: 128
    .name:           _ZN9rocsparseL19gebsrmvn_2xn_kernelILj128ELj14ELj8EdEEvi20rocsparse_direction_NS_24const_host_device_scalarIT2_EEPKiS6_PKS3_S8_S4_PS3_21rocsparse_index_base_b
    .private_segment_fixed_size: 0
    .sgpr_count:     18
    .sgpr_spill_count: 0
    .symbol:         _ZN9rocsparseL19gebsrmvn_2xn_kernelILj128ELj14ELj8EdEEvi20rocsparse_direction_NS_24const_host_device_scalarIT2_EEPKiS6_PKS3_S8_S4_PS3_21rocsparse_index_base_b.kd
    .uniform_work_group_size: 1
    .uses_dynamic_stack: false
    .vgpr_count:     76
    .vgpr_spill_count: 0
    .wavefront_size: 32
    .workgroup_processor_mode: 1
  - .args:
      - .offset:         0
        .size:           4
        .value_kind:     by_value
      - .offset:         4
        .size:           4
        .value_kind:     by_value
      - .offset:         8
        .size:           8
        .value_kind:     by_value
      - .actual_access:  read_only
        .address_space:  global
        .offset:         16
        .size:           8
        .value_kind:     global_buffer
      - .actual_access:  read_only
        .address_space:  global
        .offset:         24
        .size:           8
        .value_kind:     global_buffer
      - .actual_access:  read_only
        .address_space:  global
        .offset:         32
        .size:           8
        .value_kind:     global_buffer
      - .actual_access:  read_only
        .address_space:  global
        .offset:         40
        .size:           8
        .value_kind:     global_buffer
      - .offset:         48
        .size:           8
        .value_kind:     by_value
      - .address_space:  global
        .offset:         56
        .size:           8
        .value_kind:     global_buffer
      - .offset:         64
        .size:           4
        .value_kind:     by_value
      - .offset:         68
        .size:           1
        .value_kind:     by_value
    .group_segment_fixed_size: 0
    .kernarg_segment_align: 8
    .kernarg_segment_size: 72
    .language:       OpenCL C
    .language_version:
      - 2
      - 0
    .max_flat_workgroup_size: 128
    .name:           _ZN9rocsparseL19gebsrmvn_2xn_kernelILj128ELj14ELj16EdEEvi20rocsparse_direction_NS_24const_host_device_scalarIT2_EEPKiS6_PKS3_S8_S4_PS3_21rocsparse_index_base_b
    .private_segment_fixed_size: 0
    .sgpr_count:     18
    .sgpr_spill_count: 0
    .symbol:         _ZN9rocsparseL19gebsrmvn_2xn_kernelILj128ELj14ELj16EdEEvi20rocsparse_direction_NS_24const_host_device_scalarIT2_EEPKiS6_PKS3_S8_S4_PS3_21rocsparse_index_base_b.kd
    .uniform_work_group_size: 1
    .uses_dynamic_stack: false
    .vgpr_count:     76
    .vgpr_spill_count: 0
    .wavefront_size: 32
    .workgroup_processor_mode: 1
  - .args:
      - .offset:         0
        .size:           4
        .value_kind:     by_value
      - .offset:         4
        .size:           4
        .value_kind:     by_value
      - .offset:         8
        .size:           8
        .value_kind:     by_value
      - .actual_access:  read_only
        .address_space:  global
        .offset:         16
        .size:           8
        .value_kind:     global_buffer
      - .actual_access:  read_only
        .address_space:  global
        .offset:         24
        .size:           8
        .value_kind:     global_buffer
      - .actual_access:  read_only
        .address_space:  global
        .offset:         32
        .size:           8
        .value_kind:     global_buffer
      - .actual_access:  read_only
        .address_space:  global
        .offset:         40
        .size:           8
        .value_kind:     global_buffer
      - .offset:         48
        .size:           8
        .value_kind:     by_value
      - .address_space:  global
        .offset:         56
        .size:           8
        .value_kind:     global_buffer
      - .offset:         64
        .size:           4
        .value_kind:     by_value
      - .offset:         68
        .size:           1
        .value_kind:     by_value
    .group_segment_fixed_size: 0
    .kernarg_segment_align: 8
    .kernarg_segment_size: 72
    .language:       OpenCL C
    .language_version:
      - 2
      - 0
    .max_flat_workgroup_size: 128
    .name:           _ZN9rocsparseL19gebsrmvn_2xn_kernelILj128ELj14ELj32EdEEvi20rocsparse_direction_NS_24const_host_device_scalarIT2_EEPKiS6_PKS3_S8_S4_PS3_21rocsparse_index_base_b
    .private_segment_fixed_size: 0
    .sgpr_count:     18
    .sgpr_spill_count: 0
    .symbol:         _ZN9rocsparseL19gebsrmvn_2xn_kernelILj128ELj14ELj32EdEEvi20rocsparse_direction_NS_24const_host_device_scalarIT2_EEPKiS6_PKS3_S8_S4_PS3_21rocsparse_index_base_b.kd
    .uniform_work_group_size: 1
    .uses_dynamic_stack: false
    .vgpr_count:     76
    .vgpr_spill_count: 0
    .wavefront_size: 32
    .workgroup_processor_mode: 1
  - .args:
      - .offset:         0
        .size:           4
        .value_kind:     by_value
      - .offset:         4
        .size:           4
        .value_kind:     by_value
      - .offset:         8
        .size:           8
        .value_kind:     by_value
      - .actual_access:  read_only
        .address_space:  global
        .offset:         16
        .size:           8
        .value_kind:     global_buffer
      - .actual_access:  read_only
        .address_space:  global
        .offset:         24
        .size:           8
        .value_kind:     global_buffer
      - .actual_access:  read_only
        .address_space:  global
        .offset:         32
        .size:           8
        .value_kind:     global_buffer
      - .actual_access:  read_only
        .address_space:  global
        .offset:         40
        .size:           8
        .value_kind:     global_buffer
      - .offset:         48
        .size:           8
        .value_kind:     by_value
      - .address_space:  global
        .offset:         56
        .size:           8
        .value_kind:     global_buffer
      - .offset:         64
        .size:           4
        .value_kind:     by_value
      - .offset:         68
        .size:           1
        .value_kind:     by_value
    .group_segment_fixed_size: 0
    .kernarg_segment_align: 8
    .kernarg_segment_size: 72
    .language:       OpenCL C
    .language_version:
      - 2
      - 0
    .max_flat_workgroup_size: 128
    .name:           _ZN9rocsparseL19gebsrmvn_2xn_kernelILj128ELj14ELj64EdEEvi20rocsparse_direction_NS_24const_host_device_scalarIT2_EEPKiS6_PKS3_S8_S4_PS3_21rocsparse_index_base_b
    .private_segment_fixed_size: 0
    .sgpr_count:     18
    .sgpr_spill_count: 0
    .symbol:         _ZN9rocsparseL19gebsrmvn_2xn_kernelILj128ELj14ELj64EdEEvi20rocsparse_direction_NS_24const_host_device_scalarIT2_EEPKiS6_PKS3_S8_S4_PS3_21rocsparse_index_base_b.kd
    .uniform_work_group_size: 1
    .uses_dynamic_stack: false
    .vgpr_count:     76
    .vgpr_spill_count: 0
    .wavefront_size: 32
    .workgroup_processor_mode: 1
  - .args:
      - .offset:         0
        .size:           4
        .value_kind:     by_value
      - .offset:         4
        .size:           4
        .value_kind:     by_value
      - .offset:         8
        .size:           8
        .value_kind:     by_value
      - .actual_access:  read_only
        .address_space:  global
        .offset:         16
        .size:           8
        .value_kind:     global_buffer
      - .actual_access:  read_only
        .address_space:  global
        .offset:         24
        .size:           8
        .value_kind:     global_buffer
      - .actual_access:  read_only
        .address_space:  global
        .offset:         32
        .size:           8
        .value_kind:     global_buffer
      - .actual_access:  read_only
        .address_space:  global
        .offset:         40
        .size:           8
        .value_kind:     global_buffer
      - .offset:         48
        .size:           8
        .value_kind:     by_value
      - .address_space:  global
        .offset:         56
        .size:           8
        .value_kind:     global_buffer
      - .offset:         64
        .size:           4
        .value_kind:     by_value
      - .offset:         68
        .size:           1
        .value_kind:     by_value
    .group_segment_fixed_size: 0
    .kernarg_segment_align: 8
    .kernarg_segment_size: 72
    .language:       OpenCL C
    .language_version:
      - 2
      - 0
    .max_flat_workgroup_size: 128
    .name:           _ZN9rocsparseL19gebsrmvn_2xn_kernelILj128ELj15ELj4EdEEvi20rocsparse_direction_NS_24const_host_device_scalarIT2_EEPKiS6_PKS3_S8_S4_PS3_21rocsparse_index_base_b
    .private_segment_fixed_size: 0
    .sgpr_count:     18
    .sgpr_spill_count: 0
    .symbol:         _ZN9rocsparseL19gebsrmvn_2xn_kernelILj128ELj15ELj4EdEEvi20rocsparse_direction_NS_24const_host_device_scalarIT2_EEPKiS6_PKS3_S8_S4_PS3_21rocsparse_index_base_b.kd
    .uniform_work_group_size: 1
    .uses_dynamic_stack: false
    .vgpr_count:     73
    .vgpr_spill_count: 0
    .wavefront_size: 32
    .workgroup_processor_mode: 1
  - .args:
      - .offset:         0
        .size:           4
        .value_kind:     by_value
      - .offset:         4
        .size:           4
        .value_kind:     by_value
      - .offset:         8
        .size:           8
        .value_kind:     by_value
      - .actual_access:  read_only
        .address_space:  global
        .offset:         16
        .size:           8
        .value_kind:     global_buffer
      - .actual_access:  read_only
        .address_space:  global
        .offset:         24
        .size:           8
        .value_kind:     global_buffer
      - .actual_access:  read_only
        .address_space:  global
        .offset:         32
        .size:           8
        .value_kind:     global_buffer
      - .actual_access:  read_only
        .address_space:  global
        .offset:         40
        .size:           8
        .value_kind:     global_buffer
      - .offset:         48
        .size:           8
        .value_kind:     by_value
      - .address_space:  global
        .offset:         56
        .size:           8
        .value_kind:     global_buffer
      - .offset:         64
        .size:           4
        .value_kind:     by_value
      - .offset:         68
        .size:           1
        .value_kind:     by_value
    .group_segment_fixed_size: 0
    .kernarg_segment_align: 8
    .kernarg_segment_size: 72
    .language:       OpenCL C
    .language_version:
      - 2
      - 0
    .max_flat_workgroup_size: 128
    .name:           _ZN9rocsparseL19gebsrmvn_2xn_kernelILj128ELj15ELj8EdEEvi20rocsparse_direction_NS_24const_host_device_scalarIT2_EEPKiS6_PKS3_S8_S4_PS3_21rocsparse_index_base_b
    .private_segment_fixed_size: 0
    .sgpr_count:     18
    .sgpr_spill_count: 0
    .symbol:         _ZN9rocsparseL19gebsrmvn_2xn_kernelILj128ELj15ELj8EdEEvi20rocsparse_direction_NS_24const_host_device_scalarIT2_EEPKiS6_PKS3_S8_S4_PS3_21rocsparse_index_base_b.kd
    .uniform_work_group_size: 1
    .uses_dynamic_stack: false
    .vgpr_count:     73
    .vgpr_spill_count: 0
    .wavefront_size: 32
    .workgroup_processor_mode: 1
  - .args:
      - .offset:         0
        .size:           4
        .value_kind:     by_value
      - .offset:         4
        .size:           4
        .value_kind:     by_value
      - .offset:         8
        .size:           8
        .value_kind:     by_value
      - .actual_access:  read_only
        .address_space:  global
        .offset:         16
        .size:           8
        .value_kind:     global_buffer
      - .actual_access:  read_only
        .address_space:  global
        .offset:         24
        .size:           8
        .value_kind:     global_buffer
      - .actual_access:  read_only
        .address_space:  global
        .offset:         32
        .size:           8
        .value_kind:     global_buffer
      - .actual_access:  read_only
        .address_space:  global
        .offset:         40
        .size:           8
        .value_kind:     global_buffer
      - .offset:         48
        .size:           8
        .value_kind:     by_value
      - .address_space:  global
        .offset:         56
        .size:           8
        .value_kind:     global_buffer
      - .offset:         64
        .size:           4
        .value_kind:     by_value
      - .offset:         68
        .size:           1
        .value_kind:     by_value
    .group_segment_fixed_size: 0
    .kernarg_segment_align: 8
    .kernarg_segment_size: 72
    .language:       OpenCL C
    .language_version:
      - 2
      - 0
    .max_flat_workgroup_size: 128
    .name:           _ZN9rocsparseL19gebsrmvn_2xn_kernelILj128ELj15ELj16EdEEvi20rocsparse_direction_NS_24const_host_device_scalarIT2_EEPKiS6_PKS3_S8_S4_PS3_21rocsparse_index_base_b
    .private_segment_fixed_size: 0
    .sgpr_count:     18
    .sgpr_spill_count: 0
    .symbol:         _ZN9rocsparseL19gebsrmvn_2xn_kernelILj128ELj15ELj16EdEEvi20rocsparse_direction_NS_24const_host_device_scalarIT2_EEPKiS6_PKS3_S8_S4_PS3_21rocsparse_index_base_b.kd
    .uniform_work_group_size: 1
    .uses_dynamic_stack: false
    .vgpr_count:     73
    .vgpr_spill_count: 0
    .wavefront_size: 32
    .workgroup_processor_mode: 1
  - .args:
      - .offset:         0
        .size:           4
        .value_kind:     by_value
      - .offset:         4
        .size:           4
        .value_kind:     by_value
      - .offset:         8
        .size:           8
        .value_kind:     by_value
      - .actual_access:  read_only
        .address_space:  global
        .offset:         16
        .size:           8
        .value_kind:     global_buffer
      - .actual_access:  read_only
        .address_space:  global
        .offset:         24
        .size:           8
        .value_kind:     global_buffer
      - .actual_access:  read_only
        .address_space:  global
        .offset:         32
        .size:           8
        .value_kind:     global_buffer
      - .actual_access:  read_only
        .address_space:  global
        .offset:         40
        .size:           8
        .value_kind:     global_buffer
      - .offset:         48
        .size:           8
        .value_kind:     by_value
      - .address_space:  global
        .offset:         56
        .size:           8
        .value_kind:     global_buffer
      - .offset:         64
        .size:           4
        .value_kind:     by_value
      - .offset:         68
        .size:           1
        .value_kind:     by_value
    .group_segment_fixed_size: 0
    .kernarg_segment_align: 8
    .kernarg_segment_size: 72
    .language:       OpenCL C
    .language_version:
      - 2
      - 0
    .max_flat_workgroup_size: 128
    .name:           _ZN9rocsparseL19gebsrmvn_2xn_kernelILj128ELj15ELj32EdEEvi20rocsparse_direction_NS_24const_host_device_scalarIT2_EEPKiS6_PKS3_S8_S4_PS3_21rocsparse_index_base_b
    .private_segment_fixed_size: 0
    .sgpr_count:     18
    .sgpr_spill_count: 0
    .symbol:         _ZN9rocsparseL19gebsrmvn_2xn_kernelILj128ELj15ELj32EdEEvi20rocsparse_direction_NS_24const_host_device_scalarIT2_EEPKiS6_PKS3_S8_S4_PS3_21rocsparse_index_base_b.kd
    .uniform_work_group_size: 1
    .uses_dynamic_stack: false
    .vgpr_count:     73
    .vgpr_spill_count: 0
    .wavefront_size: 32
    .workgroup_processor_mode: 1
  - .args:
      - .offset:         0
        .size:           4
        .value_kind:     by_value
      - .offset:         4
        .size:           4
        .value_kind:     by_value
      - .offset:         8
        .size:           8
        .value_kind:     by_value
      - .actual_access:  read_only
        .address_space:  global
        .offset:         16
        .size:           8
        .value_kind:     global_buffer
      - .actual_access:  read_only
        .address_space:  global
        .offset:         24
        .size:           8
        .value_kind:     global_buffer
      - .actual_access:  read_only
        .address_space:  global
        .offset:         32
        .size:           8
        .value_kind:     global_buffer
      - .actual_access:  read_only
        .address_space:  global
        .offset:         40
        .size:           8
        .value_kind:     global_buffer
      - .offset:         48
        .size:           8
        .value_kind:     by_value
      - .address_space:  global
        .offset:         56
        .size:           8
        .value_kind:     global_buffer
      - .offset:         64
        .size:           4
        .value_kind:     by_value
      - .offset:         68
        .size:           1
        .value_kind:     by_value
    .group_segment_fixed_size: 0
    .kernarg_segment_align: 8
    .kernarg_segment_size: 72
    .language:       OpenCL C
    .language_version:
      - 2
      - 0
    .max_flat_workgroup_size: 128
    .name:           _ZN9rocsparseL19gebsrmvn_2xn_kernelILj128ELj15ELj64EdEEvi20rocsparse_direction_NS_24const_host_device_scalarIT2_EEPKiS6_PKS3_S8_S4_PS3_21rocsparse_index_base_b
    .private_segment_fixed_size: 0
    .sgpr_count:     18
    .sgpr_spill_count: 0
    .symbol:         _ZN9rocsparseL19gebsrmvn_2xn_kernelILj128ELj15ELj64EdEEvi20rocsparse_direction_NS_24const_host_device_scalarIT2_EEPKiS6_PKS3_S8_S4_PS3_21rocsparse_index_base_b.kd
    .uniform_work_group_size: 1
    .uses_dynamic_stack: false
    .vgpr_count:     73
    .vgpr_spill_count: 0
    .wavefront_size: 32
    .workgroup_processor_mode: 1
  - .args:
      - .offset:         0
        .size:           4
        .value_kind:     by_value
      - .offset:         4
        .size:           4
        .value_kind:     by_value
      - .offset:         8
        .size:           8
        .value_kind:     by_value
      - .actual_access:  read_only
        .address_space:  global
        .offset:         16
        .size:           8
        .value_kind:     global_buffer
      - .actual_access:  read_only
        .address_space:  global
        .offset:         24
        .size:           8
        .value_kind:     global_buffer
      - .actual_access:  read_only
        .address_space:  global
        .offset:         32
        .size:           8
        .value_kind:     global_buffer
      - .actual_access:  read_only
        .address_space:  global
        .offset:         40
        .size:           8
        .value_kind:     global_buffer
      - .offset:         48
        .size:           8
        .value_kind:     by_value
      - .address_space:  global
        .offset:         56
        .size:           8
        .value_kind:     global_buffer
      - .offset:         64
        .size:           4
        .value_kind:     by_value
      - .offset:         68
        .size:           1
        .value_kind:     by_value
    .group_segment_fixed_size: 0
    .kernarg_segment_align: 8
    .kernarg_segment_size: 72
    .language:       OpenCL C
    .language_version:
      - 2
      - 0
    .max_flat_workgroup_size: 128
    .name:           _ZN9rocsparseL19gebsrmvn_2xn_kernelILj128ELj16ELj4EdEEvi20rocsparse_direction_NS_24const_host_device_scalarIT2_EEPKiS6_PKS3_S8_S4_PS3_21rocsparse_index_base_b
    .private_segment_fixed_size: 0
    .sgpr_count:     18
    .sgpr_spill_count: 0
    .symbol:         _ZN9rocsparseL19gebsrmvn_2xn_kernelILj128ELj16ELj4EdEEvi20rocsparse_direction_NS_24const_host_device_scalarIT2_EEPKiS6_PKS3_S8_S4_PS3_21rocsparse_index_base_b.kd
    .uniform_work_group_size: 1
    .uses_dynamic_stack: false
    .vgpr_count:     91
    .vgpr_spill_count: 0
    .wavefront_size: 32
    .workgroup_processor_mode: 1
  - .args:
      - .offset:         0
        .size:           4
        .value_kind:     by_value
      - .offset:         4
        .size:           4
        .value_kind:     by_value
      - .offset:         8
        .size:           8
        .value_kind:     by_value
      - .actual_access:  read_only
        .address_space:  global
        .offset:         16
        .size:           8
        .value_kind:     global_buffer
      - .actual_access:  read_only
        .address_space:  global
        .offset:         24
        .size:           8
        .value_kind:     global_buffer
      - .actual_access:  read_only
        .address_space:  global
        .offset:         32
        .size:           8
        .value_kind:     global_buffer
      - .actual_access:  read_only
        .address_space:  global
        .offset:         40
        .size:           8
        .value_kind:     global_buffer
      - .offset:         48
        .size:           8
        .value_kind:     by_value
      - .address_space:  global
        .offset:         56
        .size:           8
        .value_kind:     global_buffer
      - .offset:         64
        .size:           4
        .value_kind:     by_value
      - .offset:         68
        .size:           1
        .value_kind:     by_value
    .group_segment_fixed_size: 0
    .kernarg_segment_align: 8
    .kernarg_segment_size: 72
    .language:       OpenCL C
    .language_version:
      - 2
      - 0
    .max_flat_workgroup_size: 128
    .name:           _ZN9rocsparseL19gebsrmvn_2xn_kernelILj128ELj16ELj8EdEEvi20rocsparse_direction_NS_24const_host_device_scalarIT2_EEPKiS6_PKS3_S8_S4_PS3_21rocsparse_index_base_b
    .private_segment_fixed_size: 0
    .sgpr_count:     18
    .sgpr_spill_count: 0
    .symbol:         _ZN9rocsparseL19gebsrmvn_2xn_kernelILj128ELj16ELj8EdEEvi20rocsparse_direction_NS_24const_host_device_scalarIT2_EEPKiS6_PKS3_S8_S4_PS3_21rocsparse_index_base_b.kd
    .uniform_work_group_size: 1
    .uses_dynamic_stack: false
    .vgpr_count:     91
    .vgpr_spill_count: 0
    .wavefront_size: 32
    .workgroup_processor_mode: 1
  - .args:
      - .offset:         0
        .size:           4
        .value_kind:     by_value
      - .offset:         4
        .size:           4
        .value_kind:     by_value
      - .offset:         8
        .size:           8
        .value_kind:     by_value
      - .actual_access:  read_only
        .address_space:  global
        .offset:         16
        .size:           8
        .value_kind:     global_buffer
      - .actual_access:  read_only
        .address_space:  global
        .offset:         24
        .size:           8
        .value_kind:     global_buffer
      - .actual_access:  read_only
        .address_space:  global
        .offset:         32
        .size:           8
        .value_kind:     global_buffer
      - .actual_access:  read_only
        .address_space:  global
        .offset:         40
        .size:           8
        .value_kind:     global_buffer
      - .offset:         48
        .size:           8
        .value_kind:     by_value
      - .address_space:  global
        .offset:         56
        .size:           8
        .value_kind:     global_buffer
      - .offset:         64
        .size:           4
        .value_kind:     by_value
      - .offset:         68
        .size:           1
        .value_kind:     by_value
    .group_segment_fixed_size: 0
    .kernarg_segment_align: 8
    .kernarg_segment_size: 72
    .language:       OpenCL C
    .language_version:
      - 2
      - 0
    .max_flat_workgroup_size: 128
    .name:           _ZN9rocsparseL19gebsrmvn_2xn_kernelILj128ELj16ELj16EdEEvi20rocsparse_direction_NS_24const_host_device_scalarIT2_EEPKiS6_PKS3_S8_S4_PS3_21rocsparse_index_base_b
    .private_segment_fixed_size: 0
    .sgpr_count:     18
    .sgpr_spill_count: 0
    .symbol:         _ZN9rocsparseL19gebsrmvn_2xn_kernelILj128ELj16ELj16EdEEvi20rocsparse_direction_NS_24const_host_device_scalarIT2_EEPKiS6_PKS3_S8_S4_PS3_21rocsparse_index_base_b.kd
    .uniform_work_group_size: 1
    .uses_dynamic_stack: false
    .vgpr_count:     91
    .vgpr_spill_count: 0
    .wavefront_size: 32
    .workgroup_processor_mode: 1
  - .args:
      - .offset:         0
        .size:           4
        .value_kind:     by_value
      - .offset:         4
        .size:           4
        .value_kind:     by_value
      - .offset:         8
        .size:           8
        .value_kind:     by_value
      - .actual_access:  read_only
        .address_space:  global
        .offset:         16
        .size:           8
        .value_kind:     global_buffer
      - .actual_access:  read_only
        .address_space:  global
        .offset:         24
        .size:           8
        .value_kind:     global_buffer
      - .actual_access:  read_only
        .address_space:  global
        .offset:         32
        .size:           8
        .value_kind:     global_buffer
      - .actual_access:  read_only
        .address_space:  global
        .offset:         40
        .size:           8
        .value_kind:     global_buffer
      - .offset:         48
        .size:           8
        .value_kind:     by_value
      - .address_space:  global
        .offset:         56
        .size:           8
        .value_kind:     global_buffer
      - .offset:         64
        .size:           4
        .value_kind:     by_value
      - .offset:         68
        .size:           1
        .value_kind:     by_value
    .group_segment_fixed_size: 0
    .kernarg_segment_align: 8
    .kernarg_segment_size: 72
    .language:       OpenCL C
    .language_version:
      - 2
      - 0
    .max_flat_workgroup_size: 128
    .name:           _ZN9rocsparseL19gebsrmvn_2xn_kernelILj128ELj16ELj32EdEEvi20rocsparse_direction_NS_24const_host_device_scalarIT2_EEPKiS6_PKS3_S8_S4_PS3_21rocsparse_index_base_b
    .private_segment_fixed_size: 0
    .sgpr_count:     18
    .sgpr_spill_count: 0
    .symbol:         _ZN9rocsparseL19gebsrmvn_2xn_kernelILj128ELj16ELj32EdEEvi20rocsparse_direction_NS_24const_host_device_scalarIT2_EEPKiS6_PKS3_S8_S4_PS3_21rocsparse_index_base_b.kd
    .uniform_work_group_size: 1
    .uses_dynamic_stack: false
    .vgpr_count:     91
    .vgpr_spill_count: 0
    .wavefront_size: 32
    .workgroup_processor_mode: 1
  - .args:
      - .offset:         0
        .size:           4
        .value_kind:     by_value
      - .offset:         4
        .size:           4
        .value_kind:     by_value
      - .offset:         8
        .size:           8
        .value_kind:     by_value
      - .actual_access:  read_only
        .address_space:  global
        .offset:         16
        .size:           8
        .value_kind:     global_buffer
      - .actual_access:  read_only
        .address_space:  global
        .offset:         24
        .size:           8
        .value_kind:     global_buffer
      - .actual_access:  read_only
        .address_space:  global
        .offset:         32
        .size:           8
        .value_kind:     global_buffer
      - .actual_access:  read_only
        .address_space:  global
        .offset:         40
        .size:           8
        .value_kind:     global_buffer
      - .offset:         48
        .size:           8
        .value_kind:     by_value
      - .address_space:  global
        .offset:         56
        .size:           8
        .value_kind:     global_buffer
      - .offset:         64
        .size:           4
        .value_kind:     by_value
      - .offset:         68
        .size:           1
        .value_kind:     by_value
    .group_segment_fixed_size: 0
    .kernarg_segment_align: 8
    .kernarg_segment_size: 72
    .language:       OpenCL C
    .language_version:
      - 2
      - 0
    .max_flat_workgroup_size: 128
    .name:           _ZN9rocsparseL19gebsrmvn_2xn_kernelILj128ELj16ELj64EdEEvi20rocsparse_direction_NS_24const_host_device_scalarIT2_EEPKiS6_PKS3_S8_S4_PS3_21rocsparse_index_base_b
    .private_segment_fixed_size: 0
    .sgpr_count:     18
    .sgpr_spill_count: 0
    .symbol:         _ZN9rocsparseL19gebsrmvn_2xn_kernelILj128ELj16ELj64EdEEvi20rocsparse_direction_NS_24const_host_device_scalarIT2_EEPKiS6_PKS3_S8_S4_PS3_21rocsparse_index_base_b.kd
    .uniform_work_group_size: 1
    .uses_dynamic_stack: false
    .vgpr_count:     91
    .vgpr_spill_count: 0
    .wavefront_size: 32
    .workgroup_processor_mode: 1
  - .args:
      - .offset:         0
        .size:           4
        .value_kind:     by_value
      - .offset:         4
        .size:           4
        .value_kind:     by_value
      - .offset:         8
        .size:           8
        .value_kind:     by_value
      - .actual_access:  read_only
        .address_space:  global
        .offset:         16
        .size:           8
        .value_kind:     global_buffer
      - .actual_access:  read_only
        .address_space:  global
        .offset:         24
        .size:           8
        .value_kind:     global_buffer
      - .actual_access:  read_only
        .address_space:  global
        .offset:         32
        .size:           8
        .value_kind:     global_buffer
      - .offset:         40
        .size:           4
        .value_kind:     by_value
      - .offset:         44
        .size:           4
        .value_kind:     by_value
      - .actual_access:  read_only
        .address_space:  global
        .offset:         48
        .size:           8
        .value_kind:     global_buffer
      - .offset:         56
        .size:           8
        .value_kind:     by_value
      - .address_space:  global
        .offset:         64
        .size:           8
        .value_kind:     global_buffer
      - .offset:         72
        .size:           4
        .value_kind:     by_value
      - .offset:         76
        .size:           1
        .value_kind:     by_value
    .group_segment_fixed_size: 0
    .kernarg_segment_align: 8
    .kernarg_segment_size: 80
    .language:       OpenCL C
    .language_version:
      - 2
      - 0
    .max_flat_workgroup_size: 32
    .name:           _ZN9rocsparseL23gebsrmvn_general_kernelILj32ELj32EdEEvi20rocsparse_direction_NS_24const_host_device_scalarIT1_EEPKiS6_PKS3_iiS8_S4_PS3_21rocsparse_index_base_b
    .private_segment_fixed_size: 0
    .sgpr_count:     28
    .sgpr_spill_count: 0
    .symbol:         _ZN9rocsparseL23gebsrmvn_general_kernelILj32ELj32EdEEvi20rocsparse_direction_NS_24const_host_device_scalarIT1_EEPKiS6_PKS3_iiS8_S4_PS3_21rocsparse_index_base_b.kd
    .uniform_work_group_size: 1
    .uses_dynamic_stack: false
    .vgpr_count:     20
    .vgpr_spill_count: 0
    .wavefront_size: 32
    .workgroup_processor_mode: 1
  - .args:
      - .offset:         0
        .size:           4
        .value_kind:     by_value
      - .offset:         4
        .size:           4
        .value_kind:     by_value
      - .offset:         8
        .size:           8
        .value_kind:     by_value
      - .actual_access:  read_only
        .address_space:  global
        .offset:         16
        .size:           8
        .value_kind:     global_buffer
      - .actual_access:  read_only
        .address_space:  global
        .offset:         24
        .size:           8
        .value_kind:     global_buffer
      - .actual_access:  read_only
        .address_space:  global
        .offset:         32
        .size:           8
        .value_kind:     global_buffer
      - .actual_access:  read_only
        .address_space:  global
        .offset:         40
        .size:           8
        .value_kind:     global_buffer
      - .offset:         48
        .size:           8
        .value_kind:     by_value
      - .address_space:  global
        .offset:         56
        .size:           8
        .value_kind:     global_buffer
      - .offset:         64
        .size:           4
        .value_kind:     by_value
      - .offset:         68
        .size:           1
        .value_kind:     by_value
    .group_segment_fixed_size: 0
    .kernarg_segment_align: 8
    .kernarg_segment_size: 72
    .language:       OpenCL C
    .language_version:
      - 2
      - 0
    .max_flat_workgroup_size: 128
    .name:           _ZN9rocsparseL19gebsrmvn_2xn_kernelILj128ELj1ELj4E21rocsparse_complex_numIfEEEvi20rocsparse_direction_NS_24const_host_device_scalarIT2_EEPKiS8_PKS5_SA_S6_PS5_21rocsparse_index_base_b
    .private_segment_fixed_size: 0
    .sgpr_count:     18
    .sgpr_spill_count: 0
    .symbol:         _ZN9rocsparseL19gebsrmvn_2xn_kernelILj128ELj1ELj4E21rocsparse_complex_numIfEEEvi20rocsparse_direction_NS_24const_host_device_scalarIT2_EEPKiS8_PKS5_SA_S6_PS5_21rocsparse_index_base_b.kd
    .uniform_work_group_size: 1
    .uses_dynamic_stack: false
    .vgpr_count:     23
    .vgpr_spill_count: 0
    .wavefront_size: 32
    .workgroup_processor_mode: 1
  - .args:
      - .offset:         0
        .size:           4
        .value_kind:     by_value
      - .offset:         4
        .size:           4
        .value_kind:     by_value
      - .offset:         8
        .size:           8
        .value_kind:     by_value
      - .actual_access:  read_only
        .address_space:  global
        .offset:         16
        .size:           8
        .value_kind:     global_buffer
      - .actual_access:  read_only
        .address_space:  global
        .offset:         24
        .size:           8
        .value_kind:     global_buffer
      - .actual_access:  read_only
        .address_space:  global
        .offset:         32
        .size:           8
        .value_kind:     global_buffer
      - .actual_access:  read_only
        .address_space:  global
        .offset:         40
        .size:           8
        .value_kind:     global_buffer
      - .offset:         48
        .size:           8
        .value_kind:     by_value
      - .address_space:  global
        .offset:         56
        .size:           8
        .value_kind:     global_buffer
      - .offset:         64
        .size:           4
        .value_kind:     by_value
      - .offset:         68
        .size:           1
        .value_kind:     by_value
    .group_segment_fixed_size: 0
    .kernarg_segment_align: 8
    .kernarg_segment_size: 72
    .language:       OpenCL C
    .language_version:
      - 2
      - 0
    .max_flat_workgroup_size: 128
    .name:           _ZN9rocsparseL19gebsrmvn_2xn_kernelILj128ELj1ELj8E21rocsparse_complex_numIfEEEvi20rocsparse_direction_NS_24const_host_device_scalarIT2_EEPKiS8_PKS5_SA_S6_PS5_21rocsparse_index_base_b
    .private_segment_fixed_size: 0
    .sgpr_count:     18
    .sgpr_spill_count: 0
    .symbol:         _ZN9rocsparseL19gebsrmvn_2xn_kernelILj128ELj1ELj8E21rocsparse_complex_numIfEEEvi20rocsparse_direction_NS_24const_host_device_scalarIT2_EEPKiS8_PKS5_SA_S6_PS5_21rocsparse_index_base_b.kd
    .uniform_work_group_size: 1
    .uses_dynamic_stack: false
    .vgpr_count:     23
    .vgpr_spill_count: 0
    .wavefront_size: 32
    .workgroup_processor_mode: 1
  - .args:
      - .offset:         0
        .size:           4
        .value_kind:     by_value
      - .offset:         4
        .size:           4
        .value_kind:     by_value
      - .offset:         8
        .size:           8
        .value_kind:     by_value
      - .actual_access:  read_only
        .address_space:  global
        .offset:         16
        .size:           8
        .value_kind:     global_buffer
      - .actual_access:  read_only
        .address_space:  global
        .offset:         24
        .size:           8
        .value_kind:     global_buffer
      - .actual_access:  read_only
        .address_space:  global
        .offset:         32
        .size:           8
        .value_kind:     global_buffer
      - .actual_access:  read_only
        .address_space:  global
        .offset:         40
        .size:           8
        .value_kind:     global_buffer
      - .offset:         48
        .size:           8
        .value_kind:     by_value
      - .address_space:  global
        .offset:         56
        .size:           8
        .value_kind:     global_buffer
      - .offset:         64
        .size:           4
        .value_kind:     by_value
      - .offset:         68
        .size:           1
        .value_kind:     by_value
    .group_segment_fixed_size: 0
    .kernarg_segment_align: 8
    .kernarg_segment_size: 72
    .language:       OpenCL C
    .language_version:
      - 2
      - 0
    .max_flat_workgroup_size: 128
    .name:           _ZN9rocsparseL19gebsrmvn_2xn_kernelILj128ELj1ELj16E21rocsparse_complex_numIfEEEvi20rocsparse_direction_NS_24const_host_device_scalarIT2_EEPKiS8_PKS5_SA_S6_PS5_21rocsparse_index_base_b
    .private_segment_fixed_size: 0
    .sgpr_count:     18
    .sgpr_spill_count: 0
    .symbol:         _ZN9rocsparseL19gebsrmvn_2xn_kernelILj128ELj1ELj16E21rocsparse_complex_numIfEEEvi20rocsparse_direction_NS_24const_host_device_scalarIT2_EEPKiS8_PKS5_SA_S6_PS5_21rocsparse_index_base_b.kd
    .uniform_work_group_size: 1
    .uses_dynamic_stack: false
    .vgpr_count:     23
    .vgpr_spill_count: 0
    .wavefront_size: 32
    .workgroup_processor_mode: 1
  - .args:
      - .offset:         0
        .size:           4
        .value_kind:     by_value
      - .offset:         4
        .size:           4
        .value_kind:     by_value
      - .offset:         8
        .size:           8
        .value_kind:     by_value
      - .actual_access:  read_only
        .address_space:  global
        .offset:         16
        .size:           8
        .value_kind:     global_buffer
      - .actual_access:  read_only
        .address_space:  global
        .offset:         24
        .size:           8
        .value_kind:     global_buffer
      - .actual_access:  read_only
        .address_space:  global
        .offset:         32
        .size:           8
        .value_kind:     global_buffer
      - .actual_access:  read_only
        .address_space:  global
        .offset:         40
        .size:           8
        .value_kind:     global_buffer
      - .offset:         48
        .size:           8
        .value_kind:     by_value
      - .address_space:  global
        .offset:         56
        .size:           8
        .value_kind:     global_buffer
      - .offset:         64
        .size:           4
        .value_kind:     by_value
      - .offset:         68
        .size:           1
        .value_kind:     by_value
    .group_segment_fixed_size: 0
    .kernarg_segment_align: 8
    .kernarg_segment_size: 72
    .language:       OpenCL C
    .language_version:
      - 2
      - 0
    .max_flat_workgroup_size: 128
    .name:           _ZN9rocsparseL19gebsrmvn_2xn_kernelILj128ELj1ELj32E21rocsparse_complex_numIfEEEvi20rocsparse_direction_NS_24const_host_device_scalarIT2_EEPKiS8_PKS5_SA_S6_PS5_21rocsparse_index_base_b
    .private_segment_fixed_size: 0
    .sgpr_count:     18
    .sgpr_spill_count: 0
    .symbol:         _ZN9rocsparseL19gebsrmvn_2xn_kernelILj128ELj1ELj32E21rocsparse_complex_numIfEEEvi20rocsparse_direction_NS_24const_host_device_scalarIT2_EEPKiS8_PKS5_SA_S6_PS5_21rocsparse_index_base_b.kd
    .uniform_work_group_size: 1
    .uses_dynamic_stack: false
    .vgpr_count:     23
    .vgpr_spill_count: 0
    .wavefront_size: 32
    .workgroup_processor_mode: 1
  - .args:
      - .offset:         0
        .size:           4
        .value_kind:     by_value
      - .offset:         4
        .size:           4
        .value_kind:     by_value
      - .offset:         8
        .size:           8
        .value_kind:     by_value
      - .actual_access:  read_only
        .address_space:  global
        .offset:         16
        .size:           8
        .value_kind:     global_buffer
      - .actual_access:  read_only
        .address_space:  global
        .offset:         24
        .size:           8
        .value_kind:     global_buffer
      - .actual_access:  read_only
        .address_space:  global
        .offset:         32
        .size:           8
        .value_kind:     global_buffer
      - .actual_access:  read_only
        .address_space:  global
        .offset:         40
        .size:           8
        .value_kind:     global_buffer
      - .offset:         48
        .size:           8
        .value_kind:     by_value
      - .address_space:  global
        .offset:         56
        .size:           8
        .value_kind:     global_buffer
      - .offset:         64
        .size:           4
        .value_kind:     by_value
      - .offset:         68
        .size:           1
        .value_kind:     by_value
    .group_segment_fixed_size: 0
    .kernarg_segment_align: 8
    .kernarg_segment_size: 72
    .language:       OpenCL C
    .language_version:
      - 2
      - 0
    .max_flat_workgroup_size: 128
    .name:           _ZN9rocsparseL19gebsrmvn_2xn_kernelILj128ELj1ELj64E21rocsparse_complex_numIfEEEvi20rocsparse_direction_NS_24const_host_device_scalarIT2_EEPKiS8_PKS5_SA_S6_PS5_21rocsparse_index_base_b
    .private_segment_fixed_size: 0
    .sgpr_count:     18
    .sgpr_spill_count: 0
    .symbol:         _ZN9rocsparseL19gebsrmvn_2xn_kernelILj128ELj1ELj64E21rocsparse_complex_numIfEEEvi20rocsparse_direction_NS_24const_host_device_scalarIT2_EEPKiS8_PKS5_SA_S6_PS5_21rocsparse_index_base_b.kd
    .uniform_work_group_size: 1
    .uses_dynamic_stack: false
    .vgpr_count:     23
    .vgpr_spill_count: 0
    .wavefront_size: 32
    .workgroup_processor_mode: 1
  - .args:
      - .offset:         0
        .size:           4
        .value_kind:     by_value
      - .offset:         4
        .size:           4
        .value_kind:     by_value
      - .offset:         8
        .size:           8
        .value_kind:     by_value
      - .actual_access:  read_only
        .address_space:  global
        .offset:         16
        .size:           8
        .value_kind:     global_buffer
      - .actual_access:  read_only
        .address_space:  global
        .offset:         24
        .size:           8
        .value_kind:     global_buffer
      - .actual_access:  read_only
        .address_space:  global
        .offset:         32
        .size:           8
        .value_kind:     global_buffer
      - .actual_access:  read_only
        .address_space:  global
        .offset:         40
        .size:           8
        .value_kind:     global_buffer
      - .offset:         48
        .size:           8
        .value_kind:     by_value
      - .address_space:  global
        .offset:         56
        .size:           8
        .value_kind:     global_buffer
      - .offset:         64
        .size:           4
        .value_kind:     by_value
      - .offset:         68
        .size:           1
        .value_kind:     by_value
    .group_segment_fixed_size: 0
    .kernarg_segment_align: 8
    .kernarg_segment_size: 72
    .language:       OpenCL C
    .language_version:
      - 2
      - 0
    .max_flat_workgroup_size: 128
    .name:           _ZN9rocsparseL19gebsrmvn_2xn_kernelILj128ELj3ELj4E21rocsparse_complex_numIfEEEvi20rocsparse_direction_NS_24const_host_device_scalarIT2_EEPKiS8_PKS5_SA_S6_PS5_21rocsparse_index_base_b
    .private_segment_fixed_size: 0
    .sgpr_count:     18
    .sgpr_spill_count: 0
    .symbol:         _ZN9rocsparseL19gebsrmvn_2xn_kernelILj128ELj3ELj4E21rocsparse_complex_numIfEEEvi20rocsparse_direction_NS_24const_host_device_scalarIT2_EEPKiS8_PKS5_SA_S6_PS5_21rocsparse_index_base_b.kd
    .uniform_work_group_size: 1
    .uses_dynamic_stack: false
    .vgpr_count:     35
    .vgpr_spill_count: 0
    .wavefront_size: 32
    .workgroup_processor_mode: 1
  - .args:
      - .offset:         0
        .size:           4
        .value_kind:     by_value
      - .offset:         4
        .size:           4
        .value_kind:     by_value
      - .offset:         8
        .size:           8
        .value_kind:     by_value
      - .actual_access:  read_only
        .address_space:  global
        .offset:         16
        .size:           8
        .value_kind:     global_buffer
      - .actual_access:  read_only
        .address_space:  global
        .offset:         24
        .size:           8
        .value_kind:     global_buffer
      - .actual_access:  read_only
        .address_space:  global
        .offset:         32
        .size:           8
        .value_kind:     global_buffer
      - .actual_access:  read_only
        .address_space:  global
        .offset:         40
        .size:           8
        .value_kind:     global_buffer
      - .offset:         48
        .size:           8
        .value_kind:     by_value
      - .address_space:  global
        .offset:         56
        .size:           8
        .value_kind:     global_buffer
      - .offset:         64
        .size:           4
        .value_kind:     by_value
      - .offset:         68
        .size:           1
        .value_kind:     by_value
    .group_segment_fixed_size: 0
    .kernarg_segment_align: 8
    .kernarg_segment_size: 72
    .language:       OpenCL C
    .language_version:
      - 2
      - 0
    .max_flat_workgroup_size: 128
    .name:           _ZN9rocsparseL19gebsrmvn_2xn_kernelILj128ELj3ELj8E21rocsparse_complex_numIfEEEvi20rocsparse_direction_NS_24const_host_device_scalarIT2_EEPKiS8_PKS5_SA_S6_PS5_21rocsparse_index_base_b
    .private_segment_fixed_size: 0
    .sgpr_count:     18
    .sgpr_spill_count: 0
    .symbol:         _ZN9rocsparseL19gebsrmvn_2xn_kernelILj128ELj3ELj8E21rocsparse_complex_numIfEEEvi20rocsparse_direction_NS_24const_host_device_scalarIT2_EEPKiS8_PKS5_SA_S6_PS5_21rocsparse_index_base_b.kd
    .uniform_work_group_size: 1
    .uses_dynamic_stack: false
    .vgpr_count:     35
    .vgpr_spill_count: 0
    .wavefront_size: 32
    .workgroup_processor_mode: 1
  - .args:
      - .offset:         0
        .size:           4
        .value_kind:     by_value
      - .offset:         4
        .size:           4
        .value_kind:     by_value
      - .offset:         8
        .size:           8
        .value_kind:     by_value
      - .actual_access:  read_only
        .address_space:  global
        .offset:         16
        .size:           8
        .value_kind:     global_buffer
      - .actual_access:  read_only
        .address_space:  global
        .offset:         24
        .size:           8
        .value_kind:     global_buffer
      - .actual_access:  read_only
        .address_space:  global
        .offset:         32
        .size:           8
        .value_kind:     global_buffer
      - .actual_access:  read_only
        .address_space:  global
        .offset:         40
        .size:           8
        .value_kind:     global_buffer
      - .offset:         48
        .size:           8
        .value_kind:     by_value
      - .address_space:  global
        .offset:         56
        .size:           8
        .value_kind:     global_buffer
      - .offset:         64
        .size:           4
        .value_kind:     by_value
      - .offset:         68
        .size:           1
        .value_kind:     by_value
    .group_segment_fixed_size: 0
    .kernarg_segment_align: 8
    .kernarg_segment_size: 72
    .language:       OpenCL C
    .language_version:
      - 2
      - 0
    .max_flat_workgroup_size: 128
    .name:           _ZN9rocsparseL19gebsrmvn_2xn_kernelILj128ELj3ELj16E21rocsparse_complex_numIfEEEvi20rocsparse_direction_NS_24const_host_device_scalarIT2_EEPKiS8_PKS5_SA_S6_PS5_21rocsparse_index_base_b
    .private_segment_fixed_size: 0
    .sgpr_count:     18
    .sgpr_spill_count: 0
    .symbol:         _ZN9rocsparseL19gebsrmvn_2xn_kernelILj128ELj3ELj16E21rocsparse_complex_numIfEEEvi20rocsparse_direction_NS_24const_host_device_scalarIT2_EEPKiS8_PKS5_SA_S6_PS5_21rocsparse_index_base_b.kd
    .uniform_work_group_size: 1
    .uses_dynamic_stack: false
    .vgpr_count:     35
    .vgpr_spill_count: 0
    .wavefront_size: 32
    .workgroup_processor_mode: 1
  - .args:
      - .offset:         0
        .size:           4
        .value_kind:     by_value
      - .offset:         4
        .size:           4
        .value_kind:     by_value
      - .offset:         8
        .size:           8
        .value_kind:     by_value
      - .actual_access:  read_only
        .address_space:  global
        .offset:         16
        .size:           8
        .value_kind:     global_buffer
      - .actual_access:  read_only
        .address_space:  global
        .offset:         24
        .size:           8
        .value_kind:     global_buffer
      - .actual_access:  read_only
        .address_space:  global
        .offset:         32
        .size:           8
        .value_kind:     global_buffer
      - .actual_access:  read_only
        .address_space:  global
        .offset:         40
        .size:           8
        .value_kind:     global_buffer
      - .offset:         48
        .size:           8
        .value_kind:     by_value
      - .address_space:  global
        .offset:         56
        .size:           8
        .value_kind:     global_buffer
      - .offset:         64
        .size:           4
        .value_kind:     by_value
      - .offset:         68
        .size:           1
        .value_kind:     by_value
    .group_segment_fixed_size: 0
    .kernarg_segment_align: 8
    .kernarg_segment_size: 72
    .language:       OpenCL C
    .language_version:
      - 2
      - 0
    .max_flat_workgroup_size: 128
    .name:           _ZN9rocsparseL19gebsrmvn_2xn_kernelILj128ELj3ELj32E21rocsparse_complex_numIfEEEvi20rocsparse_direction_NS_24const_host_device_scalarIT2_EEPKiS8_PKS5_SA_S6_PS5_21rocsparse_index_base_b
    .private_segment_fixed_size: 0
    .sgpr_count:     18
    .sgpr_spill_count: 0
    .symbol:         _ZN9rocsparseL19gebsrmvn_2xn_kernelILj128ELj3ELj32E21rocsparse_complex_numIfEEEvi20rocsparse_direction_NS_24const_host_device_scalarIT2_EEPKiS8_PKS5_SA_S6_PS5_21rocsparse_index_base_b.kd
    .uniform_work_group_size: 1
    .uses_dynamic_stack: false
    .vgpr_count:     35
    .vgpr_spill_count: 0
    .wavefront_size: 32
    .workgroup_processor_mode: 1
  - .args:
      - .offset:         0
        .size:           4
        .value_kind:     by_value
      - .offset:         4
        .size:           4
        .value_kind:     by_value
      - .offset:         8
        .size:           8
        .value_kind:     by_value
      - .actual_access:  read_only
        .address_space:  global
        .offset:         16
        .size:           8
        .value_kind:     global_buffer
      - .actual_access:  read_only
        .address_space:  global
        .offset:         24
        .size:           8
        .value_kind:     global_buffer
      - .actual_access:  read_only
        .address_space:  global
        .offset:         32
        .size:           8
        .value_kind:     global_buffer
      - .actual_access:  read_only
        .address_space:  global
        .offset:         40
        .size:           8
        .value_kind:     global_buffer
      - .offset:         48
        .size:           8
        .value_kind:     by_value
      - .address_space:  global
        .offset:         56
        .size:           8
        .value_kind:     global_buffer
      - .offset:         64
        .size:           4
        .value_kind:     by_value
      - .offset:         68
        .size:           1
        .value_kind:     by_value
    .group_segment_fixed_size: 0
    .kernarg_segment_align: 8
    .kernarg_segment_size: 72
    .language:       OpenCL C
    .language_version:
      - 2
      - 0
    .max_flat_workgroup_size: 128
    .name:           _ZN9rocsparseL19gebsrmvn_2xn_kernelILj128ELj3ELj64E21rocsparse_complex_numIfEEEvi20rocsparse_direction_NS_24const_host_device_scalarIT2_EEPKiS8_PKS5_SA_S6_PS5_21rocsparse_index_base_b
    .private_segment_fixed_size: 0
    .sgpr_count:     18
    .sgpr_spill_count: 0
    .symbol:         _ZN9rocsparseL19gebsrmvn_2xn_kernelILj128ELj3ELj64E21rocsparse_complex_numIfEEEvi20rocsparse_direction_NS_24const_host_device_scalarIT2_EEPKiS8_PKS5_SA_S6_PS5_21rocsparse_index_base_b.kd
    .uniform_work_group_size: 1
    .uses_dynamic_stack: false
    .vgpr_count:     35
    .vgpr_spill_count: 0
    .wavefront_size: 32
    .workgroup_processor_mode: 1
  - .args:
      - .offset:         0
        .size:           4
        .value_kind:     by_value
      - .offset:         4
        .size:           4
        .value_kind:     by_value
      - .offset:         8
        .size:           8
        .value_kind:     by_value
      - .actual_access:  read_only
        .address_space:  global
        .offset:         16
        .size:           8
        .value_kind:     global_buffer
      - .actual_access:  read_only
        .address_space:  global
        .offset:         24
        .size:           8
        .value_kind:     global_buffer
      - .actual_access:  read_only
        .address_space:  global
        .offset:         32
        .size:           8
        .value_kind:     global_buffer
      - .actual_access:  read_only
        .address_space:  global
        .offset:         40
        .size:           8
        .value_kind:     global_buffer
      - .offset:         48
        .size:           8
        .value_kind:     by_value
      - .address_space:  global
        .offset:         56
        .size:           8
        .value_kind:     global_buffer
      - .offset:         64
        .size:           4
        .value_kind:     by_value
      - .offset:         68
        .size:           1
        .value_kind:     by_value
    .group_segment_fixed_size: 0
    .kernarg_segment_align: 8
    .kernarg_segment_size: 72
    .language:       OpenCL C
    .language_version:
      - 2
      - 0
    .max_flat_workgroup_size: 128
    .name:           _ZN9rocsparseL19gebsrmvn_2xn_kernelILj128ELj4ELj4E21rocsparse_complex_numIfEEEvi20rocsparse_direction_NS_24const_host_device_scalarIT2_EEPKiS8_PKS5_SA_S6_PS5_21rocsparse_index_base_b
    .private_segment_fixed_size: 0
    .sgpr_count:     18
    .sgpr_spill_count: 0
    .symbol:         _ZN9rocsparseL19gebsrmvn_2xn_kernelILj128ELj4ELj4E21rocsparse_complex_numIfEEEvi20rocsparse_direction_NS_24const_host_device_scalarIT2_EEPKiS8_PKS5_SA_S6_PS5_21rocsparse_index_base_b.kd
    .uniform_work_group_size: 1
    .uses_dynamic_stack: false
    .vgpr_count:     40
    .vgpr_spill_count: 0
    .wavefront_size: 32
    .workgroup_processor_mode: 1
  - .args:
      - .offset:         0
        .size:           4
        .value_kind:     by_value
      - .offset:         4
        .size:           4
        .value_kind:     by_value
      - .offset:         8
        .size:           8
        .value_kind:     by_value
      - .actual_access:  read_only
        .address_space:  global
        .offset:         16
        .size:           8
        .value_kind:     global_buffer
      - .actual_access:  read_only
        .address_space:  global
        .offset:         24
        .size:           8
        .value_kind:     global_buffer
      - .actual_access:  read_only
        .address_space:  global
        .offset:         32
        .size:           8
        .value_kind:     global_buffer
      - .actual_access:  read_only
        .address_space:  global
        .offset:         40
        .size:           8
        .value_kind:     global_buffer
      - .offset:         48
        .size:           8
        .value_kind:     by_value
      - .address_space:  global
        .offset:         56
        .size:           8
        .value_kind:     global_buffer
      - .offset:         64
        .size:           4
        .value_kind:     by_value
      - .offset:         68
        .size:           1
        .value_kind:     by_value
    .group_segment_fixed_size: 0
    .kernarg_segment_align: 8
    .kernarg_segment_size: 72
    .language:       OpenCL C
    .language_version:
      - 2
      - 0
    .max_flat_workgroup_size: 128
    .name:           _ZN9rocsparseL19gebsrmvn_2xn_kernelILj128ELj4ELj8E21rocsparse_complex_numIfEEEvi20rocsparse_direction_NS_24const_host_device_scalarIT2_EEPKiS8_PKS5_SA_S6_PS5_21rocsparse_index_base_b
    .private_segment_fixed_size: 0
    .sgpr_count:     18
    .sgpr_spill_count: 0
    .symbol:         _ZN9rocsparseL19gebsrmvn_2xn_kernelILj128ELj4ELj8E21rocsparse_complex_numIfEEEvi20rocsparse_direction_NS_24const_host_device_scalarIT2_EEPKiS8_PKS5_SA_S6_PS5_21rocsparse_index_base_b.kd
    .uniform_work_group_size: 1
    .uses_dynamic_stack: false
    .vgpr_count:     40
    .vgpr_spill_count: 0
    .wavefront_size: 32
    .workgroup_processor_mode: 1
  - .args:
      - .offset:         0
        .size:           4
        .value_kind:     by_value
      - .offset:         4
        .size:           4
        .value_kind:     by_value
      - .offset:         8
        .size:           8
        .value_kind:     by_value
      - .actual_access:  read_only
        .address_space:  global
        .offset:         16
        .size:           8
        .value_kind:     global_buffer
      - .actual_access:  read_only
        .address_space:  global
        .offset:         24
        .size:           8
        .value_kind:     global_buffer
      - .actual_access:  read_only
        .address_space:  global
        .offset:         32
        .size:           8
        .value_kind:     global_buffer
      - .actual_access:  read_only
        .address_space:  global
        .offset:         40
        .size:           8
        .value_kind:     global_buffer
      - .offset:         48
        .size:           8
        .value_kind:     by_value
      - .address_space:  global
        .offset:         56
        .size:           8
        .value_kind:     global_buffer
      - .offset:         64
        .size:           4
        .value_kind:     by_value
      - .offset:         68
        .size:           1
        .value_kind:     by_value
    .group_segment_fixed_size: 0
    .kernarg_segment_align: 8
    .kernarg_segment_size: 72
    .language:       OpenCL C
    .language_version:
      - 2
      - 0
    .max_flat_workgroup_size: 128
    .name:           _ZN9rocsparseL19gebsrmvn_2xn_kernelILj128ELj4ELj16E21rocsparse_complex_numIfEEEvi20rocsparse_direction_NS_24const_host_device_scalarIT2_EEPKiS8_PKS5_SA_S6_PS5_21rocsparse_index_base_b
    .private_segment_fixed_size: 0
    .sgpr_count:     18
    .sgpr_spill_count: 0
    .symbol:         _ZN9rocsparseL19gebsrmvn_2xn_kernelILj128ELj4ELj16E21rocsparse_complex_numIfEEEvi20rocsparse_direction_NS_24const_host_device_scalarIT2_EEPKiS8_PKS5_SA_S6_PS5_21rocsparse_index_base_b.kd
    .uniform_work_group_size: 1
    .uses_dynamic_stack: false
    .vgpr_count:     40
    .vgpr_spill_count: 0
    .wavefront_size: 32
    .workgroup_processor_mode: 1
  - .args:
      - .offset:         0
        .size:           4
        .value_kind:     by_value
      - .offset:         4
        .size:           4
        .value_kind:     by_value
      - .offset:         8
        .size:           8
        .value_kind:     by_value
      - .actual_access:  read_only
        .address_space:  global
        .offset:         16
        .size:           8
        .value_kind:     global_buffer
      - .actual_access:  read_only
        .address_space:  global
        .offset:         24
        .size:           8
        .value_kind:     global_buffer
      - .actual_access:  read_only
        .address_space:  global
        .offset:         32
        .size:           8
        .value_kind:     global_buffer
      - .actual_access:  read_only
        .address_space:  global
        .offset:         40
        .size:           8
        .value_kind:     global_buffer
      - .offset:         48
        .size:           8
        .value_kind:     by_value
      - .address_space:  global
        .offset:         56
        .size:           8
        .value_kind:     global_buffer
      - .offset:         64
        .size:           4
        .value_kind:     by_value
      - .offset:         68
        .size:           1
        .value_kind:     by_value
    .group_segment_fixed_size: 0
    .kernarg_segment_align: 8
    .kernarg_segment_size: 72
    .language:       OpenCL C
    .language_version:
      - 2
      - 0
    .max_flat_workgroup_size: 128
    .name:           _ZN9rocsparseL19gebsrmvn_2xn_kernelILj128ELj4ELj32E21rocsparse_complex_numIfEEEvi20rocsparse_direction_NS_24const_host_device_scalarIT2_EEPKiS8_PKS5_SA_S6_PS5_21rocsparse_index_base_b
    .private_segment_fixed_size: 0
    .sgpr_count:     18
    .sgpr_spill_count: 0
    .symbol:         _ZN9rocsparseL19gebsrmvn_2xn_kernelILj128ELj4ELj32E21rocsparse_complex_numIfEEEvi20rocsparse_direction_NS_24const_host_device_scalarIT2_EEPKiS8_PKS5_SA_S6_PS5_21rocsparse_index_base_b.kd
    .uniform_work_group_size: 1
    .uses_dynamic_stack: false
    .vgpr_count:     40
    .vgpr_spill_count: 0
    .wavefront_size: 32
    .workgroup_processor_mode: 1
  - .args:
      - .offset:         0
        .size:           4
        .value_kind:     by_value
      - .offset:         4
        .size:           4
        .value_kind:     by_value
      - .offset:         8
        .size:           8
        .value_kind:     by_value
      - .actual_access:  read_only
        .address_space:  global
        .offset:         16
        .size:           8
        .value_kind:     global_buffer
      - .actual_access:  read_only
        .address_space:  global
        .offset:         24
        .size:           8
        .value_kind:     global_buffer
      - .actual_access:  read_only
        .address_space:  global
        .offset:         32
        .size:           8
        .value_kind:     global_buffer
      - .actual_access:  read_only
        .address_space:  global
        .offset:         40
        .size:           8
        .value_kind:     global_buffer
      - .offset:         48
        .size:           8
        .value_kind:     by_value
      - .address_space:  global
        .offset:         56
        .size:           8
        .value_kind:     global_buffer
      - .offset:         64
        .size:           4
        .value_kind:     by_value
      - .offset:         68
        .size:           1
        .value_kind:     by_value
    .group_segment_fixed_size: 0
    .kernarg_segment_align: 8
    .kernarg_segment_size: 72
    .language:       OpenCL C
    .language_version:
      - 2
      - 0
    .max_flat_workgroup_size: 128
    .name:           _ZN9rocsparseL19gebsrmvn_2xn_kernelILj128ELj4ELj64E21rocsparse_complex_numIfEEEvi20rocsparse_direction_NS_24const_host_device_scalarIT2_EEPKiS8_PKS5_SA_S6_PS5_21rocsparse_index_base_b
    .private_segment_fixed_size: 0
    .sgpr_count:     18
    .sgpr_spill_count: 0
    .symbol:         _ZN9rocsparseL19gebsrmvn_2xn_kernelILj128ELj4ELj64E21rocsparse_complex_numIfEEEvi20rocsparse_direction_NS_24const_host_device_scalarIT2_EEPKiS8_PKS5_SA_S6_PS5_21rocsparse_index_base_b.kd
    .uniform_work_group_size: 1
    .uses_dynamic_stack: false
    .vgpr_count:     40
    .vgpr_spill_count: 0
    .wavefront_size: 32
    .workgroup_processor_mode: 1
  - .args:
      - .offset:         0
        .size:           4
        .value_kind:     by_value
      - .offset:         4
        .size:           4
        .value_kind:     by_value
      - .offset:         8
        .size:           8
        .value_kind:     by_value
      - .actual_access:  read_only
        .address_space:  global
        .offset:         16
        .size:           8
        .value_kind:     global_buffer
      - .actual_access:  read_only
        .address_space:  global
        .offset:         24
        .size:           8
        .value_kind:     global_buffer
      - .actual_access:  read_only
        .address_space:  global
        .offset:         32
        .size:           8
        .value_kind:     global_buffer
      - .actual_access:  read_only
        .address_space:  global
        .offset:         40
        .size:           8
        .value_kind:     global_buffer
      - .offset:         48
        .size:           8
        .value_kind:     by_value
      - .address_space:  global
        .offset:         56
        .size:           8
        .value_kind:     global_buffer
      - .offset:         64
        .size:           4
        .value_kind:     by_value
      - .offset:         68
        .size:           1
        .value_kind:     by_value
    .group_segment_fixed_size: 0
    .kernarg_segment_align: 8
    .kernarg_segment_size: 72
    .language:       OpenCL C
    .language_version:
      - 2
      - 0
    .max_flat_workgroup_size: 128
    .name:           _ZN9rocsparseL19gebsrmvn_2xn_kernelILj128ELj5ELj4E21rocsparse_complex_numIfEEEvi20rocsparse_direction_NS_24const_host_device_scalarIT2_EEPKiS8_PKS5_SA_S6_PS5_21rocsparse_index_base_b
    .private_segment_fixed_size: 0
    .sgpr_count:     18
    .sgpr_spill_count: 0
    .symbol:         _ZN9rocsparseL19gebsrmvn_2xn_kernelILj128ELj5ELj4E21rocsparse_complex_numIfEEEvi20rocsparse_direction_NS_24const_host_device_scalarIT2_EEPKiS8_PKS5_SA_S6_PS5_21rocsparse_index_base_b.kd
    .uniform_work_group_size: 1
    .uses_dynamic_stack: false
    .vgpr_count:     48
    .vgpr_spill_count: 0
    .wavefront_size: 32
    .workgroup_processor_mode: 1
  - .args:
      - .offset:         0
        .size:           4
        .value_kind:     by_value
      - .offset:         4
        .size:           4
        .value_kind:     by_value
      - .offset:         8
        .size:           8
        .value_kind:     by_value
      - .actual_access:  read_only
        .address_space:  global
        .offset:         16
        .size:           8
        .value_kind:     global_buffer
      - .actual_access:  read_only
        .address_space:  global
        .offset:         24
        .size:           8
        .value_kind:     global_buffer
      - .actual_access:  read_only
        .address_space:  global
        .offset:         32
        .size:           8
        .value_kind:     global_buffer
      - .actual_access:  read_only
        .address_space:  global
        .offset:         40
        .size:           8
        .value_kind:     global_buffer
      - .offset:         48
        .size:           8
        .value_kind:     by_value
      - .address_space:  global
        .offset:         56
        .size:           8
        .value_kind:     global_buffer
      - .offset:         64
        .size:           4
        .value_kind:     by_value
      - .offset:         68
        .size:           1
        .value_kind:     by_value
    .group_segment_fixed_size: 0
    .kernarg_segment_align: 8
    .kernarg_segment_size: 72
    .language:       OpenCL C
    .language_version:
      - 2
      - 0
    .max_flat_workgroup_size: 128
    .name:           _ZN9rocsparseL19gebsrmvn_2xn_kernelILj128ELj5ELj8E21rocsparse_complex_numIfEEEvi20rocsparse_direction_NS_24const_host_device_scalarIT2_EEPKiS8_PKS5_SA_S6_PS5_21rocsparse_index_base_b
    .private_segment_fixed_size: 0
    .sgpr_count:     18
    .sgpr_spill_count: 0
    .symbol:         _ZN9rocsparseL19gebsrmvn_2xn_kernelILj128ELj5ELj8E21rocsparse_complex_numIfEEEvi20rocsparse_direction_NS_24const_host_device_scalarIT2_EEPKiS8_PKS5_SA_S6_PS5_21rocsparse_index_base_b.kd
    .uniform_work_group_size: 1
    .uses_dynamic_stack: false
    .vgpr_count:     48
    .vgpr_spill_count: 0
    .wavefront_size: 32
    .workgroup_processor_mode: 1
  - .args:
      - .offset:         0
        .size:           4
        .value_kind:     by_value
      - .offset:         4
        .size:           4
        .value_kind:     by_value
      - .offset:         8
        .size:           8
        .value_kind:     by_value
      - .actual_access:  read_only
        .address_space:  global
        .offset:         16
        .size:           8
        .value_kind:     global_buffer
      - .actual_access:  read_only
        .address_space:  global
        .offset:         24
        .size:           8
        .value_kind:     global_buffer
      - .actual_access:  read_only
        .address_space:  global
        .offset:         32
        .size:           8
        .value_kind:     global_buffer
      - .actual_access:  read_only
        .address_space:  global
        .offset:         40
        .size:           8
        .value_kind:     global_buffer
      - .offset:         48
        .size:           8
        .value_kind:     by_value
      - .address_space:  global
        .offset:         56
        .size:           8
        .value_kind:     global_buffer
      - .offset:         64
        .size:           4
        .value_kind:     by_value
      - .offset:         68
        .size:           1
        .value_kind:     by_value
    .group_segment_fixed_size: 0
    .kernarg_segment_align: 8
    .kernarg_segment_size: 72
    .language:       OpenCL C
    .language_version:
      - 2
      - 0
    .max_flat_workgroup_size: 128
    .name:           _ZN9rocsparseL19gebsrmvn_2xn_kernelILj128ELj5ELj16E21rocsparse_complex_numIfEEEvi20rocsparse_direction_NS_24const_host_device_scalarIT2_EEPKiS8_PKS5_SA_S6_PS5_21rocsparse_index_base_b
    .private_segment_fixed_size: 0
    .sgpr_count:     18
    .sgpr_spill_count: 0
    .symbol:         _ZN9rocsparseL19gebsrmvn_2xn_kernelILj128ELj5ELj16E21rocsparse_complex_numIfEEEvi20rocsparse_direction_NS_24const_host_device_scalarIT2_EEPKiS8_PKS5_SA_S6_PS5_21rocsparse_index_base_b.kd
    .uniform_work_group_size: 1
    .uses_dynamic_stack: false
    .vgpr_count:     48
    .vgpr_spill_count: 0
    .wavefront_size: 32
    .workgroup_processor_mode: 1
  - .args:
      - .offset:         0
        .size:           4
        .value_kind:     by_value
      - .offset:         4
        .size:           4
        .value_kind:     by_value
      - .offset:         8
        .size:           8
        .value_kind:     by_value
      - .actual_access:  read_only
        .address_space:  global
        .offset:         16
        .size:           8
        .value_kind:     global_buffer
      - .actual_access:  read_only
        .address_space:  global
        .offset:         24
        .size:           8
        .value_kind:     global_buffer
      - .actual_access:  read_only
        .address_space:  global
        .offset:         32
        .size:           8
        .value_kind:     global_buffer
      - .actual_access:  read_only
        .address_space:  global
        .offset:         40
        .size:           8
        .value_kind:     global_buffer
      - .offset:         48
        .size:           8
        .value_kind:     by_value
      - .address_space:  global
        .offset:         56
        .size:           8
        .value_kind:     global_buffer
      - .offset:         64
        .size:           4
        .value_kind:     by_value
      - .offset:         68
        .size:           1
        .value_kind:     by_value
    .group_segment_fixed_size: 0
    .kernarg_segment_align: 8
    .kernarg_segment_size: 72
    .language:       OpenCL C
    .language_version:
      - 2
      - 0
    .max_flat_workgroup_size: 128
    .name:           _ZN9rocsparseL19gebsrmvn_2xn_kernelILj128ELj5ELj32E21rocsparse_complex_numIfEEEvi20rocsparse_direction_NS_24const_host_device_scalarIT2_EEPKiS8_PKS5_SA_S6_PS5_21rocsparse_index_base_b
    .private_segment_fixed_size: 0
    .sgpr_count:     18
    .sgpr_spill_count: 0
    .symbol:         _ZN9rocsparseL19gebsrmvn_2xn_kernelILj128ELj5ELj32E21rocsparse_complex_numIfEEEvi20rocsparse_direction_NS_24const_host_device_scalarIT2_EEPKiS8_PKS5_SA_S6_PS5_21rocsparse_index_base_b.kd
    .uniform_work_group_size: 1
    .uses_dynamic_stack: false
    .vgpr_count:     48
    .vgpr_spill_count: 0
    .wavefront_size: 32
    .workgroup_processor_mode: 1
  - .args:
      - .offset:         0
        .size:           4
        .value_kind:     by_value
      - .offset:         4
        .size:           4
        .value_kind:     by_value
      - .offset:         8
        .size:           8
        .value_kind:     by_value
      - .actual_access:  read_only
        .address_space:  global
        .offset:         16
        .size:           8
        .value_kind:     global_buffer
      - .actual_access:  read_only
        .address_space:  global
        .offset:         24
        .size:           8
        .value_kind:     global_buffer
      - .actual_access:  read_only
        .address_space:  global
        .offset:         32
        .size:           8
        .value_kind:     global_buffer
      - .actual_access:  read_only
        .address_space:  global
        .offset:         40
        .size:           8
        .value_kind:     global_buffer
      - .offset:         48
        .size:           8
        .value_kind:     by_value
      - .address_space:  global
        .offset:         56
        .size:           8
        .value_kind:     global_buffer
      - .offset:         64
        .size:           4
        .value_kind:     by_value
      - .offset:         68
        .size:           1
        .value_kind:     by_value
    .group_segment_fixed_size: 0
    .kernarg_segment_align: 8
    .kernarg_segment_size: 72
    .language:       OpenCL C
    .language_version:
      - 2
      - 0
    .max_flat_workgroup_size: 128
    .name:           _ZN9rocsparseL19gebsrmvn_2xn_kernelILj128ELj5ELj64E21rocsparse_complex_numIfEEEvi20rocsparse_direction_NS_24const_host_device_scalarIT2_EEPKiS8_PKS5_SA_S6_PS5_21rocsparse_index_base_b
    .private_segment_fixed_size: 0
    .sgpr_count:     18
    .sgpr_spill_count: 0
    .symbol:         _ZN9rocsparseL19gebsrmvn_2xn_kernelILj128ELj5ELj64E21rocsparse_complex_numIfEEEvi20rocsparse_direction_NS_24const_host_device_scalarIT2_EEPKiS8_PKS5_SA_S6_PS5_21rocsparse_index_base_b.kd
    .uniform_work_group_size: 1
    .uses_dynamic_stack: false
    .vgpr_count:     48
    .vgpr_spill_count: 0
    .wavefront_size: 32
    .workgroup_processor_mode: 1
  - .args:
      - .offset:         0
        .size:           4
        .value_kind:     by_value
      - .offset:         4
        .size:           4
        .value_kind:     by_value
      - .offset:         8
        .size:           8
        .value_kind:     by_value
      - .actual_access:  read_only
        .address_space:  global
        .offset:         16
        .size:           8
        .value_kind:     global_buffer
      - .actual_access:  read_only
        .address_space:  global
        .offset:         24
        .size:           8
        .value_kind:     global_buffer
      - .actual_access:  read_only
        .address_space:  global
        .offset:         32
        .size:           8
        .value_kind:     global_buffer
      - .actual_access:  read_only
        .address_space:  global
        .offset:         40
        .size:           8
        .value_kind:     global_buffer
      - .offset:         48
        .size:           8
        .value_kind:     by_value
      - .address_space:  global
        .offset:         56
        .size:           8
        .value_kind:     global_buffer
      - .offset:         64
        .size:           4
        .value_kind:     by_value
      - .offset:         68
        .size:           1
        .value_kind:     by_value
    .group_segment_fixed_size: 0
    .kernarg_segment_align: 8
    .kernarg_segment_size: 72
    .language:       OpenCL C
    .language_version:
      - 2
      - 0
    .max_flat_workgroup_size: 128
    .name:           _ZN9rocsparseL19gebsrmvn_2xn_kernelILj128ELj6ELj4E21rocsparse_complex_numIfEEEvi20rocsparse_direction_NS_24const_host_device_scalarIT2_EEPKiS8_PKS5_SA_S6_PS5_21rocsparse_index_base_b
    .private_segment_fixed_size: 0
    .sgpr_count:     18
    .sgpr_spill_count: 0
    .symbol:         _ZN9rocsparseL19gebsrmvn_2xn_kernelILj128ELj6ELj4E21rocsparse_complex_numIfEEEvi20rocsparse_direction_NS_24const_host_device_scalarIT2_EEPKiS8_PKS5_SA_S6_PS5_21rocsparse_index_base_b.kd
    .uniform_work_group_size: 1
    .uses_dynamic_stack: false
    .vgpr_count:     54
    .vgpr_spill_count: 0
    .wavefront_size: 32
    .workgroup_processor_mode: 1
  - .args:
      - .offset:         0
        .size:           4
        .value_kind:     by_value
      - .offset:         4
        .size:           4
        .value_kind:     by_value
      - .offset:         8
        .size:           8
        .value_kind:     by_value
      - .actual_access:  read_only
        .address_space:  global
        .offset:         16
        .size:           8
        .value_kind:     global_buffer
      - .actual_access:  read_only
        .address_space:  global
        .offset:         24
        .size:           8
        .value_kind:     global_buffer
      - .actual_access:  read_only
        .address_space:  global
        .offset:         32
        .size:           8
        .value_kind:     global_buffer
      - .actual_access:  read_only
        .address_space:  global
        .offset:         40
        .size:           8
        .value_kind:     global_buffer
      - .offset:         48
        .size:           8
        .value_kind:     by_value
      - .address_space:  global
        .offset:         56
        .size:           8
        .value_kind:     global_buffer
      - .offset:         64
        .size:           4
        .value_kind:     by_value
      - .offset:         68
        .size:           1
        .value_kind:     by_value
    .group_segment_fixed_size: 0
    .kernarg_segment_align: 8
    .kernarg_segment_size: 72
    .language:       OpenCL C
    .language_version:
      - 2
      - 0
    .max_flat_workgroup_size: 128
    .name:           _ZN9rocsparseL19gebsrmvn_2xn_kernelILj128ELj6ELj8E21rocsparse_complex_numIfEEEvi20rocsparse_direction_NS_24const_host_device_scalarIT2_EEPKiS8_PKS5_SA_S6_PS5_21rocsparse_index_base_b
    .private_segment_fixed_size: 0
    .sgpr_count:     18
    .sgpr_spill_count: 0
    .symbol:         _ZN9rocsparseL19gebsrmvn_2xn_kernelILj128ELj6ELj8E21rocsparse_complex_numIfEEEvi20rocsparse_direction_NS_24const_host_device_scalarIT2_EEPKiS8_PKS5_SA_S6_PS5_21rocsparse_index_base_b.kd
    .uniform_work_group_size: 1
    .uses_dynamic_stack: false
    .vgpr_count:     54
    .vgpr_spill_count: 0
    .wavefront_size: 32
    .workgroup_processor_mode: 1
  - .args:
      - .offset:         0
        .size:           4
        .value_kind:     by_value
      - .offset:         4
        .size:           4
        .value_kind:     by_value
      - .offset:         8
        .size:           8
        .value_kind:     by_value
      - .actual_access:  read_only
        .address_space:  global
        .offset:         16
        .size:           8
        .value_kind:     global_buffer
      - .actual_access:  read_only
        .address_space:  global
        .offset:         24
        .size:           8
        .value_kind:     global_buffer
      - .actual_access:  read_only
        .address_space:  global
        .offset:         32
        .size:           8
        .value_kind:     global_buffer
      - .actual_access:  read_only
        .address_space:  global
        .offset:         40
        .size:           8
        .value_kind:     global_buffer
      - .offset:         48
        .size:           8
        .value_kind:     by_value
      - .address_space:  global
        .offset:         56
        .size:           8
        .value_kind:     global_buffer
      - .offset:         64
        .size:           4
        .value_kind:     by_value
      - .offset:         68
        .size:           1
        .value_kind:     by_value
    .group_segment_fixed_size: 0
    .kernarg_segment_align: 8
    .kernarg_segment_size: 72
    .language:       OpenCL C
    .language_version:
      - 2
      - 0
    .max_flat_workgroup_size: 128
    .name:           _ZN9rocsparseL19gebsrmvn_2xn_kernelILj128ELj6ELj16E21rocsparse_complex_numIfEEEvi20rocsparse_direction_NS_24const_host_device_scalarIT2_EEPKiS8_PKS5_SA_S6_PS5_21rocsparse_index_base_b
    .private_segment_fixed_size: 0
    .sgpr_count:     18
    .sgpr_spill_count: 0
    .symbol:         _ZN9rocsparseL19gebsrmvn_2xn_kernelILj128ELj6ELj16E21rocsparse_complex_numIfEEEvi20rocsparse_direction_NS_24const_host_device_scalarIT2_EEPKiS8_PKS5_SA_S6_PS5_21rocsparse_index_base_b.kd
    .uniform_work_group_size: 1
    .uses_dynamic_stack: false
    .vgpr_count:     54
    .vgpr_spill_count: 0
    .wavefront_size: 32
    .workgroup_processor_mode: 1
  - .args:
      - .offset:         0
        .size:           4
        .value_kind:     by_value
      - .offset:         4
        .size:           4
        .value_kind:     by_value
      - .offset:         8
        .size:           8
        .value_kind:     by_value
      - .actual_access:  read_only
        .address_space:  global
        .offset:         16
        .size:           8
        .value_kind:     global_buffer
      - .actual_access:  read_only
        .address_space:  global
        .offset:         24
        .size:           8
        .value_kind:     global_buffer
      - .actual_access:  read_only
        .address_space:  global
        .offset:         32
        .size:           8
        .value_kind:     global_buffer
      - .actual_access:  read_only
        .address_space:  global
        .offset:         40
        .size:           8
        .value_kind:     global_buffer
      - .offset:         48
        .size:           8
        .value_kind:     by_value
      - .address_space:  global
        .offset:         56
        .size:           8
        .value_kind:     global_buffer
      - .offset:         64
        .size:           4
        .value_kind:     by_value
      - .offset:         68
        .size:           1
        .value_kind:     by_value
    .group_segment_fixed_size: 0
    .kernarg_segment_align: 8
    .kernarg_segment_size: 72
    .language:       OpenCL C
    .language_version:
      - 2
      - 0
    .max_flat_workgroup_size: 128
    .name:           _ZN9rocsparseL19gebsrmvn_2xn_kernelILj128ELj6ELj32E21rocsparse_complex_numIfEEEvi20rocsparse_direction_NS_24const_host_device_scalarIT2_EEPKiS8_PKS5_SA_S6_PS5_21rocsparse_index_base_b
    .private_segment_fixed_size: 0
    .sgpr_count:     18
    .sgpr_spill_count: 0
    .symbol:         _ZN9rocsparseL19gebsrmvn_2xn_kernelILj128ELj6ELj32E21rocsparse_complex_numIfEEEvi20rocsparse_direction_NS_24const_host_device_scalarIT2_EEPKiS8_PKS5_SA_S6_PS5_21rocsparse_index_base_b.kd
    .uniform_work_group_size: 1
    .uses_dynamic_stack: false
    .vgpr_count:     54
    .vgpr_spill_count: 0
    .wavefront_size: 32
    .workgroup_processor_mode: 1
  - .args:
      - .offset:         0
        .size:           4
        .value_kind:     by_value
      - .offset:         4
        .size:           4
        .value_kind:     by_value
      - .offset:         8
        .size:           8
        .value_kind:     by_value
      - .actual_access:  read_only
        .address_space:  global
        .offset:         16
        .size:           8
        .value_kind:     global_buffer
      - .actual_access:  read_only
        .address_space:  global
        .offset:         24
        .size:           8
        .value_kind:     global_buffer
      - .actual_access:  read_only
        .address_space:  global
        .offset:         32
        .size:           8
        .value_kind:     global_buffer
      - .actual_access:  read_only
        .address_space:  global
        .offset:         40
        .size:           8
        .value_kind:     global_buffer
      - .offset:         48
        .size:           8
        .value_kind:     by_value
      - .address_space:  global
        .offset:         56
        .size:           8
        .value_kind:     global_buffer
      - .offset:         64
        .size:           4
        .value_kind:     by_value
      - .offset:         68
        .size:           1
        .value_kind:     by_value
    .group_segment_fixed_size: 0
    .kernarg_segment_align: 8
    .kernarg_segment_size: 72
    .language:       OpenCL C
    .language_version:
      - 2
      - 0
    .max_flat_workgroup_size: 128
    .name:           _ZN9rocsparseL19gebsrmvn_2xn_kernelILj128ELj6ELj64E21rocsparse_complex_numIfEEEvi20rocsparse_direction_NS_24const_host_device_scalarIT2_EEPKiS8_PKS5_SA_S6_PS5_21rocsparse_index_base_b
    .private_segment_fixed_size: 0
    .sgpr_count:     18
    .sgpr_spill_count: 0
    .symbol:         _ZN9rocsparseL19gebsrmvn_2xn_kernelILj128ELj6ELj64E21rocsparse_complex_numIfEEEvi20rocsparse_direction_NS_24const_host_device_scalarIT2_EEPKiS8_PKS5_SA_S6_PS5_21rocsparse_index_base_b.kd
    .uniform_work_group_size: 1
    .uses_dynamic_stack: false
    .vgpr_count:     54
    .vgpr_spill_count: 0
    .wavefront_size: 32
    .workgroup_processor_mode: 1
  - .args:
      - .offset:         0
        .size:           4
        .value_kind:     by_value
      - .offset:         4
        .size:           4
        .value_kind:     by_value
      - .offset:         8
        .size:           8
        .value_kind:     by_value
      - .actual_access:  read_only
        .address_space:  global
        .offset:         16
        .size:           8
        .value_kind:     global_buffer
      - .actual_access:  read_only
        .address_space:  global
        .offset:         24
        .size:           8
        .value_kind:     global_buffer
      - .actual_access:  read_only
        .address_space:  global
        .offset:         32
        .size:           8
        .value_kind:     global_buffer
      - .actual_access:  read_only
        .address_space:  global
        .offset:         40
        .size:           8
        .value_kind:     global_buffer
      - .offset:         48
        .size:           8
        .value_kind:     by_value
      - .address_space:  global
        .offset:         56
        .size:           8
        .value_kind:     global_buffer
      - .offset:         64
        .size:           4
        .value_kind:     by_value
      - .offset:         68
        .size:           1
        .value_kind:     by_value
    .group_segment_fixed_size: 0
    .kernarg_segment_align: 8
    .kernarg_segment_size: 72
    .language:       OpenCL C
    .language_version:
      - 2
      - 0
    .max_flat_workgroup_size: 128
    .name:           _ZN9rocsparseL19gebsrmvn_2xn_kernelILj128ELj7ELj4E21rocsparse_complex_numIfEEEvi20rocsparse_direction_NS_24const_host_device_scalarIT2_EEPKiS8_PKS5_SA_S6_PS5_21rocsparse_index_base_b
    .private_segment_fixed_size: 0
    .sgpr_count:     18
    .sgpr_spill_count: 0
    .symbol:         _ZN9rocsparseL19gebsrmvn_2xn_kernelILj128ELj7ELj4E21rocsparse_complex_numIfEEEvi20rocsparse_direction_NS_24const_host_device_scalarIT2_EEPKiS8_PKS5_SA_S6_PS5_21rocsparse_index_base_b.kd
    .uniform_work_group_size: 1
    .uses_dynamic_stack: false
    .vgpr_count:     60
    .vgpr_spill_count: 0
    .wavefront_size: 32
    .workgroup_processor_mode: 1
  - .args:
      - .offset:         0
        .size:           4
        .value_kind:     by_value
      - .offset:         4
        .size:           4
        .value_kind:     by_value
      - .offset:         8
        .size:           8
        .value_kind:     by_value
      - .actual_access:  read_only
        .address_space:  global
        .offset:         16
        .size:           8
        .value_kind:     global_buffer
      - .actual_access:  read_only
        .address_space:  global
        .offset:         24
        .size:           8
        .value_kind:     global_buffer
      - .actual_access:  read_only
        .address_space:  global
        .offset:         32
        .size:           8
        .value_kind:     global_buffer
      - .actual_access:  read_only
        .address_space:  global
        .offset:         40
        .size:           8
        .value_kind:     global_buffer
      - .offset:         48
        .size:           8
        .value_kind:     by_value
      - .address_space:  global
        .offset:         56
        .size:           8
        .value_kind:     global_buffer
      - .offset:         64
        .size:           4
        .value_kind:     by_value
      - .offset:         68
        .size:           1
        .value_kind:     by_value
    .group_segment_fixed_size: 0
    .kernarg_segment_align: 8
    .kernarg_segment_size: 72
    .language:       OpenCL C
    .language_version:
      - 2
      - 0
    .max_flat_workgroup_size: 128
    .name:           _ZN9rocsparseL19gebsrmvn_2xn_kernelILj128ELj7ELj8E21rocsparse_complex_numIfEEEvi20rocsparse_direction_NS_24const_host_device_scalarIT2_EEPKiS8_PKS5_SA_S6_PS5_21rocsparse_index_base_b
    .private_segment_fixed_size: 0
    .sgpr_count:     18
    .sgpr_spill_count: 0
    .symbol:         _ZN9rocsparseL19gebsrmvn_2xn_kernelILj128ELj7ELj8E21rocsparse_complex_numIfEEEvi20rocsparse_direction_NS_24const_host_device_scalarIT2_EEPKiS8_PKS5_SA_S6_PS5_21rocsparse_index_base_b.kd
    .uniform_work_group_size: 1
    .uses_dynamic_stack: false
    .vgpr_count:     60
    .vgpr_spill_count: 0
    .wavefront_size: 32
    .workgroup_processor_mode: 1
  - .args:
      - .offset:         0
        .size:           4
        .value_kind:     by_value
      - .offset:         4
        .size:           4
        .value_kind:     by_value
      - .offset:         8
        .size:           8
        .value_kind:     by_value
      - .actual_access:  read_only
        .address_space:  global
        .offset:         16
        .size:           8
        .value_kind:     global_buffer
      - .actual_access:  read_only
        .address_space:  global
        .offset:         24
        .size:           8
        .value_kind:     global_buffer
      - .actual_access:  read_only
        .address_space:  global
        .offset:         32
        .size:           8
        .value_kind:     global_buffer
      - .actual_access:  read_only
        .address_space:  global
        .offset:         40
        .size:           8
        .value_kind:     global_buffer
      - .offset:         48
        .size:           8
        .value_kind:     by_value
      - .address_space:  global
        .offset:         56
        .size:           8
        .value_kind:     global_buffer
      - .offset:         64
        .size:           4
        .value_kind:     by_value
      - .offset:         68
        .size:           1
        .value_kind:     by_value
    .group_segment_fixed_size: 0
    .kernarg_segment_align: 8
    .kernarg_segment_size: 72
    .language:       OpenCL C
    .language_version:
      - 2
      - 0
    .max_flat_workgroup_size: 128
    .name:           _ZN9rocsparseL19gebsrmvn_2xn_kernelILj128ELj7ELj16E21rocsparse_complex_numIfEEEvi20rocsparse_direction_NS_24const_host_device_scalarIT2_EEPKiS8_PKS5_SA_S6_PS5_21rocsparse_index_base_b
    .private_segment_fixed_size: 0
    .sgpr_count:     18
    .sgpr_spill_count: 0
    .symbol:         _ZN9rocsparseL19gebsrmvn_2xn_kernelILj128ELj7ELj16E21rocsparse_complex_numIfEEEvi20rocsparse_direction_NS_24const_host_device_scalarIT2_EEPKiS8_PKS5_SA_S6_PS5_21rocsparse_index_base_b.kd
    .uniform_work_group_size: 1
    .uses_dynamic_stack: false
    .vgpr_count:     60
    .vgpr_spill_count: 0
    .wavefront_size: 32
    .workgroup_processor_mode: 1
  - .args:
      - .offset:         0
        .size:           4
        .value_kind:     by_value
      - .offset:         4
        .size:           4
        .value_kind:     by_value
      - .offset:         8
        .size:           8
        .value_kind:     by_value
      - .actual_access:  read_only
        .address_space:  global
        .offset:         16
        .size:           8
        .value_kind:     global_buffer
      - .actual_access:  read_only
        .address_space:  global
        .offset:         24
        .size:           8
        .value_kind:     global_buffer
      - .actual_access:  read_only
        .address_space:  global
        .offset:         32
        .size:           8
        .value_kind:     global_buffer
      - .actual_access:  read_only
        .address_space:  global
        .offset:         40
        .size:           8
        .value_kind:     global_buffer
      - .offset:         48
        .size:           8
        .value_kind:     by_value
      - .address_space:  global
        .offset:         56
        .size:           8
        .value_kind:     global_buffer
      - .offset:         64
        .size:           4
        .value_kind:     by_value
      - .offset:         68
        .size:           1
        .value_kind:     by_value
    .group_segment_fixed_size: 0
    .kernarg_segment_align: 8
    .kernarg_segment_size: 72
    .language:       OpenCL C
    .language_version:
      - 2
      - 0
    .max_flat_workgroup_size: 128
    .name:           _ZN9rocsparseL19gebsrmvn_2xn_kernelILj128ELj7ELj32E21rocsparse_complex_numIfEEEvi20rocsparse_direction_NS_24const_host_device_scalarIT2_EEPKiS8_PKS5_SA_S6_PS5_21rocsparse_index_base_b
    .private_segment_fixed_size: 0
    .sgpr_count:     18
    .sgpr_spill_count: 0
    .symbol:         _ZN9rocsparseL19gebsrmvn_2xn_kernelILj128ELj7ELj32E21rocsparse_complex_numIfEEEvi20rocsparse_direction_NS_24const_host_device_scalarIT2_EEPKiS8_PKS5_SA_S6_PS5_21rocsparse_index_base_b.kd
    .uniform_work_group_size: 1
    .uses_dynamic_stack: false
    .vgpr_count:     60
    .vgpr_spill_count: 0
    .wavefront_size: 32
    .workgroup_processor_mode: 1
  - .args:
      - .offset:         0
        .size:           4
        .value_kind:     by_value
      - .offset:         4
        .size:           4
        .value_kind:     by_value
      - .offset:         8
        .size:           8
        .value_kind:     by_value
      - .actual_access:  read_only
        .address_space:  global
        .offset:         16
        .size:           8
        .value_kind:     global_buffer
      - .actual_access:  read_only
        .address_space:  global
        .offset:         24
        .size:           8
        .value_kind:     global_buffer
      - .actual_access:  read_only
        .address_space:  global
        .offset:         32
        .size:           8
        .value_kind:     global_buffer
      - .actual_access:  read_only
        .address_space:  global
        .offset:         40
        .size:           8
        .value_kind:     global_buffer
      - .offset:         48
        .size:           8
        .value_kind:     by_value
      - .address_space:  global
        .offset:         56
        .size:           8
        .value_kind:     global_buffer
      - .offset:         64
        .size:           4
        .value_kind:     by_value
      - .offset:         68
        .size:           1
        .value_kind:     by_value
    .group_segment_fixed_size: 0
    .kernarg_segment_align: 8
    .kernarg_segment_size: 72
    .language:       OpenCL C
    .language_version:
      - 2
      - 0
    .max_flat_workgroup_size: 128
    .name:           _ZN9rocsparseL19gebsrmvn_2xn_kernelILj128ELj7ELj64E21rocsparse_complex_numIfEEEvi20rocsparse_direction_NS_24const_host_device_scalarIT2_EEPKiS8_PKS5_SA_S6_PS5_21rocsparse_index_base_b
    .private_segment_fixed_size: 0
    .sgpr_count:     18
    .sgpr_spill_count: 0
    .symbol:         _ZN9rocsparseL19gebsrmvn_2xn_kernelILj128ELj7ELj64E21rocsparse_complex_numIfEEEvi20rocsparse_direction_NS_24const_host_device_scalarIT2_EEPKiS8_PKS5_SA_S6_PS5_21rocsparse_index_base_b.kd
    .uniform_work_group_size: 1
    .uses_dynamic_stack: false
    .vgpr_count:     60
    .vgpr_spill_count: 0
    .wavefront_size: 32
    .workgroup_processor_mode: 1
  - .args:
      - .offset:         0
        .size:           4
        .value_kind:     by_value
      - .offset:         4
        .size:           4
        .value_kind:     by_value
      - .offset:         8
        .size:           8
        .value_kind:     by_value
      - .actual_access:  read_only
        .address_space:  global
        .offset:         16
        .size:           8
        .value_kind:     global_buffer
      - .actual_access:  read_only
        .address_space:  global
        .offset:         24
        .size:           8
        .value_kind:     global_buffer
      - .actual_access:  read_only
        .address_space:  global
        .offset:         32
        .size:           8
        .value_kind:     global_buffer
      - .actual_access:  read_only
        .address_space:  global
        .offset:         40
        .size:           8
        .value_kind:     global_buffer
      - .offset:         48
        .size:           8
        .value_kind:     by_value
      - .address_space:  global
        .offset:         56
        .size:           8
        .value_kind:     global_buffer
      - .offset:         64
        .size:           4
        .value_kind:     by_value
      - .offset:         68
        .size:           1
        .value_kind:     by_value
    .group_segment_fixed_size: 0
    .kernarg_segment_align: 8
    .kernarg_segment_size: 72
    .language:       OpenCL C
    .language_version:
      - 2
      - 0
    .max_flat_workgroup_size: 128
    .name:           _ZN9rocsparseL19gebsrmvn_2xn_kernelILj128ELj8ELj4E21rocsparse_complex_numIfEEEvi20rocsparse_direction_NS_24const_host_device_scalarIT2_EEPKiS8_PKS5_SA_S6_PS5_21rocsparse_index_base_b
    .private_segment_fixed_size: 0
    .sgpr_count:     18
    .sgpr_spill_count: 0
    .symbol:         _ZN9rocsparseL19gebsrmvn_2xn_kernelILj128ELj8ELj4E21rocsparse_complex_numIfEEEvi20rocsparse_direction_NS_24const_host_device_scalarIT2_EEPKiS8_PKS5_SA_S6_PS5_21rocsparse_index_base_b.kd
    .uniform_work_group_size: 1
    .uses_dynamic_stack: false
    .vgpr_count:     64
    .vgpr_spill_count: 0
    .wavefront_size: 32
    .workgroup_processor_mode: 1
  - .args:
      - .offset:         0
        .size:           4
        .value_kind:     by_value
      - .offset:         4
        .size:           4
        .value_kind:     by_value
      - .offset:         8
        .size:           8
        .value_kind:     by_value
      - .actual_access:  read_only
        .address_space:  global
        .offset:         16
        .size:           8
        .value_kind:     global_buffer
      - .actual_access:  read_only
        .address_space:  global
        .offset:         24
        .size:           8
        .value_kind:     global_buffer
      - .actual_access:  read_only
        .address_space:  global
        .offset:         32
        .size:           8
        .value_kind:     global_buffer
      - .actual_access:  read_only
        .address_space:  global
        .offset:         40
        .size:           8
        .value_kind:     global_buffer
      - .offset:         48
        .size:           8
        .value_kind:     by_value
      - .address_space:  global
        .offset:         56
        .size:           8
        .value_kind:     global_buffer
      - .offset:         64
        .size:           4
        .value_kind:     by_value
      - .offset:         68
        .size:           1
        .value_kind:     by_value
    .group_segment_fixed_size: 0
    .kernarg_segment_align: 8
    .kernarg_segment_size: 72
    .language:       OpenCL C
    .language_version:
      - 2
      - 0
    .max_flat_workgroup_size: 128
    .name:           _ZN9rocsparseL19gebsrmvn_2xn_kernelILj128ELj8ELj8E21rocsparse_complex_numIfEEEvi20rocsparse_direction_NS_24const_host_device_scalarIT2_EEPKiS8_PKS5_SA_S6_PS5_21rocsparse_index_base_b
    .private_segment_fixed_size: 0
    .sgpr_count:     18
    .sgpr_spill_count: 0
    .symbol:         _ZN9rocsparseL19gebsrmvn_2xn_kernelILj128ELj8ELj8E21rocsparse_complex_numIfEEEvi20rocsparse_direction_NS_24const_host_device_scalarIT2_EEPKiS8_PKS5_SA_S6_PS5_21rocsparse_index_base_b.kd
    .uniform_work_group_size: 1
    .uses_dynamic_stack: false
    .vgpr_count:     64
    .vgpr_spill_count: 0
    .wavefront_size: 32
    .workgroup_processor_mode: 1
  - .args:
      - .offset:         0
        .size:           4
        .value_kind:     by_value
      - .offset:         4
        .size:           4
        .value_kind:     by_value
      - .offset:         8
        .size:           8
        .value_kind:     by_value
      - .actual_access:  read_only
        .address_space:  global
        .offset:         16
        .size:           8
        .value_kind:     global_buffer
      - .actual_access:  read_only
        .address_space:  global
        .offset:         24
        .size:           8
        .value_kind:     global_buffer
      - .actual_access:  read_only
        .address_space:  global
        .offset:         32
        .size:           8
        .value_kind:     global_buffer
      - .actual_access:  read_only
        .address_space:  global
        .offset:         40
        .size:           8
        .value_kind:     global_buffer
      - .offset:         48
        .size:           8
        .value_kind:     by_value
      - .address_space:  global
        .offset:         56
        .size:           8
        .value_kind:     global_buffer
      - .offset:         64
        .size:           4
        .value_kind:     by_value
      - .offset:         68
        .size:           1
        .value_kind:     by_value
    .group_segment_fixed_size: 0
    .kernarg_segment_align: 8
    .kernarg_segment_size: 72
    .language:       OpenCL C
    .language_version:
      - 2
      - 0
    .max_flat_workgroup_size: 128
    .name:           _ZN9rocsparseL19gebsrmvn_2xn_kernelILj128ELj8ELj16E21rocsparse_complex_numIfEEEvi20rocsparse_direction_NS_24const_host_device_scalarIT2_EEPKiS8_PKS5_SA_S6_PS5_21rocsparse_index_base_b
    .private_segment_fixed_size: 0
    .sgpr_count:     18
    .sgpr_spill_count: 0
    .symbol:         _ZN9rocsparseL19gebsrmvn_2xn_kernelILj128ELj8ELj16E21rocsparse_complex_numIfEEEvi20rocsparse_direction_NS_24const_host_device_scalarIT2_EEPKiS8_PKS5_SA_S6_PS5_21rocsparse_index_base_b.kd
    .uniform_work_group_size: 1
    .uses_dynamic_stack: false
    .vgpr_count:     64
    .vgpr_spill_count: 0
    .wavefront_size: 32
    .workgroup_processor_mode: 1
  - .args:
      - .offset:         0
        .size:           4
        .value_kind:     by_value
      - .offset:         4
        .size:           4
        .value_kind:     by_value
      - .offset:         8
        .size:           8
        .value_kind:     by_value
      - .actual_access:  read_only
        .address_space:  global
        .offset:         16
        .size:           8
        .value_kind:     global_buffer
      - .actual_access:  read_only
        .address_space:  global
        .offset:         24
        .size:           8
        .value_kind:     global_buffer
      - .actual_access:  read_only
        .address_space:  global
        .offset:         32
        .size:           8
        .value_kind:     global_buffer
      - .actual_access:  read_only
        .address_space:  global
        .offset:         40
        .size:           8
        .value_kind:     global_buffer
      - .offset:         48
        .size:           8
        .value_kind:     by_value
      - .address_space:  global
        .offset:         56
        .size:           8
        .value_kind:     global_buffer
      - .offset:         64
        .size:           4
        .value_kind:     by_value
      - .offset:         68
        .size:           1
        .value_kind:     by_value
    .group_segment_fixed_size: 0
    .kernarg_segment_align: 8
    .kernarg_segment_size: 72
    .language:       OpenCL C
    .language_version:
      - 2
      - 0
    .max_flat_workgroup_size: 128
    .name:           _ZN9rocsparseL19gebsrmvn_2xn_kernelILj128ELj8ELj32E21rocsparse_complex_numIfEEEvi20rocsparse_direction_NS_24const_host_device_scalarIT2_EEPKiS8_PKS5_SA_S6_PS5_21rocsparse_index_base_b
    .private_segment_fixed_size: 0
    .sgpr_count:     18
    .sgpr_spill_count: 0
    .symbol:         _ZN9rocsparseL19gebsrmvn_2xn_kernelILj128ELj8ELj32E21rocsparse_complex_numIfEEEvi20rocsparse_direction_NS_24const_host_device_scalarIT2_EEPKiS8_PKS5_SA_S6_PS5_21rocsparse_index_base_b.kd
    .uniform_work_group_size: 1
    .uses_dynamic_stack: false
    .vgpr_count:     64
    .vgpr_spill_count: 0
    .wavefront_size: 32
    .workgroup_processor_mode: 1
  - .args:
      - .offset:         0
        .size:           4
        .value_kind:     by_value
      - .offset:         4
        .size:           4
        .value_kind:     by_value
      - .offset:         8
        .size:           8
        .value_kind:     by_value
      - .actual_access:  read_only
        .address_space:  global
        .offset:         16
        .size:           8
        .value_kind:     global_buffer
      - .actual_access:  read_only
        .address_space:  global
        .offset:         24
        .size:           8
        .value_kind:     global_buffer
      - .actual_access:  read_only
        .address_space:  global
        .offset:         32
        .size:           8
        .value_kind:     global_buffer
      - .actual_access:  read_only
        .address_space:  global
        .offset:         40
        .size:           8
        .value_kind:     global_buffer
      - .offset:         48
        .size:           8
        .value_kind:     by_value
      - .address_space:  global
        .offset:         56
        .size:           8
        .value_kind:     global_buffer
      - .offset:         64
        .size:           4
        .value_kind:     by_value
      - .offset:         68
        .size:           1
        .value_kind:     by_value
    .group_segment_fixed_size: 0
    .kernarg_segment_align: 8
    .kernarg_segment_size: 72
    .language:       OpenCL C
    .language_version:
      - 2
      - 0
    .max_flat_workgroup_size: 128
    .name:           _ZN9rocsparseL19gebsrmvn_2xn_kernelILj128ELj8ELj64E21rocsparse_complex_numIfEEEvi20rocsparse_direction_NS_24const_host_device_scalarIT2_EEPKiS8_PKS5_SA_S6_PS5_21rocsparse_index_base_b
    .private_segment_fixed_size: 0
    .sgpr_count:     18
    .sgpr_spill_count: 0
    .symbol:         _ZN9rocsparseL19gebsrmvn_2xn_kernelILj128ELj8ELj64E21rocsparse_complex_numIfEEEvi20rocsparse_direction_NS_24const_host_device_scalarIT2_EEPKiS8_PKS5_SA_S6_PS5_21rocsparse_index_base_b.kd
    .uniform_work_group_size: 1
    .uses_dynamic_stack: false
    .vgpr_count:     64
    .vgpr_spill_count: 0
    .wavefront_size: 32
    .workgroup_processor_mode: 1
  - .args:
      - .offset:         0
        .size:           4
        .value_kind:     by_value
      - .offset:         4
        .size:           4
        .value_kind:     by_value
      - .offset:         8
        .size:           8
        .value_kind:     by_value
      - .actual_access:  read_only
        .address_space:  global
        .offset:         16
        .size:           8
        .value_kind:     global_buffer
      - .actual_access:  read_only
        .address_space:  global
        .offset:         24
        .size:           8
        .value_kind:     global_buffer
      - .actual_access:  read_only
        .address_space:  global
        .offset:         32
        .size:           8
        .value_kind:     global_buffer
      - .actual_access:  read_only
        .address_space:  global
        .offset:         40
        .size:           8
        .value_kind:     global_buffer
      - .offset:         48
        .size:           8
        .value_kind:     by_value
      - .address_space:  global
        .offset:         56
        .size:           8
        .value_kind:     global_buffer
      - .offset:         64
        .size:           4
        .value_kind:     by_value
      - .offset:         68
        .size:           1
        .value_kind:     by_value
    .group_segment_fixed_size: 0
    .kernarg_segment_align: 8
    .kernarg_segment_size: 72
    .language:       OpenCL C
    .language_version:
      - 2
      - 0
    .max_flat_workgroup_size: 128
    .name:           _ZN9rocsparseL19gebsrmvn_2xn_kernelILj128ELj9ELj4E21rocsparse_complex_numIfEEEvi20rocsparse_direction_NS_24const_host_device_scalarIT2_EEPKiS8_PKS5_SA_S6_PS5_21rocsparse_index_base_b
    .private_segment_fixed_size: 0
    .sgpr_count:     18
    .sgpr_spill_count: 0
    .symbol:         _ZN9rocsparseL19gebsrmvn_2xn_kernelILj128ELj9ELj4E21rocsparse_complex_numIfEEEvi20rocsparse_direction_NS_24const_host_device_scalarIT2_EEPKiS8_PKS5_SA_S6_PS5_21rocsparse_index_base_b.kd
    .uniform_work_group_size: 1
    .uses_dynamic_stack: false
    .vgpr_count:     72
    .vgpr_spill_count: 0
    .wavefront_size: 32
    .workgroup_processor_mode: 1
  - .args:
      - .offset:         0
        .size:           4
        .value_kind:     by_value
      - .offset:         4
        .size:           4
        .value_kind:     by_value
      - .offset:         8
        .size:           8
        .value_kind:     by_value
      - .actual_access:  read_only
        .address_space:  global
        .offset:         16
        .size:           8
        .value_kind:     global_buffer
      - .actual_access:  read_only
        .address_space:  global
        .offset:         24
        .size:           8
        .value_kind:     global_buffer
      - .actual_access:  read_only
        .address_space:  global
        .offset:         32
        .size:           8
        .value_kind:     global_buffer
      - .actual_access:  read_only
        .address_space:  global
        .offset:         40
        .size:           8
        .value_kind:     global_buffer
      - .offset:         48
        .size:           8
        .value_kind:     by_value
      - .address_space:  global
        .offset:         56
        .size:           8
        .value_kind:     global_buffer
      - .offset:         64
        .size:           4
        .value_kind:     by_value
      - .offset:         68
        .size:           1
        .value_kind:     by_value
    .group_segment_fixed_size: 0
    .kernarg_segment_align: 8
    .kernarg_segment_size: 72
    .language:       OpenCL C
    .language_version:
      - 2
      - 0
    .max_flat_workgroup_size: 128
    .name:           _ZN9rocsparseL19gebsrmvn_2xn_kernelILj128ELj9ELj8E21rocsparse_complex_numIfEEEvi20rocsparse_direction_NS_24const_host_device_scalarIT2_EEPKiS8_PKS5_SA_S6_PS5_21rocsparse_index_base_b
    .private_segment_fixed_size: 0
    .sgpr_count:     18
    .sgpr_spill_count: 0
    .symbol:         _ZN9rocsparseL19gebsrmvn_2xn_kernelILj128ELj9ELj8E21rocsparse_complex_numIfEEEvi20rocsparse_direction_NS_24const_host_device_scalarIT2_EEPKiS8_PKS5_SA_S6_PS5_21rocsparse_index_base_b.kd
    .uniform_work_group_size: 1
    .uses_dynamic_stack: false
    .vgpr_count:     72
    .vgpr_spill_count: 0
    .wavefront_size: 32
    .workgroup_processor_mode: 1
  - .args:
      - .offset:         0
        .size:           4
        .value_kind:     by_value
      - .offset:         4
        .size:           4
        .value_kind:     by_value
      - .offset:         8
        .size:           8
        .value_kind:     by_value
      - .actual_access:  read_only
        .address_space:  global
        .offset:         16
        .size:           8
        .value_kind:     global_buffer
      - .actual_access:  read_only
        .address_space:  global
        .offset:         24
        .size:           8
        .value_kind:     global_buffer
      - .actual_access:  read_only
        .address_space:  global
        .offset:         32
        .size:           8
        .value_kind:     global_buffer
      - .actual_access:  read_only
        .address_space:  global
        .offset:         40
        .size:           8
        .value_kind:     global_buffer
      - .offset:         48
        .size:           8
        .value_kind:     by_value
      - .address_space:  global
        .offset:         56
        .size:           8
        .value_kind:     global_buffer
      - .offset:         64
        .size:           4
        .value_kind:     by_value
      - .offset:         68
        .size:           1
        .value_kind:     by_value
    .group_segment_fixed_size: 0
    .kernarg_segment_align: 8
    .kernarg_segment_size: 72
    .language:       OpenCL C
    .language_version:
      - 2
      - 0
    .max_flat_workgroup_size: 128
    .name:           _ZN9rocsparseL19gebsrmvn_2xn_kernelILj128ELj9ELj16E21rocsparse_complex_numIfEEEvi20rocsparse_direction_NS_24const_host_device_scalarIT2_EEPKiS8_PKS5_SA_S6_PS5_21rocsparse_index_base_b
    .private_segment_fixed_size: 0
    .sgpr_count:     18
    .sgpr_spill_count: 0
    .symbol:         _ZN9rocsparseL19gebsrmvn_2xn_kernelILj128ELj9ELj16E21rocsparse_complex_numIfEEEvi20rocsparse_direction_NS_24const_host_device_scalarIT2_EEPKiS8_PKS5_SA_S6_PS5_21rocsparse_index_base_b.kd
    .uniform_work_group_size: 1
    .uses_dynamic_stack: false
    .vgpr_count:     72
    .vgpr_spill_count: 0
    .wavefront_size: 32
    .workgroup_processor_mode: 1
  - .args:
      - .offset:         0
        .size:           4
        .value_kind:     by_value
      - .offset:         4
        .size:           4
        .value_kind:     by_value
      - .offset:         8
        .size:           8
        .value_kind:     by_value
      - .actual_access:  read_only
        .address_space:  global
        .offset:         16
        .size:           8
        .value_kind:     global_buffer
      - .actual_access:  read_only
        .address_space:  global
        .offset:         24
        .size:           8
        .value_kind:     global_buffer
      - .actual_access:  read_only
        .address_space:  global
        .offset:         32
        .size:           8
        .value_kind:     global_buffer
      - .actual_access:  read_only
        .address_space:  global
        .offset:         40
        .size:           8
        .value_kind:     global_buffer
      - .offset:         48
        .size:           8
        .value_kind:     by_value
      - .address_space:  global
        .offset:         56
        .size:           8
        .value_kind:     global_buffer
      - .offset:         64
        .size:           4
        .value_kind:     by_value
      - .offset:         68
        .size:           1
        .value_kind:     by_value
    .group_segment_fixed_size: 0
    .kernarg_segment_align: 8
    .kernarg_segment_size: 72
    .language:       OpenCL C
    .language_version:
      - 2
      - 0
    .max_flat_workgroup_size: 128
    .name:           _ZN9rocsparseL19gebsrmvn_2xn_kernelILj128ELj9ELj32E21rocsparse_complex_numIfEEEvi20rocsparse_direction_NS_24const_host_device_scalarIT2_EEPKiS8_PKS5_SA_S6_PS5_21rocsparse_index_base_b
    .private_segment_fixed_size: 0
    .sgpr_count:     18
    .sgpr_spill_count: 0
    .symbol:         _ZN9rocsparseL19gebsrmvn_2xn_kernelILj128ELj9ELj32E21rocsparse_complex_numIfEEEvi20rocsparse_direction_NS_24const_host_device_scalarIT2_EEPKiS8_PKS5_SA_S6_PS5_21rocsparse_index_base_b.kd
    .uniform_work_group_size: 1
    .uses_dynamic_stack: false
    .vgpr_count:     72
    .vgpr_spill_count: 0
    .wavefront_size: 32
    .workgroup_processor_mode: 1
  - .args:
      - .offset:         0
        .size:           4
        .value_kind:     by_value
      - .offset:         4
        .size:           4
        .value_kind:     by_value
      - .offset:         8
        .size:           8
        .value_kind:     by_value
      - .actual_access:  read_only
        .address_space:  global
        .offset:         16
        .size:           8
        .value_kind:     global_buffer
      - .actual_access:  read_only
        .address_space:  global
        .offset:         24
        .size:           8
        .value_kind:     global_buffer
      - .actual_access:  read_only
        .address_space:  global
        .offset:         32
        .size:           8
        .value_kind:     global_buffer
      - .actual_access:  read_only
        .address_space:  global
        .offset:         40
        .size:           8
        .value_kind:     global_buffer
      - .offset:         48
        .size:           8
        .value_kind:     by_value
      - .address_space:  global
        .offset:         56
        .size:           8
        .value_kind:     global_buffer
      - .offset:         64
        .size:           4
        .value_kind:     by_value
      - .offset:         68
        .size:           1
        .value_kind:     by_value
    .group_segment_fixed_size: 0
    .kernarg_segment_align: 8
    .kernarg_segment_size: 72
    .language:       OpenCL C
    .language_version:
      - 2
      - 0
    .max_flat_workgroup_size: 128
    .name:           _ZN9rocsparseL19gebsrmvn_2xn_kernelILj128ELj9ELj64E21rocsparse_complex_numIfEEEvi20rocsparse_direction_NS_24const_host_device_scalarIT2_EEPKiS8_PKS5_SA_S6_PS5_21rocsparse_index_base_b
    .private_segment_fixed_size: 0
    .sgpr_count:     18
    .sgpr_spill_count: 0
    .symbol:         _ZN9rocsparseL19gebsrmvn_2xn_kernelILj128ELj9ELj64E21rocsparse_complex_numIfEEEvi20rocsparse_direction_NS_24const_host_device_scalarIT2_EEPKiS8_PKS5_SA_S6_PS5_21rocsparse_index_base_b.kd
    .uniform_work_group_size: 1
    .uses_dynamic_stack: false
    .vgpr_count:     72
    .vgpr_spill_count: 0
    .wavefront_size: 32
    .workgroup_processor_mode: 1
  - .args:
      - .offset:         0
        .size:           4
        .value_kind:     by_value
      - .offset:         4
        .size:           4
        .value_kind:     by_value
      - .offset:         8
        .size:           8
        .value_kind:     by_value
      - .actual_access:  read_only
        .address_space:  global
        .offset:         16
        .size:           8
        .value_kind:     global_buffer
      - .actual_access:  read_only
        .address_space:  global
        .offset:         24
        .size:           8
        .value_kind:     global_buffer
      - .actual_access:  read_only
        .address_space:  global
        .offset:         32
        .size:           8
        .value_kind:     global_buffer
      - .actual_access:  read_only
        .address_space:  global
        .offset:         40
        .size:           8
        .value_kind:     global_buffer
      - .offset:         48
        .size:           8
        .value_kind:     by_value
      - .address_space:  global
        .offset:         56
        .size:           8
        .value_kind:     global_buffer
      - .offset:         64
        .size:           4
        .value_kind:     by_value
      - .offset:         68
        .size:           1
        .value_kind:     by_value
    .group_segment_fixed_size: 0
    .kernarg_segment_align: 8
    .kernarg_segment_size: 72
    .language:       OpenCL C
    .language_version:
      - 2
      - 0
    .max_flat_workgroup_size: 128
    .name:           _ZN9rocsparseL19gebsrmvn_2xn_kernelILj128ELj10ELj4E21rocsparse_complex_numIfEEEvi20rocsparse_direction_NS_24const_host_device_scalarIT2_EEPKiS8_PKS5_SA_S6_PS5_21rocsparse_index_base_b
    .private_segment_fixed_size: 0
    .sgpr_count:     18
    .sgpr_spill_count: 0
    .symbol:         _ZN9rocsparseL19gebsrmvn_2xn_kernelILj128ELj10ELj4E21rocsparse_complex_numIfEEEvi20rocsparse_direction_NS_24const_host_device_scalarIT2_EEPKiS8_PKS5_SA_S6_PS5_21rocsparse_index_base_b.kd
    .uniform_work_group_size: 1
    .uses_dynamic_stack: false
    .vgpr_count:     78
    .vgpr_spill_count: 0
    .wavefront_size: 32
    .workgroup_processor_mode: 1
  - .args:
      - .offset:         0
        .size:           4
        .value_kind:     by_value
      - .offset:         4
        .size:           4
        .value_kind:     by_value
      - .offset:         8
        .size:           8
        .value_kind:     by_value
      - .actual_access:  read_only
        .address_space:  global
        .offset:         16
        .size:           8
        .value_kind:     global_buffer
      - .actual_access:  read_only
        .address_space:  global
        .offset:         24
        .size:           8
        .value_kind:     global_buffer
      - .actual_access:  read_only
        .address_space:  global
        .offset:         32
        .size:           8
        .value_kind:     global_buffer
      - .actual_access:  read_only
        .address_space:  global
        .offset:         40
        .size:           8
        .value_kind:     global_buffer
      - .offset:         48
        .size:           8
        .value_kind:     by_value
      - .address_space:  global
        .offset:         56
        .size:           8
        .value_kind:     global_buffer
      - .offset:         64
        .size:           4
        .value_kind:     by_value
      - .offset:         68
        .size:           1
        .value_kind:     by_value
    .group_segment_fixed_size: 0
    .kernarg_segment_align: 8
    .kernarg_segment_size: 72
    .language:       OpenCL C
    .language_version:
      - 2
      - 0
    .max_flat_workgroup_size: 128
    .name:           _ZN9rocsparseL19gebsrmvn_2xn_kernelILj128ELj10ELj8E21rocsparse_complex_numIfEEEvi20rocsparse_direction_NS_24const_host_device_scalarIT2_EEPKiS8_PKS5_SA_S6_PS5_21rocsparse_index_base_b
    .private_segment_fixed_size: 0
    .sgpr_count:     18
    .sgpr_spill_count: 0
    .symbol:         _ZN9rocsparseL19gebsrmvn_2xn_kernelILj128ELj10ELj8E21rocsparse_complex_numIfEEEvi20rocsparse_direction_NS_24const_host_device_scalarIT2_EEPKiS8_PKS5_SA_S6_PS5_21rocsparse_index_base_b.kd
    .uniform_work_group_size: 1
    .uses_dynamic_stack: false
    .vgpr_count:     78
    .vgpr_spill_count: 0
    .wavefront_size: 32
    .workgroup_processor_mode: 1
  - .args:
      - .offset:         0
        .size:           4
        .value_kind:     by_value
      - .offset:         4
        .size:           4
        .value_kind:     by_value
      - .offset:         8
        .size:           8
        .value_kind:     by_value
      - .actual_access:  read_only
        .address_space:  global
        .offset:         16
        .size:           8
        .value_kind:     global_buffer
      - .actual_access:  read_only
        .address_space:  global
        .offset:         24
        .size:           8
        .value_kind:     global_buffer
      - .actual_access:  read_only
        .address_space:  global
        .offset:         32
        .size:           8
        .value_kind:     global_buffer
      - .actual_access:  read_only
        .address_space:  global
        .offset:         40
        .size:           8
        .value_kind:     global_buffer
      - .offset:         48
        .size:           8
        .value_kind:     by_value
      - .address_space:  global
        .offset:         56
        .size:           8
        .value_kind:     global_buffer
      - .offset:         64
        .size:           4
        .value_kind:     by_value
      - .offset:         68
        .size:           1
        .value_kind:     by_value
    .group_segment_fixed_size: 0
    .kernarg_segment_align: 8
    .kernarg_segment_size: 72
    .language:       OpenCL C
    .language_version:
      - 2
      - 0
    .max_flat_workgroup_size: 128
    .name:           _ZN9rocsparseL19gebsrmvn_2xn_kernelILj128ELj10ELj16E21rocsparse_complex_numIfEEEvi20rocsparse_direction_NS_24const_host_device_scalarIT2_EEPKiS8_PKS5_SA_S6_PS5_21rocsparse_index_base_b
    .private_segment_fixed_size: 0
    .sgpr_count:     18
    .sgpr_spill_count: 0
    .symbol:         _ZN9rocsparseL19gebsrmvn_2xn_kernelILj128ELj10ELj16E21rocsparse_complex_numIfEEEvi20rocsparse_direction_NS_24const_host_device_scalarIT2_EEPKiS8_PKS5_SA_S6_PS5_21rocsparse_index_base_b.kd
    .uniform_work_group_size: 1
    .uses_dynamic_stack: false
    .vgpr_count:     78
    .vgpr_spill_count: 0
    .wavefront_size: 32
    .workgroup_processor_mode: 1
  - .args:
      - .offset:         0
        .size:           4
        .value_kind:     by_value
      - .offset:         4
        .size:           4
        .value_kind:     by_value
      - .offset:         8
        .size:           8
        .value_kind:     by_value
      - .actual_access:  read_only
        .address_space:  global
        .offset:         16
        .size:           8
        .value_kind:     global_buffer
      - .actual_access:  read_only
        .address_space:  global
        .offset:         24
        .size:           8
        .value_kind:     global_buffer
      - .actual_access:  read_only
        .address_space:  global
        .offset:         32
        .size:           8
        .value_kind:     global_buffer
      - .actual_access:  read_only
        .address_space:  global
        .offset:         40
        .size:           8
        .value_kind:     global_buffer
      - .offset:         48
        .size:           8
        .value_kind:     by_value
      - .address_space:  global
        .offset:         56
        .size:           8
        .value_kind:     global_buffer
      - .offset:         64
        .size:           4
        .value_kind:     by_value
      - .offset:         68
        .size:           1
        .value_kind:     by_value
    .group_segment_fixed_size: 0
    .kernarg_segment_align: 8
    .kernarg_segment_size: 72
    .language:       OpenCL C
    .language_version:
      - 2
      - 0
    .max_flat_workgroup_size: 128
    .name:           _ZN9rocsparseL19gebsrmvn_2xn_kernelILj128ELj10ELj32E21rocsparse_complex_numIfEEEvi20rocsparse_direction_NS_24const_host_device_scalarIT2_EEPKiS8_PKS5_SA_S6_PS5_21rocsparse_index_base_b
    .private_segment_fixed_size: 0
    .sgpr_count:     18
    .sgpr_spill_count: 0
    .symbol:         _ZN9rocsparseL19gebsrmvn_2xn_kernelILj128ELj10ELj32E21rocsparse_complex_numIfEEEvi20rocsparse_direction_NS_24const_host_device_scalarIT2_EEPKiS8_PKS5_SA_S6_PS5_21rocsparse_index_base_b.kd
    .uniform_work_group_size: 1
    .uses_dynamic_stack: false
    .vgpr_count:     78
    .vgpr_spill_count: 0
    .wavefront_size: 32
    .workgroup_processor_mode: 1
  - .args:
      - .offset:         0
        .size:           4
        .value_kind:     by_value
      - .offset:         4
        .size:           4
        .value_kind:     by_value
      - .offset:         8
        .size:           8
        .value_kind:     by_value
      - .actual_access:  read_only
        .address_space:  global
        .offset:         16
        .size:           8
        .value_kind:     global_buffer
      - .actual_access:  read_only
        .address_space:  global
        .offset:         24
        .size:           8
        .value_kind:     global_buffer
      - .actual_access:  read_only
        .address_space:  global
        .offset:         32
        .size:           8
        .value_kind:     global_buffer
      - .actual_access:  read_only
        .address_space:  global
        .offset:         40
        .size:           8
        .value_kind:     global_buffer
      - .offset:         48
        .size:           8
        .value_kind:     by_value
      - .address_space:  global
        .offset:         56
        .size:           8
        .value_kind:     global_buffer
      - .offset:         64
        .size:           4
        .value_kind:     by_value
      - .offset:         68
        .size:           1
        .value_kind:     by_value
    .group_segment_fixed_size: 0
    .kernarg_segment_align: 8
    .kernarg_segment_size: 72
    .language:       OpenCL C
    .language_version:
      - 2
      - 0
    .max_flat_workgroup_size: 128
    .name:           _ZN9rocsparseL19gebsrmvn_2xn_kernelILj128ELj10ELj64E21rocsparse_complex_numIfEEEvi20rocsparse_direction_NS_24const_host_device_scalarIT2_EEPKiS8_PKS5_SA_S6_PS5_21rocsparse_index_base_b
    .private_segment_fixed_size: 0
    .sgpr_count:     18
    .sgpr_spill_count: 0
    .symbol:         _ZN9rocsparseL19gebsrmvn_2xn_kernelILj128ELj10ELj64E21rocsparse_complex_numIfEEEvi20rocsparse_direction_NS_24const_host_device_scalarIT2_EEPKiS8_PKS5_SA_S6_PS5_21rocsparse_index_base_b.kd
    .uniform_work_group_size: 1
    .uses_dynamic_stack: false
    .vgpr_count:     78
    .vgpr_spill_count: 0
    .wavefront_size: 32
    .workgroup_processor_mode: 1
  - .args:
      - .offset:         0
        .size:           4
        .value_kind:     by_value
      - .offset:         4
        .size:           4
        .value_kind:     by_value
      - .offset:         8
        .size:           8
        .value_kind:     by_value
      - .actual_access:  read_only
        .address_space:  global
        .offset:         16
        .size:           8
        .value_kind:     global_buffer
      - .actual_access:  read_only
        .address_space:  global
        .offset:         24
        .size:           8
        .value_kind:     global_buffer
      - .actual_access:  read_only
        .address_space:  global
        .offset:         32
        .size:           8
        .value_kind:     global_buffer
      - .actual_access:  read_only
        .address_space:  global
        .offset:         40
        .size:           8
        .value_kind:     global_buffer
      - .offset:         48
        .size:           8
        .value_kind:     by_value
      - .address_space:  global
        .offset:         56
        .size:           8
        .value_kind:     global_buffer
      - .offset:         64
        .size:           4
        .value_kind:     by_value
      - .offset:         68
        .size:           1
        .value_kind:     by_value
    .group_segment_fixed_size: 0
    .kernarg_segment_align: 8
    .kernarg_segment_size: 72
    .language:       OpenCL C
    .language_version:
      - 2
      - 0
    .max_flat_workgroup_size: 128
    .name:           _ZN9rocsparseL19gebsrmvn_2xn_kernelILj128ELj11ELj4E21rocsparse_complex_numIfEEEvi20rocsparse_direction_NS_24const_host_device_scalarIT2_EEPKiS8_PKS5_SA_S6_PS5_21rocsparse_index_base_b
    .private_segment_fixed_size: 0
    .sgpr_count:     18
    .sgpr_spill_count: 0
    .symbol:         _ZN9rocsparseL19gebsrmvn_2xn_kernelILj128ELj11ELj4E21rocsparse_complex_numIfEEEvi20rocsparse_direction_NS_24const_host_device_scalarIT2_EEPKiS8_PKS5_SA_S6_PS5_21rocsparse_index_base_b.kd
    .uniform_work_group_size: 1
    .uses_dynamic_stack: false
    .vgpr_count:     40
    .vgpr_spill_count: 0
    .wavefront_size: 32
    .workgroup_processor_mode: 1
  - .args:
      - .offset:         0
        .size:           4
        .value_kind:     by_value
      - .offset:         4
        .size:           4
        .value_kind:     by_value
      - .offset:         8
        .size:           8
        .value_kind:     by_value
      - .actual_access:  read_only
        .address_space:  global
        .offset:         16
        .size:           8
        .value_kind:     global_buffer
      - .actual_access:  read_only
        .address_space:  global
        .offset:         24
        .size:           8
        .value_kind:     global_buffer
      - .actual_access:  read_only
        .address_space:  global
        .offset:         32
        .size:           8
        .value_kind:     global_buffer
      - .actual_access:  read_only
        .address_space:  global
        .offset:         40
        .size:           8
        .value_kind:     global_buffer
      - .offset:         48
        .size:           8
        .value_kind:     by_value
      - .address_space:  global
        .offset:         56
        .size:           8
        .value_kind:     global_buffer
      - .offset:         64
        .size:           4
        .value_kind:     by_value
      - .offset:         68
        .size:           1
        .value_kind:     by_value
    .group_segment_fixed_size: 0
    .kernarg_segment_align: 8
    .kernarg_segment_size: 72
    .language:       OpenCL C
    .language_version:
      - 2
      - 0
    .max_flat_workgroup_size: 128
    .name:           _ZN9rocsparseL19gebsrmvn_2xn_kernelILj128ELj11ELj8E21rocsparse_complex_numIfEEEvi20rocsparse_direction_NS_24const_host_device_scalarIT2_EEPKiS8_PKS5_SA_S6_PS5_21rocsparse_index_base_b
    .private_segment_fixed_size: 0
    .sgpr_count:     18
    .sgpr_spill_count: 0
    .symbol:         _ZN9rocsparseL19gebsrmvn_2xn_kernelILj128ELj11ELj8E21rocsparse_complex_numIfEEEvi20rocsparse_direction_NS_24const_host_device_scalarIT2_EEPKiS8_PKS5_SA_S6_PS5_21rocsparse_index_base_b.kd
    .uniform_work_group_size: 1
    .uses_dynamic_stack: false
    .vgpr_count:     40
    .vgpr_spill_count: 0
    .wavefront_size: 32
    .workgroup_processor_mode: 1
  - .args:
      - .offset:         0
        .size:           4
        .value_kind:     by_value
      - .offset:         4
        .size:           4
        .value_kind:     by_value
      - .offset:         8
        .size:           8
        .value_kind:     by_value
      - .actual_access:  read_only
        .address_space:  global
        .offset:         16
        .size:           8
        .value_kind:     global_buffer
      - .actual_access:  read_only
        .address_space:  global
        .offset:         24
        .size:           8
        .value_kind:     global_buffer
      - .actual_access:  read_only
        .address_space:  global
        .offset:         32
        .size:           8
        .value_kind:     global_buffer
      - .actual_access:  read_only
        .address_space:  global
        .offset:         40
        .size:           8
        .value_kind:     global_buffer
      - .offset:         48
        .size:           8
        .value_kind:     by_value
      - .address_space:  global
        .offset:         56
        .size:           8
        .value_kind:     global_buffer
      - .offset:         64
        .size:           4
        .value_kind:     by_value
      - .offset:         68
        .size:           1
        .value_kind:     by_value
    .group_segment_fixed_size: 0
    .kernarg_segment_align: 8
    .kernarg_segment_size: 72
    .language:       OpenCL C
    .language_version:
      - 2
      - 0
    .max_flat_workgroup_size: 128
    .name:           _ZN9rocsparseL19gebsrmvn_2xn_kernelILj128ELj11ELj16E21rocsparse_complex_numIfEEEvi20rocsparse_direction_NS_24const_host_device_scalarIT2_EEPKiS8_PKS5_SA_S6_PS5_21rocsparse_index_base_b
    .private_segment_fixed_size: 0
    .sgpr_count:     18
    .sgpr_spill_count: 0
    .symbol:         _ZN9rocsparseL19gebsrmvn_2xn_kernelILj128ELj11ELj16E21rocsparse_complex_numIfEEEvi20rocsparse_direction_NS_24const_host_device_scalarIT2_EEPKiS8_PKS5_SA_S6_PS5_21rocsparse_index_base_b.kd
    .uniform_work_group_size: 1
    .uses_dynamic_stack: false
    .vgpr_count:     40
    .vgpr_spill_count: 0
    .wavefront_size: 32
    .workgroup_processor_mode: 1
  - .args:
      - .offset:         0
        .size:           4
        .value_kind:     by_value
      - .offset:         4
        .size:           4
        .value_kind:     by_value
      - .offset:         8
        .size:           8
        .value_kind:     by_value
      - .actual_access:  read_only
        .address_space:  global
        .offset:         16
        .size:           8
        .value_kind:     global_buffer
      - .actual_access:  read_only
        .address_space:  global
        .offset:         24
        .size:           8
        .value_kind:     global_buffer
      - .actual_access:  read_only
        .address_space:  global
        .offset:         32
        .size:           8
        .value_kind:     global_buffer
      - .actual_access:  read_only
        .address_space:  global
        .offset:         40
        .size:           8
        .value_kind:     global_buffer
      - .offset:         48
        .size:           8
        .value_kind:     by_value
      - .address_space:  global
        .offset:         56
        .size:           8
        .value_kind:     global_buffer
      - .offset:         64
        .size:           4
        .value_kind:     by_value
      - .offset:         68
        .size:           1
        .value_kind:     by_value
    .group_segment_fixed_size: 0
    .kernarg_segment_align: 8
    .kernarg_segment_size: 72
    .language:       OpenCL C
    .language_version:
      - 2
      - 0
    .max_flat_workgroup_size: 128
    .name:           _ZN9rocsparseL19gebsrmvn_2xn_kernelILj128ELj11ELj32E21rocsparse_complex_numIfEEEvi20rocsparse_direction_NS_24const_host_device_scalarIT2_EEPKiS8_PKS5_SA_S6_PS5_21rocsparse_index_base_b
    .private_segment_fixed_size: 0
    .sgpr_count:     18
    .sgpr_spill_count: 0
    .symbol:         _ZN9rocsparseL19gebsrmvn_2xn_kernelILj128ELj11ELj32E21rocsparse_complex_numIfEEEvi20rocsparse_direction_NS_24const_host_device_scalarIT2_EEPKiS8_PKS5_SA_S6_PS5_21rocsparse_index_base_b.kd
    .uniform_work_group_size: 1
    .uses_dynamic_stack: false
    .vgpr_count:     40
    .vgpr_spill_count: 0
    .wavefront_size: 32
    .workgroup_processor_mode: 1
  - .args:
      - .offset:         0
        .size:           4
        .value_kind:     by_value
      - .offset:         4
        .size:           4
        .value_kind:     by_value
      - .offset:         8
        .size:           8
        .value_kind:     by_value
      - .actual_access:  read_only
        .address_space:  global
        .offset:         16
        .size:           8
        .value_kind:     global_buffer
      - .actual_access:  read_only
        .address_space:  global
        .offset:         24
        .size:           8
        .value_kind:     global_buffer
      - .actual_access:  read_only
        .address_space:  global
        .offset:         32
        .size:           8
        .value_kind:     global_buffer
      - .actual_access:  read_only
        .address_space:  global
        .offset:         40
        .size:           8
        .value_kind:     global_buffer
      - .offset:         48
        .size:           8
        .value_kind:     by_value
      - .address_space:  global
        .offset:         56
        .size:           8
        .value_kind:     global_buffer
      - .offset:         64
        .size:           4
        .value_kind:     by_value
      - .offset:         68
        .size:           1
        .value_kind:     by_value
    .group_segment_fixed_size: 0
    .kernarg_segment_align: 8
    .kernarg_segment_size: 72
    .language:       OpenCL C
    .language_version:
      - 2
      - 0
    .max_flat_workgroup_size: 128
    .name:           _ZN9rocsparseL19gebsrmvn_2xn_kernelILj128ELj11ELj64E21rocsparse_complex_numIfEEEvi20rocsparse_direction_NS_24const_host_device_scalarIT2_EEPKiS8_PKS5_SA_S6_PS5_21rocsparse_index_base_b
    .private_segment_fixed_size: 0
    .sgpr_count:     18
    .sgpr_spill_count: 0
    .symbol:         _ZN9rocsparseL19gebsrmvn_2xn_kernelILj128ELj11ELj64E21rocsparse_complex_numIfEEEvi20rocsparse_direction_NS_24const_host_device_scalarIT2_EEPKiS8_PKS5_SA_S6_PS5_21rocsparse_index_base_b.kd
    .uniform_work_group_size: 1
    .uses_dynamic_stack: false
    .vgpr_count:     40
    .vgpr_spill_count: 0
    .wavefront_size: 32
    .workgroup_processor_mode: 1
  - .args:
      - .offset:         0
        .size:           4
        .value_kind:     by_value
      - .offset:         4
        .size:           4
        .value_kind:     by_value
      - .offset:         8
        .size:           8
        .value_kind:     by_value
      - .actual_access:  read_only
        .address_space:  global
        .offset:         16
        .size:           8
        .value_kind:     global_buffer
      - .actual_access:  read_only
        .address_space:  global
        .offset:         24
        .size:           8
        .value_kind:     global_buffer
      - .actual_access:  read_only
        .address_space:  global
        .offset:         32
        .size:           8
        .value_kind:     global_buffer
      - .actual_access:  read_only
        .address_space:  global
        .offset:         40
        .size:           8
        .value_kind:     global_buffer
      - .offset:         48
        .size:           8
        .value_kind:     by_value
      - .address_space:  global
        .offset:         56
        .size:           8
        .value_kind:     global_buffer
      - .offset:         64
        .size:           4
        .value_kind:     by_value
      - .offset:         68
        .size:           1
        .value_kind:     by_value
    .group_segment_fixed_size: 0
    .kernarg_segment_align: 8
    .kernarg_segment_size: 72
    .language:       OpenCL C
    .language_version:
      - 2
      - 0
    .max_flat_workgroup_size: 128
    .name:           _ZN9rocsparseL19gebsrmvn_2xn_kernelILj128ELj12ELj4E21rocsparse_complex_numIfEEEvi20rocsparse_direction_NS_24const_host_device_scalarIT2_EEPKiS8_PKS5_SA_S6_PS5_21rocsparse_index_base_b
    .private_segment_fixed_size: 0
    .sgpr_count:     18
    .sgpr_spill_count: 0
    .symbol:         _ZN9rocsparseL19gebsrmvn_2xn_kernelILj128ELj12ELj4E21rocsparse_complex_numIfEEEvi20rocsparse_direction_NS_24const_host_device_scalarIT2_EEPKiS8_PKS5_SA_S6_PS5_21rocsparse_index_base_b.kd
    .uniform_work_group_size: 1
    .uses_dynamic_stack: false
    .vgpr_count:     44
    .vgpr_spill_count: 0
    .wavefront_size: 32
    .workgroup_processor_mode: 1
  - .args:
      - .offset:         0
        .size:           4
        .value_kind:     by_value
      - .offset:         4
        .size:           4
        .value_kind:     by_value
      - .offset:         8
        .size:           8
        .value_kind:     by_value
      - .actual_access:  read_only
        .address_space:  global
        .offset:         16
        .size:           8
        .value_kind:     global_buffer
      - .actual_access:  read_only
        .address_space:  global
        .offset:         24
        .size:           8
        .value_kind:     global_buffer
      - .actual_access:  read_only
        .address_space:  global
        .offset:         32
        .size:           8
        .value_kind:     global_buffer
      - .actual_access:  read_only
        .address_space:  global
        .offset:         40
        .size:           8
        .value_kind:     global_buffer
      - .offset:         48
        .size:           8
        .value_kind:     by_value
      - .address_space:  global
        .offset:         56
        .size:           8
        .value_kind:     global_buffer
      - .offset:         64
        .size:           4
        .value_kind:     by_value
      - .offset:         68
        .size:           1
        .value_kind:     by_value
    .group_segment_fixed_size: 0
    .kernarg_segment_align: 8
    .kernarg_segment_size: 72
    .language:       OpenCL C
    .language_version:
      - 2
      - 0
    .max_flat_workgroup_size: 128
    .name:           _ZN9rocsparseL19gebsrmvn_2xn_kernelILj128ELj12ELj8E21rocsparse_complex_numIfEEEvi20rocsparse_direction_NS_24const_host_device_scalarIT2_EEPKiS8_PKS5_SA_S6_PS5_21rocsparse_index_base_b
    .private_segment_fixed_size: 0
    .sgpr_count:     18
    .sgpr_spill_count: 0
    .symbol:         _ZN9rocsparseL19gebsrmvn_2xn_kernelILj128ELj12ELj8E21rocsparse_complex_numIfEEEvi20rocsparse_direction_NS_24const_host_device_scalarIT2_EEPKiS8_PKS5_SA_S6_PS5_21rocsparse_index_base_b.kd
    .uniform_work_group_size: 1
    .uses_dynamic_stack: false
    .vgpr_count:     44
    .vgpr_spill_count: 0
    .wavefront_size: 32
    .workgroup_processor_mode: 1
  - .args:
      - .offset:         0
        .size:           4
        .value_kind:     by_value
      - .offset:         4
        .size:           4
        .value_kind:     by_value
      - .offset:         8
        .size:           8
        .value_kind:     by_value
      - .actual_access:  read_only
        .address_space:  global
        .offset:         16
        .size:           8
        .value_kind:     global_buffer
      - .actual_access:  read_only
        .address_space:  global
        .offset:         24
        .size:           8
        .value_kind:     global_buffer
      - .actual_access:  read_only
        .address_space:  global
        .offset:         32
        .size:           8
        .value_kind:     global_buffer
      - .actual_access:  read_only
        .address_space:  global
        .offset:         40
        .size:           8
        .value_kind:     global_buffer
      - .offset:         48
        .size:           8
        .value_kind:     by_value
      - .address_space:  global
        .offset:         56
        .size:           8
        .value_kind:     global_buffer
      - .offset:         64
        .size:           4
        .value_kind:     by_value
      - .offset:         68
        .size:           1
        .value_kind:     by_value
    .group_segment_fixed_size: 0
    .kernarg_segment_align: 8
    .kernarg_segment_size: 72
    .language:       OpenCL C
    .language_version:
      - 2
      - 0
    .max_flat_workgroup_size: 128
    .name:           _ZN9rocsparseL19gebsrmvn_2xn_kernelILj128ELj12ELj16E21rocsparse_complex_numIfEEEvi20rocsparse_direction_NS_24const_host_device_scalarIT2_EEPKiS8_PKS5_SA_S6_PS5_21rocsparse_index_base_b
    .private_segment_fixed_size: 0
    .sgpr_count:     18
    .sgpr_spill_count: 0
    .symbol:         _ZN9rocsparseL19gebsrmvn_2xn_kernelILj128ELj12ELj16E21rocsparse_complex_numIfEEEvi20rocsparse_direction_NS_24const_host_device_scalarIT2_EEPKiS8_PKS5_SA_S6_PS5_21rocsparse_index_base_b.kd
    .uniform_work_group_size: 1
    .uses_dynamic_stack: false
    .vgpr_count:     44
    .vgpr_spill_count: 0
    .wavefront_size: 32
    .workgroup_processor_mode: 1
  - .args:
      - .offset:         0
        .size:           4
        .value_kind:     by_value
      - .offset:         4
        .size:           4
        .value_kind:     by_value
      - .offset:         8
        .size:           8
        .value_kind:     by_value
      - .actual_access:  read_only
        .address_space:  global
        .offset:         16
        .size:           8
        .value_kind:     global_buffer
      - .actual_access:  read_only
        .address_space:  global
        .offset:         24
        .size:           8
        .value_kind:     global_buffer
      - .actual_access:  read_only
        .address_space:  global
        .offset:         32
        .size:           8
        .value_kind:     global_buffer
      - .actual_access:  read_only
        .address_space:  global
        .offset:         40
        .size:           8
        .value_kind:     global_buffer
      - .offset:         48
        .size:           8
        .value_kind:     by_value
      - .address_space:  global
        .offset:         56
        .size:           8
        .value_kind:     global_buffer
      - .offset:         64
        .size:           4
        .value_kind:     by_value
      - .offset:         68
        .size:           1
        .value_kind:     by_value
    .group_segment_fixed_size: 0
    .kernarg_segment_align: 8
    .kernarg_segment_size: 72
    .language:       OpenCL C
    .language_version:
      - 2
      - 0
    .max_flat_workgroup_size: 128
    .name:           _ZN9rocsparseL19gebsrmvn_2xn_kernelILj128ELj12ELj32E21rocsparse_complex_numIfEEEvi20rocsparse_direction_NS_24const_host_device_scalarIT2_EEPKiS8_PKS5_SA_S6_PS5_21rocsparse_index_base_b
    .private_segment_fixed_size: 0
    .sgpr_count:     18
    .sgpr_spill_count: 0
    .symbol:         _ZN9rocsparseL19gebsrmvn_2xn_kernelILj128ELj12ELj32E21rocsparse_complex_numIfEEEvi20rocsparse_direction_NS_24const_host_device_scalarIT2_EEPKiS8_PKS5_SA_S6_PS5_21rocsparse_index_base_b.kd
    .uniform_work_group_size: 1
    .uses_dynamic_stack: false
    .vgpr_count:     44
    .vgpr_spill_count: 0
    .wavefront_size: 32
    .workgroup_processor_mode: 1
  - .args:
      - .offset:         0
        .size:           4
        .value_kind:     by_value
      - .offset:         4
        .size:           4
        .value_kind:     by_value
      - .offset:         8
        .size:           8
        .value_kind:     by_value
      - .actual_access:  read_only
        .address_space:  global
        .offset:         16
        .size:           8
        .value_kind:     global_buffer
      - .actual_access:  read_only
        .address_space:  global
        .offset:         24
        .size:           8
        .value_kind:     global_buffer
      - .actual_access:  read_only
        .address_space:  global
        .offset:         32
        .size:           8
        .value_kind:     global_buffer
      - .actual_access:  read_only
        .address_space:  global
        .offset:         40
        .size:           8
        .value_kind:     global_buffer
      - .offset:         48
        .size:           8
        .value_kind:     by_value
      - .address_space:  global
        .offset:         56
        .size:           8
        .value_kind:     global_buffer
      - .offset:         64
        .size:           4
        .value_kind:     by_value
      - .offset:         68
        .size:           1
        .value_kind:     by_value
    .group_segment_fixed_size: 0
    .kernarg_segment_align: 8
    .kernarg_segment_size: 72
    .language:       OpenCL C
    .language_version:
      - 2
      - 0
    .max_flat_workgroup_size: 128
    .name:           _ZN9rocsparseL19gebsrmvn_2xn_kernelILj128ELj12ELj64E21rocsparse_complex_numIfEEEvi20rocsparse_direction_NS_24const_host_device_scalarIT2_EEPKiS8_PKS5_SA_S6_PS5_21rocsparse_index_base_b
    .private_segment_fixed_size: 0
    .sgpr_count:     18
    .sgpr_spill_count: 0
    .symbol:         _ZN9rocsparseL19gebsrmvn_2xn_kernelILj128ELj12ELj64E21rocsparse_complex_numIfEEEvi20rocsparse_direction_NS_24const_host_device_scalarIT2_EEPKiS8_PKS5_SA_S6_PS5_21rocsparse_index_base_b.kd
    .uniform_work_group_size: 1
    .uses_dynamic_stack: false
    .vgpr_count:     44
    .vgpr_spill_count: 0
    .wavefront_size: 32
    .workgroup_processor_mode: 1
  - .args:
      - .offset:         0
        .size:           4
        .value_kind:     by_value
      - .offset:         4
        .size:           4
        .value_kind:     by_value
      - .offset:         8
        .size:           8
        .value_kind:     by_value
      - .actual_access:  read_only
        .address_space:  global
        .offset:         16
        .size:           8
        .value_kind:     global_buffer
      - .actual_access:  read_only
        .address_space:  global
        .offset:         24
        .size:           8
        .value_kind:     global_buffer
      - .actual_access:  read_only
        .address_space:  global
        .offset:         32
        .size:           8
        .value_kind:     global_buffer
      - .actual_access:  read_only
        .address_space:  global
        .offset:         40
        .size:           8
        .value_kind:     global_buffer
      - .offset:         48
        .size:           8
        .value_kind:     by_value
      - .address_space:  global
        .offset:         56
        .size:           8
        .value_kind:     global_buffer
      - .offset:         64
        .size:           4
        .value_kind:     by_value
      - .offset:         68
        .size:           1
        .value_kind:     by_value
    .group_segment_fixed_size: 0
    .kernarg_segment_align: 8
    .kernarg_segment_size: 72
    .language:       OpenCL C
    .language_version:
      - 2
      - 0
    .max_flat_workgroup_size: 128
    .name:           _ZN9rocsparseL19gebsrmvn_2xn_kernelILj128ELj13ELj4E21rocsparse_complex_numIfEEEvi20rocsparse_direction_NS_24const_host_device_scalarIT2_EEPKiS8_PKS5_SA_S6_PS5_21rocsparse_index_base_b
    .private_segment_fixed_size: 0
    .sgpr_count:     18
    .sgpr_spill_count: 0
    .symbol:         _ZN9rocsparseL19gebsrmvn_2xn_kernelILj128ELj13ELj4E21rocsparse_complex_numIfEEEvi20rocsparse_direction_NS_24const_host_device_scalarIT2_EEPKiS8_PKS5_SA_S6_PS5_21rocsparse_index_base_b.kd
    .uniform_work_group_size: 1
    .uses_dynamic_stack: false
    .vgpr_count:     40
    .vgpr_spill_count: 0
    .wavefront_size: 32
    .workgroup_processor_mode: 1
  - .args:
      - .offset:         0
        .size:           4
        .value_kind:     by_value
      - .offset:         4
        .size:           4
        .value_kind:     by_value
      - .offset:         8
        .size:           8
        .value_kind:     by_value
      - .actual_access:  read_only
        .address_space:  global
        .offset:         16
        .size:           8
        .value_kind:     global_buffer
      - .actual_access:  read_only
        .address_space:  global
        .offset:         24
        .size:           8
        .value_kind:     global_buffer
      - .actual_access:  read_only
        .address_space:  global
        .offset:         32
        .size:           8
        .value_kind:     global_buffer
      - .actual_access:  read_only
        .address_space:  global
        .offset:         40
        .size:           8
        .value_kind:     global_buffer
      - .offset:         48
        .size:           8
        .value_kind:     by_value
      - .address_space:  global
        .offset:         56
        .size:           8
        .value_kind:     global_buffer
      - .offset:         64
        .size:           4
        .value_kind:     by_value
      - .offset:         68
        .size:           1
        .value_kind:     by_value
    .group_segment_fixed_size: 0
    .kernarg_segment_align: 8
    .kernarg_segment_size: 72
    .language:       OpenCL C
    .language_version:
      - 2
      - 0
    .max_flat_workgroup_size: 128
    .name:           _ZN9rocsparseL19gebsrmvn_2xn_kernelILj128ELj13ELj8E21rocsparse_complex_numIfEEEvi20rocsparse_direction_NS_24const_host_device_scalarIT2_EEPKiS8_PKS5_SA_S6_PS5_21rocsparse_index_base_b
    .private_segment_fixed_size: 0
    .sgpr_count:     18
    .sgpr_spill_count: 0
    .symbol:         _ZN9rocsparseL19gebsrmvn_2xn_kernelILj128ELj13ELj8E21rocsparse_complex_numIfEEEvi20rocsparse_direction_NS_24const_host_device_scalarIT2_EEPKiS8_PKS5_SA_S6_PS5_21rocsparse_index_base_b.kd
    .uniform_work_group_size: 1
    .uses_dynamic_stack: false
    .vgpr_count:     40
    .vgpr_spill_count: 0
    .wavefront_size: 32
    .workgroup_processor_mode: 1
  - .args:
      - .offset:         0
        .size:           4
        .value_kind:     by_value
      - .offset:         4
        .size:           4
        .value_kind:     by_value
      - .offset:         8
        .size:           8
        .value_kind:     by_value
      - .actual_access:  read_only
        .address_space:  global
        .offset:         16
        .size:           8
        .value_kind:     global_buffer
      - .actual_access:  read_only
        .address_space:  global
        .offset:         24
        .size:           8
        .value_kind:     global_buffer
      - .actual_access:  read_only
        .address_space:  global
        .offset:         32
        .size:           8
        .value_kind:     global_buffer
      - .actual_access:  read_only
        .address_space:  global
        .offset:         40
        .size:           8
        .value_kind:     global_buffer
      - .offset:         48
        .size:           8
        .value_kind:     by_value
      - .address_space:  global
        .offset:         56
        .size:           8
        .value_kind:     global_buffer
      - .offset:         64
        .size:           4
        .value_kind:     by_value
      - .offset:         68
        .size:           1
        .value_kind:     by_value
    .group_segment_fixed_size: 0
    .kernarg_segment_align: 8
    .kernarg_segment_size: 72
    .language:       OpenCL C
    .language_version:
      - 2
      - 0
    .max_flat_workgroup_size: 128
    .name:           _ZN9rocsparseL19gebsrmvn_2xn_kernelILj128ELj13ELj16E21rocsparse_complex_numIfEEEvi20rocsparse_direction_NS_24const_host_device_scalarIT2_EEPKiS8_PKS5_SA_S6_PS5_21rocsparse_index_base_b
    .private_segment_fixed_size: 0
    .sgpr_count:     18
    .sgpr_spill_count: 0
    .symbol:         _ZN9rocsparseL19gebsrmvn_2xn_kernelILj128ELj13ELj16E21rocsparse_complex_numIfEEEvi20rocsparse_direction_NS_24const_host_device_scalarIT2_EEPKiS8_PKS5_SA_S6_PS5_21rocsparse_index_base_b.kd
    .uniform_work_group_size: 1
    .uses_dynamic_stack: false
    .vgpr_count:     40
    .vgpr_spill_count: 0
    .wavefront_size: 32
    .workgroup_processor_mode: 1
  - .args:
      - .offset:         0
        .size:           4
        .value_kind:     by_value
      - .offset:         4
        .size:           4
        .value_kind:     by_value
      - .offset:         8
        .size:           8
        .value_kind:     by_value
      - .actual_access:  read_only
        .address_space:  global
        .offset:         16
        .size:           8
        .value_kind:     global_buffer
      - .actual_access:  read_only
        .address_space:  global
        .offset:         24
        .size:           8
        .value_kind:     global_buffer
      - .actual_access:  read_only
        .address_space:  global
        .offset:         32
        .size:           8
        .value_kind:     global_buffer
      - .actual_access:  read_only
        .address_space:  global
        .offset:         40
        .size:           8
        .value_kind:     global_buffer
      - .offset:         48
        .size:           8
        .value_kind:     by_value
      - .address_space:  global
        .offset:         56
        .size:           8
        .value_kind:     global_buffer
      - .offset:         64
        .size:           4
        .value_kind:     by_value
      - .offset:         68
        .size:           1
        .value_kind:     by_value
    .group_segment_fixed_size: 0
    .kernarg_segment_align: 8
    .kernarg_segment_size: 72
    .language:       OpenCL C
    .language_version:
      - 2
      - 0
    .max_flat_workgroup_size: 128
    .name:           _ZN9rocsparseL19gebsrmvn_2xn_kernelILj128ELj13ELj32E21rocsparse_complex_numIfEEEvi20rocsparse_direction_NS_24const_host_device_scalarIT2_EEPKiS8_PKS5_SA_S6_PS5_21rocsparse_index_base_b
    .private_segment_fixed_size: 0
    .sgpr_count:     18
    .sgpr_spill_count: 0
    .symbol:         _ZN9rocsparseL19gebsrmvn_2xn_kernelILj128ELj13ELj32E21rocsparse_complex_numIfEEEvi20rocsparse_direction_NS_24const_host_device_scalarIT2_EEPKiS8_PKS5_SA_S6_PS5_21rocsparse_index_base_b.kd
    .uniform_work_group_size: 1
    .uses_dynamic_stack: false
    .vgpr_count:     40
    .vgpr_spill_count: 0
    .wavefront_size: 32
    .workgroup_processor_mode: 1
  - .args:
      - .offset:         0
        .size:           4
        .value_kind:     by_value
      - .offset:         4
        .size:           4
        .value_kind:     by_value
      - .offset:         8
        .size:           8
        .value_kind:     by_value
      - .actual_access:  read_only
        .address_space:  global
        .offset:         16
        .size:           8
        .value_kind:     global_buffer
      - .actual_access:  read_only
        .address_space:  global
        .offset:         24
        .size:           8
        .value_kind:     global_buffer
      - .actual_access:  read_only
        .address_space:  global
        .offset:         32
        .size:           8
        .value_kind:     global_buffer
      - .actual_access:  read_only
        .address_space:  global
        .offset:         40
        .size:           8
        .value_kind:     global_buffer
      - .offset:         48
        .size:           8
        .value_kind:     by_value
      - .address_space:  global
        .offset:         56
        .size:           8
        .value_kind:     global_buffer
      - .offset:         64
        .size:           4
        .value_kind:     by_value
      - .offset:         68
        .size:           1
        .value_kind:     by_value
    .group_segment_fixed_size: 0
    .kernarg_segment_align: 8
    .kernarg_segment_size: 72
    .language:       OpenCL C
    .language_version:
      - 2
      - 0
    .max_flat_workgroup_size: 128
    .name:           _ZN9rocsparseL19gebsrmvn_2xn_kernelILj128ELj13ELj64E21rocsparse_complex_numIfEEEvi20rocsparse_direction_NS_24const_host_device_scalarIT2_EEPKiS8_PKS5_SA_S6_PS5_21rocsparse_index_base_b
    .private_segment_fixed_size: 0
    .sgpr_count:     18
    .sgpr_spill_count: 0
    .symbol:         _ZN9rocsparseL19gebsrmvn_2xn_kernelILj128ELj13ELj64E21rocsparse_complex_numIfEEEvi20rocsparse_direction_NS_24const_host_device_scalarIT2_EEPKiS8_PKS5_SA_S6_PS5_21rocsparse_index_base_b.kd
    .uniform_work_group_size: 1
    .uses_dynamic_stack: false
    .vgpr_count:     40
    .vgpr_spill_count: 0
    .wavefront_size: 32
    .workgroup_processor_mode: 1
  - .args:
      - .offset:         0
        .size:           4
        .value_kind:     by_value
      - .offset:         4
        .size:           4
        .value_kind:     by_value
      - .offset:         8
        .size:           8
        .value_kind:     by_value
      - .actual_access:  read_only
        .address_space:  global
        .offset:         16
        .size:           8
        .value_kind:     global_buffer
      - .actual_access:  read_only
        .address_space:  global
        .offset:         24
        .size:           8
        .value_kind:     global_buffer
      - .actual_access:  read_only
        .address_space:  global
        .offset:         32
        .size:           8
        .value_kind:     global_buffer
      - .actual_access:  read_only
        .address_space:  global
        .offset:         40
        .size:           8
        .value_kind:     global_buffer
      - .offset:         48
        .size:           8
        .value_kind:     by_value
      - .address_space:  global
        .offset:         56
        .size:           8
        .value_kind:     global_buffer
      - .offset:         64
        .size:           4
        .value_kind:     by_value
      - .offset:         68
        .size:           1
        .value_kind:     by_value
    .group_segment_fixed_size: 0
    .kernarg_segment_align: 8
    .kernarg_segment_size: 72
    .language:       OpenCL C
    .language_version:
      - 2
      - 0
    .max_flat_workgroup_size: 128
    .name:           _ZN9rocsparseL19gebsrmvn_2xn_kernelILj128ELj14ELj4E21rocsparse_complex_numIfEEEvi20rocsparse_direction_NS_24const_host_device_scalarIT2_EEPKiS8_PKS5_SA_S6_PS5_21rocsparse_index_base_b
    .private_segment_fixed_size: 0
    .sgpr_count:     18
    .sgpr_spill_count: 0
    .symbol:         _ZN9rocsparseL19gebsrmvn_2xn_kernelILj128ELj14ELj4E21rocsparse_complex_numIfEEEvi20rocsparse_direction_NS_24const_host_device_scalarIT2_EEPKiS8_PKS5_SA_S6_PS5_21rocsparse_index_base_b.kd
    .uniform_work_group_size: 1
    .uses_dynamic_stack: false
    .vgpr_count:     30
    .vgpr_spill_count: 0
    .wavefront_size: 32
    .workgroup_processor_mode: 1
  - .args:
      - .offset:         0
        .size:           4
        .value_kind:     by_value
      - .offset:         4
        .size:           4
        .value_kind:     by_value
      - .offset:         8
        .size:           8
        .value_kind:     by_value
      - .actual_access:  read_only
        .address_space:  global
        .offset:         16
        .size:           8
        .value_kind:     global_buffer
      - .actual_access:  read_only
        .address_space:  global
        .offset:         24
        .size:           8
        .value_kind:     global_buffer
      - .actual_access:  read_only
        .address_space:  global
        .offset:         32
        .size:           8
        .value_kind:     global_buffer
      - .actual_access:  read_only
        .address_space:  global
        .offset:         40
        .size:           8
        .value_kind:     global_buffer
      - .offset:         48
        .size:           8
        .value_kind:     by_value
      - .address_space:  global
        .offset:         56
        .size:           8
        .value_kind:     global_buffer
      - .offset:         64
        .size:           4
        .value_kind:     by_value
      - .offset:         68
        .size:           1
        .value_kind:     by_value
    .group_segment_fixed_size: 0
    .kernarg_segment_align: 8
    .kernarg_segment_size: 72
    .language:       OpenCL C
    .language_version:
      - 2
      - 0
    .max_flat_workgroup_size: 128
    .name:           _ZN9rocsparseL19gebsrmvn_2xn_kernelILj128ELj14ELj8E21rocsparse_complex_numIfEEEvi20rocsparse_direction_NS_24const_host_device_scalarIT2_EEPKiS8_PKS5_SA_S6_PS5_21rocsparse_index_base_b
    .private_segment_fixed_size: 0
    .sgpr_count:     18
    .sgpr_spill_count: 0
    .symbol:         _ZN9rocsparseL19gebsrmvn_2xn_kernelILj128ELj14ELj8E21rocsparse_complex_numIfEEEvi20rocsparse_direction_NS_24const_host_device_scalarIT2_EEPKiS8_PKS5_SA_S6_PS5_21rocsparse_index_base_b.kd
    .uniform_work_group_size: 1
    .uses_dynamic_stack: false
    .vgpr_count:     30
    .vgpr_spill_count: 0
    .wavefront_size: 32
    .workgroup_processor_mode: 1
  - .args:
      - .offset:         0
        .size:           4
        .value_kind:     by_value
      - .offset:         4
        .size:           4
        .value_kind:     by_value
      - .offset:         8
        .size:           8
        .value_kind:     by_value
      - .actual_access:  read_only
        .address_space:  global
        .offset:         16
        .size:           8
        .value_kind:     global_buffer
      - .actual_access:  read_only
        .address_space:  global
        .offset:         24
        .size:           8
        .value_kind:     global_buffer
      - .actual_access:  read_only
        .address_space:  global
        .offset:         32
        .size:           8
        .value_kind:     global_buffer
      - .actual_access:  read_only
        .address_space:  global
        .offset:         40
        .size:           8
        .value_kind:     global_buffer
      - .offset:         48
        .size:           8
        .value_kind:     by_value
      - .address_space:  global
        .offset:         56
        .size:           8
        .value_kind:     global_buffer
      - .offset:         64
        .size:           4
        .value_kind:     by_value
      - .offset:         68
        .size:           1
        .value_kind:     by_value
    .group_segment_fixed_size: 0
    .kernarg_segment_align: 8
    .kernarg_segment_size: 72
    .language:       OpenCL C
    .language_version:
      - 2
      - 0
    .max_flat_workgroup_size: 128
    .name:           _ZN9rocsparseL19gebsrmvn_2xn_kernelILj128ELj14ELj16E21rocsparse_complex_numIfEEEvi20rocsparse_direction_NS_24const_host_device_scalarIT2_EEPKiS8_PKS5_SA_S6_PS5_21rocsparse_index_base_b
    .private_segment_fixed_size: 0
    .sgpr_count:     18
    .sgpr_spill_count: 0
    .symbol:         _ZN9rocsparseL19gebsrmvn_2xn_kernelILj128ELj14ELj16E21rocsparse_complex_numIfEEEvi20rocsparse_direction_NS_24const_host_device_scalarIT2_EEPKiS8_PKS5_SA_S6_PS5_21rocsparse_index_base_b.kd
    .uniform_work_group_size: 1
    .uses_dynamic_stack: false
    .vgpr_count:     30
    .vgpr_spill_count: 0
    .wavefront_size: 32
    .workgroup_processor_mode: 1
  - .args:
      - .offset:         0
        .size:           4
        .value_kind:     by_value
      - .offset:         4
        .size:           4
        .value_kind:     by_value
      - .offset:         8
        .size:           8
        .value_kind:     by_value
      - .actual_access:  read_only
        .address_space:  global
        .offset:         16
        .size:           8
        .value_kind:     global_buffer
      - .actual_access:  read_only
        .address_space:  global
        .offset:         24
        .size:           8
        .value_kind:     global_buffer
      - .actual_access:  read_only
        .address_space:  global
        .offset:         32
        .size:           8
        .value_kind:     global_buffer
      - .actual_access:  read_only
        .address_space:  global
        .offset:         40
        .size:           8
        .value_kind:     global_buffer
      - .offset:         48
        .size:           8
        .value_kind:     by_value
      - .address_space:  global
        .offset:         56
        .size:           8
        .value_kind:     global_buffer
      - .offset:         64
        .size:           4
        .value_kind:     by_value
      - .offset:         68
        .size:           1
        .value_kind:     by_value
    .group_segment_fixed_size: 0
    .kernarg_segment_align: 8
    .kernarg_segment_size: 72
    .language:       OpenCL C
    .language_version:
      - 2
      - 0
    .max_flat_workgroup_size: 128
    .name:           _ZN9rocsparseL19gebsrmvn_2xn_kernelILj128ELj14ELj32E21rocsparse_complex_numIfEEEvi20rocsparse_direction_NS_24const_host_device_scalarIT2_EEPKiS8_PKS5_SA_S6_PS5_21rocsparse_index_base_b
    .private_segment_fixed_size: 0
    .sgpr_count:     18
    .sgpr_spill_count: 0
    .symbol:         _ZN9rocsparseL19gebsrmvn_2xn_kernelILj128ELj14ELj32E21rocsparse_complex_numIfEEEvi20rocsparse_direction_NS_24const_host_device_scalarIT2_EEPKiS8_PKS5_SA_S6_PS5_21rocsparse_index_base_b.kd
    .uniform_work_group_size: 1
    .uses_dynamic_stack: false
    .vgpr_count:     30
    .vgpr_spill_count: 0
    .wavefront_size: 32
    .workgroup_processor_mode: 1
  - .args:
      - .offset:         0
        .size:           4
        .value_kind:     by_value
      - .offset:         4
        .size:           4
        .value_kind:     by_value
      - .offset:         8
        .size:           8
        .value_kind:     by_value
      - .actual_access:  read_only
        .address_space:  global
        .offset:         16
        .size:           8
        .value_kind:     global_buffer
      - .actual_access:  read_only
        .address_space:  global
        .offset:         24
        .size:           8
        .value_kind:     global_buffer
      - .actual_access:  read_only
        .address_space:  global
        .offset:         32
        .size:           8
        .value_kind:     global_buffer
      - .actual_access:  read_only
        .address_space:  global
        .offset:         40
        .size:           8
        .value_kind:     global_buffer
      - .offset:         48
        .size:           8
        .value_kind:     by_value
      - .address_space:  global
        .offset:         56
        .size:           8
        .value_kind:     global_buffer
      - .offset:         64
        .size:           4
        .value_kind:     by_value
      - .offset:         68
        .size:           1
        .value_kind:     by_value
    .group_segment_fixed_size: 0
    .kernarg_segment_align: 8
    .kernarg_segment_size: 72
    .language:       OpenCL C
    .language_version:
      - 2
      - 0
    .max_flat_workgroup_size: 128
    .name:           _ZN9rocsparseL19gebsrmvn_2xn_kernelILj128ELj14ELj64E21rocsparse_complex_numIfEEEvi20rocsparse_direction_NS_24const_host_device_scalarIT2_EEPKiS8_PKS5_SA_S6_PS5_21rocsparse_index_base_b
    .private_segment_fixed_size: 0
    .sgpr_count:     18
    .sgpr_spill_count: 0
    .symbol:         _ZN9rocsparseL19gebsrmvn_2xn_kernelILj128ELj14ELj64E21rocsparse_complex_numIfEEEvi20rocsparse_direction_NS_24const_host_device_scalarIT2_EEPKiS8_PKS5_SA_S6_PS5_21rocsparse_index_base_b.kd
    .uniform_work_group_size: 1
    .uses_dynamic_stack: false
    .vgpr_count:     30
    .vgpr_spill_count: 0
    .wavefront_size: 32
    .workgroup_processor_mode: 1
  - .args:
      - .offset:         0
        .size:           4
        .value_kind:     by_value
      - .offset:         4
        .size:           4
        .value_kind:     by_value
      - .offset:         8
        .size:           8
        .value_kind:     by_value
      - .actual_access:  read_only
        .address_space:  global
        .offset:         16
        .size:           8
        .value_kind:     global_buffer
      - .actual_access:  read_only
        .address_space:  global
        .offset:         24
        .size:           8
        .value_kind:     global_buffer
      - .actual_access:  read_only
        .address_space:  global
        .offset:         32
        .size:           8
        .value_kind:     global_buffer
      - .actual_access:  read_only
        .address_space:  global
        .offset:         40
        .size:           8
        .value_kind:     global_buffer
      - .offset:         48
        .size:           8
        .value_kind:     by_value
      - .address_space:  global
        .offset:         56
        .size:           8
        .value_kind:     global_buffer
      - .offset:         64
        .size:           4
        .value_kind:     by_value
      - .offset:         68
        .size:           1
        .value_kind:     by_value
    .group_segment_fixed_size: 0
    .kernarg_segment_align: 8
    .kernarg_segment_size: 72
    .language:       OpenCL C
    .language_version:
      - 2
      - 0
    .max_flat_workgroup_size: 128
    .name:           _ZN9rocsparseL19gebsrmvn_2xn_kernelILj128ELj15ELj4E21rocsparse_complex_numIfEEEvi20rocsparse_direction_NS_24const_host_device_scalarIT2_EEPKiS8_PKS5_SA_S6_PS5_21rocsparse_index_base_b
    .private_segment_fixed_size: 0
    .sgpr_count:     18
    .sgpr_spill_count: 0
    .symbol:         _ZN9rocsparseL19gebsrmvn_2xn_kernelILj128ELj15ELj4E21rocsparse_complex_numIfEEEvi20rocsparse_direction_NS_24const_host_device_scalarIT2_EEPKiS8_PKS5_SA_S6_PS5_21rocsparse_index_base_b.kd
    .uniform_work_group_size: 1
    .uses_dynamic_stack: false
    .vgpr_count:     38
    .vgpr_spill_count: 0
    .wavefront_size: 32
    .workgroup_processor_mode: 1
  - .args:
      - .offset:         0
        .size:           4
        .value_kind:     by_value
      - .offset:         4
        .size:           4
        .value_kind:     by_value
      - .offset:         8
        .size:           8
        .value_kind:     by_value
      - .actual_access:  read_only
        .address_space:  global
        .offset:         16
        .size:           8
        .value_kind:     global_buffer
      - .actual_access:  read_only
        .address_space:  global
        .offset:         24
        .size:           8
        .value_kind:     global_buffer
      - .actual_access:  read_only
        .address_space:  global
        .offset:         32
        .size:           8
        .value_kind:     global_buffer
      - .actual_access:  read_only
        .address_space:  global
        .offset:         40
        .size:           8
        .value_kind:     global_buffer
      - .offset:         48
        .size:           8
        .value_kind:     by_value
      - .address_space:  global
        .offset:         56
        .size:           8
        .value_kind:     global_buffer
      - .offset:         64
        .size:           4
        .value_kind:     by_value
      - .offset:         68
        .size:           1
        .value_kind:     by_value
    .group_segment_fixed_size: 0
    .kernarg_segment_align: 8
    .kernarg_segment_size: 72
    .language:       OpenCL C
    .language_version:
      - 2
      - 0
    .max_flat_workgroup_size: 128
    .name:           _ZN9rocsparseL19gebsrmvn_2xn_kernelILj128ELj15ELj8E21rocsparse_complex_numIfEEEvi20rocsparse_direction_NS_24const_host_device_scalarIT2_EEPKiS8_PKS5_SA_S6_PS5_21rocsparse_index_base_b
    .private_segment_fixed_size: 0
    .sgpr_count:     18
    .sgpr_spill_count: 0
    .symbol:         _ZN9rocsparseL19gebsrmvn_2xn_kernelILj128ELj15ELj8E21rocsparse_complex_numIfEEEvi20rocsparse_direction_NS_24const_host_device_scalarIT2_EEPKiS8_PKS5_SA_S6_PS5_21rocsparse_index_base_b.kd
    .uniform_work_group_size: 1
    .uses_dynamic_stack: false
    .vgpr_count:     38
    .vgpr_spill_count: 0
    .wavefront_size: 32
    .workgroup_processor_mode: 1
  - .args:
      - .offset:         0
        .size:           4
        .value_kind:     by_value
      - .offset:         4
        .size:           4
        .value_kind:     by_value
      - .offset:         8
        .size:           8
        .value_kind:     by_value
      - .actual_access:  read_only
        .address_space:  global
        .offset:         16
        .size:           8
        .value_kind:     global_buffer
      - .actual_access:  read_only
        .address_space:  global
        .offset:         24
        .size:           8
        .value_kind:     global_buffer
      - .actual_access:  read_only
        .address_space:  global
        .offset:         32
        .size:           8
        .value_kind:     global_buffer
      - .actual_access:  read_only
        .address_space:  global
        .offset:         40
        .size:           8
        .value_kind:     global_buffer
      - .offset:         48
        .size:           8
        .value_kind:     by_value
      - .address_space:  global
        .offset:         56
        .size:           8
        .value_kind:     global_buffer
      - .offset:         64
        .size:           4
        .value_kind:     by_value
      - .offset:         68
        .size:           1
        .value_kind:     by_value
    .group_segment_fixed_size: 0
    .kernarg_segment_align: 8
    .kernarg_segment_size: 72
    .language:       OpenCL C
    .language_version:
      - 2
      - 0
    .max_flat_workgroup_size: 128
    .name:           _ZN9rocsparseL19gebsrmvn_2xn_kernelILj128ELj15ELj16E21rocsparse_complex_numIfEEEvi20rocsparse_direction_NS_24const_host_device_scalarIT2_EEPKiS8_PKS5_SA_S6_PS5_21rocsparse_index_base_b
    .private_segment_fixed_size: 0
    .sgpr_count:     18
    .sgpr_spill_count: 0
    .symbol:         _ZN9rocsparseL19gebsrmvn_2xn_kernelILj128ELj15ELj16E21rocsparse_complex_numIfEEEvi20rocsparse_direction_NS_24const_host_device_scalarIT2_EEPKiS8_PKS5_SA_S6_PS5_21rocsparse_index_base_b.kd
    .uniform_work_group_size: 1
    .uses_dynamic_stack: false
    .vgpr_count:     38
    .vgpr_spill_count: 0
    .wavefront_size: 32
    .workgroup_processor_mode: 1
  - .args:
      - .offset:         0
        .size:           4
        .value_kind:     by_value
      - .offset:         4
        .size:           4
        .value_kind:     by_value
      - .offset:         8
        .size:           8
        .value_kind:     by_value
      - .actual_access:  read_only
        .address_space:  global
        .offset:         16
        .size:           8
        .value_kind:     global_buffer
      - .actual_access:  read_only
        .address_space:  global
        .offset:         24
        .size:           8
        .value_kind:     global_buffer
      - .actual_access:  read_only
        .address_space:  global
        .offset:         32
        .size:           8
        .value_kind:     global_buffer
      - .actual_access:  read_only
        .address_space:  global
        .offset:         40
        .size:           8
        .value_kind:     global_buffer
      - .offset:         48
        .size:           8
        .value_kind:     by_value
      - .address_space:  global
        .offset:         56
        .size:           8
        .value_kind:     global_buffer
      - .offset:         64
        .size:           4
        .value_kind:     by_value
      - .offset:         68
        .size:           1
        .value_kind:     by_value
    .group_segment_fixed_size: 0
    .kernarg_segment_align: 8
    .kernarg_segment_size: 72
    .language:       OpenCL C
    .language_version:
      - 2
      - 0
    .max_flat_workgroup_size: 128
    .name:           _ZN9rocsparseL19gebsrmvn_2xn_kernelILj128ELj15ELj32E21rocsparse_complex_numIfEEEvi20rocsparse_direction_NS_24const_host_device_scalarIT2_EEPKiS8_PKS5_SA_S6_PS5_21rocsparse_index_base_b
    .private_segment_fixed_size: 0
    .sgpr_count:     18
    .sgpr_spill_count: 0
    .symbol:         _ZN9rocsparseL19gebsrmvn_2xn_kernelILj128ELj15ELj32E21rocsparse_complex_numIfEEEvi20rocsparse_direction_NS_24const_host_device_scalarIT2_EEPKiS8_PKS5_SA_S6_PS5_21rocsparse_index_base_b.kd
    .uniform_work_group_size: 1
    .uses_dynamic_stack: false
    .vgpr_count:     38
    .vgpr_spill_count: 0
    .wavefront_size: 32
    .workgroup_processor_mode: 1
  - .args:
      - .offset:         0
        .size:           4
        .value_kind:     by_value
      - .offset:         4
        .size:           4
        .value_kind:     by_value
      - .offset:         8
        .size:           8
        .value_kind:     by_value
      - .actual_access:  read_only
        .address_space:  global
        .offset:         16
        .size:           8
        .value_kind:     global_buffer
      - .actual_access:  read_only
        .address_space:  global
        .offset:         24
        .size:           8
        .value_kind:     global_buffer
      - .actual_access:  read_only
        .address_space:  global
        .offset:         32
        .size:           8
        .value_kind:     global_buffer
      - .actual_access:  read_only
        .address_space:  global
        .offset:         40
        .size:           8
        .value_kind:     global_buffer
      - .offset:         48
        .size:           8
        .value_kind:     by_value
      - .address_space:  global
        .offset:         56
        .size:           8
        .value_kind:     global_buffer
      - .offset:         64
        .size:           4
        .value_kind:     by_value
      - .offset:         68
        .size:           1
        .value_kind:     by_value
    .group_segment_fixed_size: 0
    .kernarg_segment_align: 8
    .kernarg_segment_size: 72
    .language:       OpenCL C
    .language_version:
      - 2
      - 0
    .max_flat_workgroup_size: 128
    .name:           _ZN9rocsparseL19gebsrmvn_2xn_kernelILj128ELj15ELj64E21rocsparse_complex_numIfEEEvi20rocsparse_direction_NS_24const_host_device_scalarIT2_EEPKiS8_PKS5_SA_S6_PS5_21rocsparse_index_base_b
    .private_segment_fixed_size: 0
    .sgpr_count:     18
    .sgpr_spill_count: 0
    .symbol:         _ZN9rocsparseL19gebsrmvn_2xn_kernelILj128ELj15ELj64E21rocsparse_complex_numIfEEEvi20rocsparse_direction_NS_24const_host_device_scalarIT2_EEPKiS8_PKS5_SA_S6_PS5_21rocsparse_index_base_b.kd
    .uniform_work_group_size: 1
    .uses_dynamic_stack: false
    .vgpr_count:     38
    .vgpr_spill_count: 0
    .wavefront_size: 32
    .workgroup_processor_mode: 1
  - .args:
      - .offset:         0
        .size:           4
        .value_kind:     by_value
      - .offset:         4
        .size:           4
        .value_kind:     by_value
      - .offset:         8
        .size:           8
        .value_kind:     by_value
      - .actual_access:  read_only
        .address_space:  global
        .offset:         16
        .size:           8
        .value_kind:     global_buffer
      - .actual_access:  read_only
        .address_space:  global
        .offset:         24
        .size:           8
        .value_kind:     global_buffer
      - .actual_access:  read_only
        .address_space:  global
        .offset:         32
        .size:           8
        .value_kind:     global_buffer
      - .actual_access:  read_only
        .address_space:  global
        .offset:         40
        .size:           8
        .value_kind:     global_buffer
      - .offset:         48
        .size:           8
        .value_kind:     by_value
      - .address_space:  global
        .offset:         56
        .size:           8
        .value_kind:     global_buffer
      - .offset:         64
        .size:           4
        .value_kind:     by_value
      - .offset:         68
        .size:           1
        .value_kind:     by_value
    .group_segment_fixed_size: 0
    .kernarg_segment_align: 8
    .kernarg_segment_size: 72
    .language:       OpenCL C
    .language_version:
      - 2
      - 0
    .max_flat_workgroup_size: 128
    .name:           _ZN9rocsparseL19gebsrmvn_2xn_kernelILj128ELj16ELj4E21rocsparse_complex_numIfEEEvi20rocsparse_direction_NS_24const_host_device_scalarIT2_EEPKiS8_PKS5_SA_S6_PS5_21rocsparse_index_base_b
    .private_segment_fixed_size: 0
    .sgpr_count:     20
    .sgpr_spill_count: 0
    .symbol:         _ZN9rocsparseL19gebsrmvn_2xn_kernelILj128ELj16ELj4E21rocsparse_complex_numIfEEEvi20rocsparse_direction_NS_24const_host_device_scalarIT2_EEPKiS8_PKS5_SA_S6_PS5_21rocsparse_index_base_b.kd
    .uniform_work_group_size: 1
    .uses_dynamic_stack: false
    .vgpr_count:     47
    .vgpr_spill_count: 0
    .wavefront_size: 32
    .workgroup_processor_mode: 1
  - .args:
      - .offset:         0
        .size:           4
        .value_kind:     by_value
      - .offset:         4
        .size:           4
        .value_kind:     by_value
      - .offset:         8
        .size:           8
        .value_kind:     by_value
      - .actual_access:  read_only
        .address_space:  global
        .offset:         16
        .size:           8
        .value_kind:     global_buffer
      - .actual_access:  read_only
        .address_space:  global
        .offset:         24
        .size:           8
        .value_kind:     global_buffer
      - .actual_access:  read_only
        .address_space:  global
        .offset:         32
        .size:           8
        .value_kind:     global_buffer
      - .actual_access:  read_only
        .address_space:  global
        .offset:         40
        .size:           8
        .value_kind:     global_buffer
      - .offset:         48
        .size:           8
        .value_kind:     by_value
      - .address_space:  global
        .offset:         56
        .size:           8
        .value_kind:     global_buffer
      - .offset:         64
        .size:           4
        .value_kind:     by_value
      - .offset:         68
        .size:           1
        .value_kind:     by_value
    .group_segment_fixed_size: 0
    .kernarg_segment_align: 8
    .kernarg_segment_size: 72
    .language:       OpenCL C
    .language_version:
      - 2
      - 0
    .max_flat_workgroup_size: 128
    .name:           _ZN9rocsparseL19gebsrmvn_2xn_kernelILj128ELj16ELj8E21rocsparse_complex_numIfEEEvi20rocsparse_direction_NS_24const_host_device_scalarIT2_EEPKiS8_PKS5_SA_S6_PS5_21rocsparse_index_base_b
    .private_segment_fixed_size: 0
    .sgpr_count:     20
    .sgpr_spill_count: 0
    .symbol:         _ZN9rocsparseL19gebsrmvn_2xn_kernelILj128ELj16ELj8E21rocsparse_complex_numIfEEEvi20rocsparse_direction_NS_24const_host_device_scalarIT2_EEPKiS8_PKS5_SA_S6_PS5_21rocsparse_index_base_b.kd
    .uniform_work_group_size: 1
    .uses_dynamic_stack: false
    .vgpr_count:     47
    .vgpr_spill_count: 0
    .wavefront_size: 32
    .workgroup_processor_mode: 1
  - .args:
      - .offset:         0
        .size:           4
        .value_kind:     by_value
      - .offset:         4
        .size:           4
        .value_kind:     by_value
      - .offset:         8
        .size:           8
        .value_kind:     by_value
      - .actual_access:  read_only
        .address_space:  global
        .offset:         16
        .size:           8
        .value_kind:     global_buffer
      - .actual_access:  read_only
        .address_space:  global
        .offset:         24
        .size:           8
        .value_kind:     global_buffer
      - .actual_access:  read_only
        .address_space:  global
        .offset:         32
        .size:           8
        .value_kind:     global_buffer
      - .actual_access:  read_only
        .address_space:  global
        .offset:         40
        .size:           8
        .value_kind:     global_buffer
      - .offset:         48
        .size:           8
        .value_kind:     by_value
      - .address_space:  global
        .offset:         56
        .size:           8
        .value_kind:     global_buffer
      - .offset:         64
        .size:           4
        .value_kind:     by_value
      - .offset:         68
        .size:           1
        .value_kind:     by_value
    .group_segment_fixed_size: 0
    .kernarg_segment_align: 8
    .kernarg_segment_size: 72
    .language:       OpenCL C
    .language_version:
      - 2
      - 0
    .max_flat_workgroup_size: 128
    .name:           _ZN9rocsparseL19gebsrmvn_2xn_kernelILj128ELj16ELj16E21rocsparse_complex_numIfEEEvi20rocsparse_direction_NS_24const_host_device_scalarIT2_EEPKiS8_PKS5_SA_S6_PS5_21rocsparse_index_base_b
    .private_segment_fixed_size: 0
    .sgpr_count:     20
    .sgpr_spill_count: 0
    .symbol:         _ZN9rocsparseL19gebsrmvn_2xn_kernelILj128ELj16ELj16E21rocsparse_complex_numIfEEEvi20rocsparse_direction_NS_24const_host_device_scalarIT2_EEPKiS8_PKS5_SA_S6_PS5_21rocsparse_index_base_b.kd
    .uniform_work_group_size: 1
    .uses_dynamic_stack: false
    .vgpr_count:     47
    .vgpr_spill_count: 0
    .wavefront_size: 32
    .workgroup_processor_mode: 1
  - .args:
      - .offset:         0
        .size:           4
        .value_kind:     by_value
      - .offset:         4
        .size:           4
        .value_kind:     by_value
      - .offset:         8
        .size:           8
        .value_kind:     by_value
      - .actual_access:  read_only
        .address_space:  global
        .offset:         16
        .size:           8
        .value_kind:     global_buffer
      - .actual_access:  read_only
        .address_space:  global
        .offset:         24
        .size:           8
        .value_kind:     global_buffer
      - .actual_access:  read_only
        .address_space:  global
        .offset:         32
        .size:           8
        .value_kind:     global_buffer
      - .actual_access:  read_only
        .address_space:  global
        .offset:         40
        .size:           8
        .value_kind:     global_buffer
      - .offset:         48
        .size:           8
        .value_kind:     by_value
      - .address_space:  global
        .offset:         56
        .size:           8
        .value_kind:     global_buffer
      - .offset:         64
        .size:           4
        .value_kind:     by_value
      - .offset:         68
        .size:           1
        .value_kind:     by_value
    .group_segment_fixed_size: 0
    .kernarg_segment_align: 8
    .kernarg_segment_size: 72
    .language:       OpenCL C
    .language_version:
      - 2
      - 0
    .max_flat_workgroup_size: 128
    .name:           _ZN9rocsparseL19gebsrmvn_2xn_kernelILj128ELj16ELj32E21rocsparse_complex_numIfEEEvi20rocsparse_direction_NS_24const_host_device_scalarIT2_EEPKiS8_PKS5_SA_S6_PS5_21rocsparse_index_base_b
    .private_segment_fixed_size: 0
    .sgpr_count:     20
    .sgpr_spill_count: 0
    .symbol:         _ZN9rocsparseL19gebsrmvn_2xn_kernelILj128ELj16ELj32E21rocsparse_complex_numIfEEEvi20rocsparse_direction_NS_24const_host_device_scalarIT2_EEPKiS8_PKS5_SA_S6_PS5_21rocsparse_index_base_b.kd
    .uniform_work_group_size: 1
    .uses_dynamic_stack: false
    .vgpr_count:     47
    .vgpr_spill_count: 0
    .wavefront_size: 32
    .workgroup_processor_mode: 1
  - .args:
      - .offset:         0
        .size:           4
        .value_kind:     by_value
      - .offset:         4
        .size:           4
        .value_kind:     by_value
      - .offset:         8
        .size:           8
        .value_kind:     by_value
      - .actual_access:  read_only
        .address_space:  global
        .offset:         16
        .size:           8
        .value_kind:     global_buffer
      - .actual_access:  read_only
        .address_space:  global
        .offset:         24
        .size:           8
        .value_kind:     global_buffer
      - .actual_access:  read_only
        .address_space:  global
        .offset:         32
        .size:           8
        .value_kind:     global_buffer
      - .actual_access:  read_only
        .address_space:  global
        .offset:         40
        .size:           8
        .value_kind:     global_buffer
      - .offset:         48
        .size:           8
        .value_kind:     by_value
      - .address_space:  global
        .offset:         56
        .size:           8
        .value_kind:     global_buffer
      - .offset:         64
        .size:           4
        .value_kind:     by_value
      - .offset:         68
        .size:           1
        .value_kind:     by_value
    .group_segment_fixed_size: 0
    .kernarg_segment_align: 8
    .kernarg_segment_size: 72
    .language:       OpenCL C
    .language_version:
      - 2
      - 0
    .max_flat_workgroup_size: 128
    .name:           _ZN9rocsparseL19gebsrmvn_2xn_kernelILj128ELj16ELj64E21rocsparse_complex_numIfEEEvi20rocsparse_direction_NS_24const_host_device_scalarIT2_EEPKiS8_PKS5_SA_S6_PS5_21rocsparse_index_base_b
    .private_segment_fixed_size: 0
    .sgpr_count:     20
    .sgpr_spill_count: 0
    .symbol:         _ZN9rocsparseL19gebsrmvn_2xn_kernelILj128ELj16ELj64E21rocsparse_complex_numIfEEEvi20rocsparse_direction_NS_24const_host_device_scalarIT2_EEPKiS8_PKS5_SA_S6_PS5_21rocsparse_index_base_b.kd
    .uniform_work_group_size: 1
    .uses_dynamic_stack: false
    .vgpr_count:     47
    .vgpr_spill_count: 0
    .wavefront_size: 32
    .workgroup_processor_mode: 1
  - .args:
      - .offset:         0
        .size:           4
        .value_kind:     by_value
      - .offset:         4
        .size:           4
        .value_kind:     by_value
      - .offset:         8
        .size:           8
        .value_kind:     by_value
      - .actual_access:  read_only
        .address_space:  global
        .offset:         16
        .size:           8
        .value_kind:     global_buffer
      - .actual_access:  read_only
        .address_space:  global
        .offset:         24
        .size:           8
        .value_kind:     global_buffer
      - .actual_access:  read_only
        .address_space:  global
        .offset:         32
        .size:           8
        .value_kind:     global_buffer
      - .offset:         40
        .size:           4
        .value_kind:     by_value
      - .offset:         44
        .size:           4
        .value_kind:     by_value
      - .actual_access:  read_only
        .address_space:  global
        .offset:         48
        .size:           8
        .value_kind:     global_buffer
      - .offset:         56
        .size:           8
        .value_kind:     by_value
      - .address_space:  global
        .offset:         64
        .size:           8
        .value_kind:     global_buffer
      - .offset:         72
        .size:           4
        .value_kind:     by_value
      - .offset:         76
        .size:           1
        .value_kind:     by_value
    .group_segment_fixed_size: 0
    .kernarg_segment_align: 8
    .kernarg_segment_size: 80
    .language:       OpenCL C
    .language_version:
      - 2
      - 0
    .max_flat_workgroup_size: 32
    .name:           _ZN9rocsparseL23gebsrmvn_general_kernelILj32ELj32E21rocsparse_complex_numIfEEEvi20rocsparse_direction_NS_24const_host_device_scalarIT1_EEPKiS8_PKS5_iiSA_S6_PS5_21rocsparse_index_base_b
    .private_segment_fixed_size: 0
    .sgpr_count:     28
    .sgpr_spill_count: 0
    .symbol:         _ZN9rocsparseL23gebsrmvn_general_kernelILj32ELj32E21rocsparse_complex_numIfEEEvi20rocsparse_direction_NS_24const_host_device_scalarIT1_EEPKiS8_PKS5_iiSA_S6_PS5_21rocsparse_index_base_b.kd
    .uniform_work_group_size: 1
    .uses_dynamic_stack: false
    .vgpr_count:     20
    .vgpr_spill_count: 0
    .wavefront_size: 32
    .workgroup_processor_mode: 1
  - .args:
      - .offset:         0
        .size:           4
        .value_kind:     by_value
      - .offset:         4
        .size:           4
        .value_kind:     by_value
      - .offset:         8
        .size:           16
        .value_kind:     by_value
      - .actual_access:  read_only
        .address_space:  global
        .offset:         24
        .size:           8
        .value_kind:     global_buffer
      - .actual_access:  read_only
        .address_space:  global
        .offset:         32
        .size:           8
        .value_kind:     global_buffer
      - .actual_access:  read_only
        .address_space:  global
        .offset:         40
        .size:           8
        .value_kind:     global_buffer
      - .actual_access:  read_only
        .address_space:  global
        .offset:         48
        .size:           8
        .value_kind:     global_buffer
      - .offset:         56
        .size:           16
        .value_kind:     by_value
      - .address_space:  global
        .offset:         72
        .size:           8
        .value_kind:     global_buffer
      - .offset:         80
        .size:           4
        .value_kind:     by_value
      - .offset:         84
        .size:           1
        .value_kind:     by_value
    .group_segment_fixed_size: 2048
    .kernarg_segment_align: 8
    .kernarg_segment_size: 88
    .language:       OpenCL C
    .language_version:
      - 2
      - 0
    .max_flat_workgroup_size: 128
    .name:           _ZN9rocsparseL19gebsrmvn_2xn_kernelILj128ELj1ELj4E21rocsparse_complex_numIdEEEvi20rocsparse_direction_NS_24const_host_device_scalarIT2_EEPKiS8_PKS5_SA_S6_PS5_21rocsparse_index_base_b
    .private_segment_fixed_size: 0
    .sgpr_count:     20
    .sgpr_spill_count: 0
    .symbol:         _ZN9rocsparseL19gebsrmvn_2xn_kernelILj128ELj1ELj4E21rocsparse_complex_numIdEEEvi20rocsparse_direction_NS_24const_host_device_scalarIT2_EEPKiS8_PKS5_SA_S6_PS5_21rocsparse_index_base_b.kd
    .uniform_work_group_size: 1
    .uses_dynamic_stack: false
    .vgpr_count:     38
    .vgpr_spill_count: 0
    .wavefront_size: 32
    .workgroup_processor_mode: 1
  - .args:
      - .offset:         0
        .size:           4
        .value_kind:     by_value
      - .offset:         4
        .size:           4
        .value_kind:     by_value
      - .offset:         8
        .size:           16
        .value_kind:     by_value
      - .actual_access:  read_only
        .address_space:  global
        .offset:         24
        .size:           8
        .value_kind:     global_buffer
      - .actual_access:  read_only
        .address_space:  global
        .offset:         32
        .size:           8
        .value_kind:     global_buffer
      - .actual_access:  read_only
        .address_space:  global
        .offset:         40
        .size:           8
        .value_kind:     global_buffer
      - .actual_access:  read_only
        .address_space:  global
        .offset:         48
        .size:           8
        .value_kind:     global_buffer
      - .offset:         56
        .size:           16
        .value_kind:     by_value
      - .address_space:  global
        .offset:         72
        .size:           8
        .value_kind:     global_buffer
      - .offset:         80
        .size:           4
        .value_kind:     by_value
      - .offset:         84
        .size:           1
        .value_kind:     by_value
    .group_segment_fixed_size: 2048
    .kernarg_segment_align: 8
    .kernarg_segment_size: 88
    .language:       OpenCL C
    .language_version:
      - 2
      - 0
    .max_flat_workgroup_size: 128
    .name:           _ZN9rocsparseL19gebsrmvn_2xn_kernelILj128ELj1ELj8E21rocsparse_complex_numIdEEEvi20rocsparse_direction_NS_24const_host_device_scalarIT2_EEPKiS8_PKS5_SA_S6_PS5_21rocsparse_index_base_b
    .private_segment_fixed_size: 0
    .sgpr_count:     20
    .sgpr_spill_count: 0
    .symbol:         _ZN9rocsparseL19gebsrmvn_2xn_kernelILj128ELj1ELj8E21rocsparse_complex_numIdEEEvi20rocsparse_direction_NS_24const_host_device_scalarIT2_EEPKiS8_PKS5_SA_S6_PS5_21rocsparse_index_base_b.kd
    .uniform_work_group_size: 1
    .uses_dynamic_stack: false
    .vgpr_count:     38
    .vgpr_spill_count: 0
    .wavefront_size: 32
    .workgroup_processor_mode: 1
  - .args:
      - .offset:         0
        .size:           4
        .value_kind:     by_value
      - .offset:         4
        .size:           4
        .value_kind:     by_value
      - .offset:         8
        .size:           16
        .value_kind:     by_value
      - .actual_access:  read_only
        .address_space:  global
        .offset:         24
        .size:           8
        .value_kind:     global_buffer
      - .actual_access:  read_only
        .address_space:  global
        .offset:         32
        .size:           8
        .value_kind:     global_buffer
      - .actual_access:  read_only
        .address_space:  global
        .offset:         40
        .size:           8
        .value_kind:     global_buffer
      - .actual_access:  read_only
        .address_space:  global
        .offset:         48
        .size:           8
        .value_kind:     global_buffer
      - .offset:         56
        .size:           16
        .value_kind:     by_value
      - .address_space:  global
        .offset:         72
        .size:           8
        .value_kind:     global_buffer
      - .offset:         80
        .size:           4
        .value_kind:     by_value
      - .offset:         84
        .size:           1
        .value_kind:     by_value
    .group_segment_fixed_size: 2048
    .kernarg_segment_align: 8
    .kernarg_segment_size: 88
    .language:       OpenCL C
    .language_version:
      - 2
      - 0
    .max_flat_workgroup_size: 128
    .name:           _ZN9rocsparseL19gebsrmvn_2xn_kernelILj128ELj1ELj16E21rocsparse_complex_numIdEEEvi20rocsparse_direction_NS_24const_host_device_scalarIT2_EEPKiS8_PKS5_SA_S6_PS5_21rocsparse_index_base_b
    .private_segment_fixed_size: 0
    .sgpr_count:     20
    .sgpr_spill_count: 0
    .symbol:         _ZN9rocsparseL19gebsrmvn_2xn_kernelILj128ELj1ELj16E21rocsparse_complex_numIdEEEvi20rocsparse_direction_NS_24const_host_device_scalarIT2_EEPKiS8_PKS5_SA_S6_PS5_21rocsparse_index_base_b.kd
    .uniform_work_group_size: 1
    .uses_dynamic_stack: false
    .vgpr_count:     38
    .vgpr_spill_count: 0
    .wavefront_size: 32
    .workgroup_processor_mode: 1
  - .args:
      - .offset:         0
        .size:           4
        .value_kind:     by_value
      - .offset:         4
        .size:           4
        .value_kind:     by_value
      - .offset:         8
        .size:           16
        .value_kind:     by_value
      - .actual_access:  read_only
        .address_space:  global
        .offset:         24
        .size:           8
        .value_kind:     global_buffer
      - .actual_access:  read_only
        .address_space:  global
        .offset:         32
        .size:           8
        .value_kind:     global_buffer
      - .actual_access:  read_only
        .address_space:  global
        .offset:         40
        .size:           8
        .value_kind:     global_buffer
      - .actual_access:  read_only
        .address_space:  global
        .offset:         48
        .size:           8
        .value_kind:     global_buffer
      - .offset:         56
        .size:           16
        .value_kind:     by_value
      - .address_space:  global
        .offset:         72
        .size:           8
        .value_kind:     global_buffer
      - .offset:         80
        .size:           4
        .value_kind:     by_value
      - .offset:         84
        .size:           1
        .value_kind:     by_value
    .group_segment_fixed_size: 2048
    .kernarg_segment_align: 8
    .kernarg_segment_size: 88
    .language:       OpenCL C
    .language_version:
      - 2
      - 0
    .max_flat_workgroup_size: 128
    .name:           _ZN9rocsparseL19gebsrmvn_2xn_kernelILj128ELj1ELj32E21rocsparse_complex_numIdEEEvi20rocsparse_direction_NS_24const_host_device_scalarIT2_EEPKiS8_PKS5_SA_S6_PS5_21rocsparse_index_base_b
    .private_segment_fixed_size: 0
    .sgpr_count:     20
    .sgpr_spill_count: 0
    .symbol:         _ZN9rocsparseL19gebsrmvn_2xn_kernelILj128ELj1ELj32E21rocsparse_complex_numIdEEEvi20rocsparse_direction_NS_24const_host_device_scalarIT2_EEPKiS8_PKS5_SA_S6_PS5_21rocsparse_index_base_b.kd
    .uniform_work_group_size: 1
    .uses_dynamic_stack: false
    .vgpr_count:     38
    .vgpr_spill_count: 0
    .wavefront_size: 32
    .workgroup_processor_mode: 1
  - .args:
      - .offset:         0
        .size:           4
        .value_kind:     by_value
      - .offset:         4
        .size:           4
        .value_kind:     by_value
      - .offset:         8
        .size:           16
        .value_kind:     by_value
      - .actual_access:  read_only
        .address_space:  global
        .offset:         24
        .size:           8
        .value_kind:     global_buffer
      - .actual_access:  read_only
        .address_space:  global
        .offset:         32
        .size:           8
        .value_kind:     global_buffer
      - .actual_access:  read_only
        .address_space:  global
        .offset:         40
        .size:           8
        .value_kind:     global_buffer
      - .actual_access:  read_only
        .address_space:  global
        .offset:         48
        .size:           8
        .value_kind:     global_buffer
      - .offset:         56
        .size:           16
        .value_kind:     by_value
      - .address_space:  global
        .offset:         72
        .size:           8
        .value_kind:     global_buffer
      - .offset:         80
        .size:           4
        .value_kind:     by_value
      - .offset:         84
        .size:           1
        .value_kind:     by_value
    .group_segment_fixed_size: 2048
    .kernarg_segment_align: 8
    .kernarg_segment_size: 88
    .language:       OpenCL C
    .language_version:
      - 2
      - 0
    .max_flat_workgroup_size: 128
    .name:           _ZN9rocsparseL19gebsrmvn_2xn_kernelILj128ELj1ELj64E21rocsparse_complex_numIdEEEvi20rocsparse_direction_NS_24const_host_device_scalarIT2_EEPKiS8_PKS5_SA_S6_PS5_21rocsparse_index_base_b
    .private_segment_fixed_size: 0
    .sgpr_count:     20
    .sgpr_spill_count: 0
    .symbol:         _ZN9rocsparseL19gebsrmvn_2xn_kernelILj128ELj1ELj64E21rocsparse_complex_numIdEEEvi20rocsparse_direction_NS_24const_host_device_scalarIT2_EEPKiS8_PKS5_SA_S6_PS5_21rocsparse_index_base_b.kd
    .uniform_work_group_size: 1
    .uses_dynamic_stack: false
    .vgpr_count:     38
    .vgpr_spill_count: 0
    .wavefront_size: 32
    .workgroup_processor_mode: 1
  - .args:
      - .offset:         0
        .size:           4
        .value_kind:     by_value
      - .offset:         4
        .size:           4
        .value_kind:     by_value
      - .offset:         8
        .size:           16
        .value_kind:     by_value
      - .actual_access:  read_only
        .address_space:  global
        .offset:         24
        .size:           8
        .value_kind:     global_buffer
      - .actual_access:  read_only
        .address_space:  global
        .offset:         32
        .size:           8
        .value_kind:     global_buffer
      - .actual_access:  read_only
        .address_space:  global
        .offset:         40
        .size:           8
        .value_kind:     global_buffer
      - .actual_access:  read_only
        .address_space:  global
        .offset:         48
        .size:           8
        .value_kind:     global_buffer
      - .offset:         56
        .size:           16
        .value_kind:     by_value
      - .address_space:  global
        .offset:         72
        .size:           8
        .value_kind:     global_buffer
      - .offset:         80
        .size:           4
        .value_kind:     by_value
      - .offset:         84
        .size:           1
        .value_kind:     by_value
    .group_segment_fixed_size: 2048
    .kernarg_segment_align: 8
    .kernarg_segment_size: 88
    .language:       OpenCL C
    .language_version:
      - 2
      - 0
    .max_flat_workgroup_size: 128
    .name:           _ZN9rocsparseL19gebsrmvn_2xn_kernelILj128ELj3ELj4E21rocsparse_complex_numIdEEEvi20rocsparse_direction_NS_24const_host_device_scalarIT2_EEPKiS8_PKS5_SA_S6_PS5_21rocsparse_index_base_b
    .private_segment_fixed_size: 0
    .sgpr_count:     20
    .sgpr_spill_count: 0
    .symbol:         _ZN9rocsparseL19gebsrmvn_2xn_kernelILj128ELj3ELj4E21rocsparse_complex_numIdEEEvi20rocsparse_direction_NS_24const_host_device_scalarIT2_EEPKiS8_PKS5_SA_S6_PS5_21rocsparse_index_base_b.kd
    .uniform_work_group_size: 1
    .uses_dynamic_stack: false
    .vgpr_count:     62
    .vgpr_spill_count: 0
    .wavefront_size: 32
    .workgroup_processor_mode: 1
  - .args:
      - .offset:         0
        .size:           4
        .value_kind:     by_value
      - .offset:         4
        .size:           4
        .value_kind:     by_value
      - .offset:         8
        .size:           16
        .value_kind:     by_value
      - .actual_access:  read_only
        .address_space:  global
        .offset:         24
        .size:           8
        .value_kind:     global_buffer
      - .actual_access:  read_only
        .address_space:  global
        .offset:         32
        .size:           8
        .value_kind:     global_buffer
      - .actual_access:  read_only
        .address_space:  global
        .offset:         40
        .size:           8
        .value_kind:     global_buffer
      - .actual_access:  read_only
        .address_space:  global
        .offset:         48
        .size:           8
        .value_kind:     global_buffer
      - .offset:         56
        .size:           16
        .value_kind:     by_value
      - .address_space:  global
        .offset:         72
        .size:           8
        .value_kind:     global_buffer
      - .offset:         80
        .size:           4
        .value_kind:     by_value
      - .offset:         84
        .size:           1
        .value_kind:     by_value
    .group_segment_fixed_size: 2048
    .kernarg_segment_align: 8
    .kernarg_segment_size: 88
    .language:       OpenCL C
    .language_version:
      - 2
      - 0
    .max_flat_workgroup_size: 128
    .name:           _ZN9rocsparseL19gebsrmvn_2xn_kernelILj128ELj3ELj8E21rocsparse_complex_numIdEEEvi20rocsparse_direction_NS_24const_host_device_scalarIT2_EEPKiS8_PKS5_SA_S6_PS5_21rocsparse_index_base_b
    .private_segment_fixed_size: 0
    .sgpr_count:     20
    .sgpr_spill_count: 0
    .symbol:         _ZN9rocsparseL19gebsrmvn_2xn_kernelILj128ELj3ELj8E21rocsparse_complex_numIdEEEvi20rocsparse_direction_NS_24const_host_device_scalarIT2_EEPKiS8_PKS5_SA_S6_PS5_21rocsparse_index_base_b.kd
    .uniform_work_group_size: 1
    .uses_dynamic_stack: false
    .vgpr_count:     62
    .vgpr_spill_count: 0
    .wavefront_size: 32
    .workgroup_processor_mode: 1
  - .args:
      - .offset:         0
        .size:           4
        .value_kind:     by_value
      - .offset:         4
        .size:           4
        .value_kind:     by_value
      - .offset:         8
        .size:           16
        .value_kind:     by_value
      - .actual_access:  read_only
        .address_space:  global
        .offset:         24
        .size:           8
        .value_kind:     global_buffer
      - .actual_access:  read_only
        .address_space:  global
        .offset:         32
        .size:           8
        .value_kind:     global_buffer
      - .actual_access:  read_only
        .address_space:  global
        .offset:         40
        .size:           8
        .value_kind:     global_buffer
      - .actual_access:  read_only
        .address_space:  global
        .offset:         48
        .size:           8
        .value_kind:     global_buffer
      - .offset:         56
        .size:           16
        .value_kind:     by_value
      - .address_space:  global
        .offset:         72
        .size:           8
        .value_kind:     global_buffer
      - .offset:         80
        .size:           4
        .value_kind:     by_value
      - .offset:         84
        .size:           1
        .value_kind:     by_value
    .group_segment_fixed_size: 2048
    .kernarg_segment_align: 8
    .kernarg_segment_size: 88
    .language:       OpenCL C
    .language_version:
      - 2
      - 0
    .max_flat_workgroup_size: 128
    .name:           _ZN9rocsparseL19gebsrmvn_2xn_kernelILj128ELj3ELj16E21rocsparse_complex_numIdEEEvi20rocsparse_direction_NS_24const_host_device_scalarIT2_EEPKiS8_PKS5_SA_S6_PS5_21rocsparse_index_base_b
    .private_segment_fixed_size: 0
    .sgpr_count:     20
    .sgpr_spill_count: 0
    .symbol:         _ZN9rocsparseL19gebsrmvn_2xn_kernelILj128ELj3ELj16E21rocsparse_complex_numIdEEEvi20rocsparse_direction_NS_24const_host_device_scalarIT2_EEPKiS8_PKS5_SA_S6_PS5_21rocsparse_index_base_b.kd
    .uniform_work_group_size: 1
    .uses_dynamic_stack: false
    .vgpr_count:     62
    .vgpr_spill_count: 0
    .wavefront_size: 32
    .workgroup_processor_mode: 1
  - .args:
      - .offset:         0
        .size:           4
        .value_kind:     by_value
      - .offset:         4
        .size:           4
        .value_kind:     by_value
      - .offset:         8
        .size:           16
        .value_kind:     by_value
      - .actual_access:  read_only
        .address_space:  global
        .offset:         24
        .size:           8
        .value_kind:     global_buffer
      - .actual_access:  read_only
        .address_space:  global
        .offset:         32
        .size:           8
        .value_kind:     global_buffer
      - .actual_access:  read_only
        .address_space:  global
        .offset:         40
        .size:           8
        .value_kind:     global_buffer
      - .actual_access:  read_only
        .address_space:  global
        .offset:         48
        .size:           8
        .value_kind:     global_buffer
      - .offset:         56
        .size:           16
        .value_kind:     by_value
      - .address_space:  global
        .offset:         72
        .size:           8
        .value_kind:     global_buffer
      - .offset:         80
        .size:           4
        .value_kind:     by_value
      - .offset:         84
        .size:           1
        .value_kind:     by_value
    .group_segment_fixed_size: 2048
    .kernarg_segment_align: 8
    .kernarg_segment_size: 88
    .language:       OpenCL C
    .language_version:
      - 2
      - 0
    .max_flat_workgroup_size: 128
    .name:           _ZN9rocsparseL19gebsrmvn_2xn_kernelILj128ELj3ELj32E21rocsparse_complex_numIdEEEvi20rocsparse_direction_NS_24const_host_device_scalarIT2_EEPKiS8_PKS5_SA_S6_PS5_21rocsparse_index_base_b
    .private_segment_fixed_size: 0
    .sgpr_count:     20
    .sgpr_spill_count: 0
    .symbol:         _ZN9rocsparseL19gebsrmvn_2xn_kernelILj128ELj3ELj32E21rocsparse_complex_numIdEEEvi20rocsparse_direction_NS_24const_host_device_scalarIT2_EEPKiS8_PKS5_SA_S6_PS5_21rocsparse_index_base_b.kd
    .uniform_work_group_size: 1
    .uses_dynamic_stack: false
    .vgpr_count:     62
    .vgpr_spill_count: 0
    .wavefront_size: 32
    .workgroup_processor_mode: 1
  - .args:
      - .offset:         0
        .size:           4
        .value_kind:     by_value
      - .offset:         4
        .size:           4
        .value_kind:     by_value
      - .offset:         8
        .size:           16
        .value_kind:     by_value
      - .actual_access:  read_only
        .address_space:  global
        .offset:         24
        .size:           8
        .value_kind:     global_buffer
      - .actual_access:  read_only
        .address_space:  global
        .offset:         32
        .size:           8
        .value_kind:     global_buffer
      - .actual_access:  read_only
        .address_space:  global
        .offset:         40
        .size:           8
        .value_kind:     global_buffer
      - .actual_access:  read_only
        .address_space:  global
        .offset:         48
        .size:           8
        .value_kind:     global_buffer
      - .offset:         56
        .size:           16
        .value_kind:     by_value
      - .address_space:  global
        .offset:         72
        .size:           8
        .value_kind:     global_buffer
      - .offset:         80
        .size:           4
        .value_kind:     by_value
      - .offset:         84
        .size:           1
        .value_kind:     by_value
    .group_segment_fixed_size: 2048
    .kernarg_segment_align: 8
    .kernarg_segment_size: 88
    .language:       OpenCL C
    .language_version:
      - 2
      - 0
    .max_flat_workgroup_size: 128
    .name:           _ZN9rocsparseL19gebsrmvn_2xn_kernelILj128ELj3ELj64E21rocsparse_complex_numIdEEEvi20rocsparse_direction_NS_24const_host_device_scalarIT2_EEPKiS8_PKS5_SA_S6_PS5_21rocsparse_index_base_b
    .private_segment_fixed_size: 0
    .sgpr_count:     20
    .sgpr_spill_count: 0
    .symbol:         _ZN9rocsparseL19gebsrmvn_2xn_kernelILj128ELj3ELj64E21rocsparse_complex_numIdEEEvi20rocsparse_direction_NS_24const_host_device_scalarIT2_EEPKiS8_PKS5_SA_S6_PS5_21rocsparse_index_base_b.kd
    .uniform_work_group_size: 1
    .uses_dynamic_stack: false
    .vgpr_count:     62
    .vgpr_spill_count: 0
    .wavefront_size: 32
    .workgroup_processor_mode: 1
  - .args:
      - .offset:         0
        .size:           4
        .value_kind:     by_value
      - .offset:         4
        .size:           4
        .value_kind:     by_value
      - .offset:         8
        .size:           16
        .value_kind:     by_value
      - .actual_access:  read_only
        .address_space:  global
        .offset:         24
        .size:           8
        .value_kind:     global_buffer
      - .actual_access:  read_only
        .address_space:  global
        .offset:         32
        .size:           8
        .value_kind:     global_buffer
      - .actual_access:  read_only
        .address_space:  global
        .offset:         40
        .size:           8
        .value_kind:     global_buffer
      - .actual_access:  read_only
        .address_space:  global
        .offset:         48
        .size:           8
        .value_kind:     global_buffer
      - .offset:         56
        .size:           16
        .value_kind:     by_value
      - .address_space:  global
        .offset:         72
        .size:           8
        .value_kind:     global_buffer
      - .offset:         80
        .size:           4
        .value_kind:     by_value
      - .offset:         84
        .size:           1
        .value_kind:     by_value
    .group_segment_fixed_size: 2048
    .kernarg_segment_align: 8
    .kernarg_segment_size: 88
    .language:       OpenCL C
    .language_version:
      - 2
      - 0
    .max_flat_workgroup_size: 128
    .name:           _ZN9rocsparseL19gebsrmvn_2xn_kernelILj128ELj4ELj4E21rocsparse_complex_numIdEEEvi20rocsparse_direction_NS_24const_host_device_scalarIT2_EEPKiS8_PKS5_SA_S6_PS5_21rocsparse_index_base_b
    .private_segment_fixed_size: 0
    .sgpr_count:     20
    .sgpr_spill_count: 0
    .symbol:         _ZN9rocsparseL19gebsrmvn_2xn_kernelILj128ELj4ELj4E21rocsparse_complex_numIdEEEvi20rocsparse_direction_NS_24const_host_device_scalarIT2_EEPKiS8_PKS5_SA_S6_PS5_21rocsparse_index_base_b.kd
    .uniform_work_group_size: 1
    .uses_dynamic_stack: false
    .vgpr_count:     74
    .vgpr_spill_count: 0
    .wavefront_size: 32
    .workgroup_processor_mode: 1
  - .args:
      - .offset:         0
        .size:           4
        .value_kind:     by_value
      - .offset:         4
        .size:           4
        .value_kind:     by_value
      - .offset:         8
        .size:           16
        .value_kind:     by_value
      - .actual_access:  read_only
        .address_space:  global
        .offset:         24
        .size:           8
        .value_kind:     global_buffer
      - .actual_access:  read_only
        .address_space:  global
        .offset:         32
        .size:           8
        .value_kind:     global_buffer
      - .actual_access:  read_only
        .address_space:  global
        .offset:         40
        .size:           8
        .value_kind:     global_buffer
      - .actual_access:  read_only
        .address_space:  global
        .offset:         48
        .size:           8
        .value_kind:     global_buffer
      - .offset:         56
        .size:           16
        .value_kind:     by_value
      - .address_space:  global
        .offset:         72
        .size:           8
        .value_kind:     global_buffer
      - .offset:         80
        .size:           4
        .value_kind:     by_value
      - .offset:         84
        .size:           1
        .value_kind:     by_value
    .group_segment_fixed_size: 2048
    .kernarg_segment_align: 8
    .kernarg_segment_size: 88
    .language:       OpenCL C
    .language_version:
      - 2
      - 0
    .max_flat_workgroup_size: 128
    .name:           _ZN9rocsparseL19gebsrmvn_2xn_kernelILj128ELj4ELj8E21rocsparse_complex_numIdEEEvi20rocsparse_direction_NS_24const_host_device_scalarIT2_EEPKiS8_PKS5_SA_S6_PS5_21rocsparse_index_base_b
    .private_segment_fixed_size: 0
    .sgpr_count:     20
    .sgpr_spill_count: 0
    .symbol:         _ZN9rocsparseL19gebsrmvn_2xn_kernelILj128ELj4ELj8E21rocsparse_complex_numIdEEEvi20rocsparse_direction_NS_24const_host_device_scalarIT2_EEPKiS8_PKS5_SA_S6_PS5_21rocsparse_index_base_b.kd
    .uniform_work_group_size: 1
    .uses_dynamic_stack: false
    .vgpr_count:     74
    .vgpr_spill_count: 0
    .wavefront_size: 32
    .workgroup_processor_mode: 1
  - .args:
      - .offset:         0
        .size:           4
        .value_kind:     by_value
      - .offset:         4
        .size:           4
        .value_kind:     by_value
      - .offset:         8
        .size:           16
        .value_kind:     by_value
      - .actual_access:  read_only
        .address_space:  global
        .offset:         24
        .size:           8
        .value_kind:     global_buffer
      - .actual_access:  read_only
        .address_space:  global
        .offset:         32
        .size:           8
        .value_kind:     global_buffer
      - .actual_access:  read_only
        .address_space:  global
        .offset:         40
        .size:           8
        .value_kind:     global_buffer
      - .actual_access:  read_only
        .address_space:  global
        .offset:         48
        .size:           8
        .value_kind:     global_buffer
      - .offset:         56
        .size:           16
        .value_kind:     by_value
      - .address_space:  global
        .offset:         72
        .size:           8
        .value_kind:     global_buffer
      - .offset:         80
        .size:           4
        .value_kind:     by_value
      - .offset:         84
        .size:           1
        .value_kind:     by_value
    .group_segment_fixed_size: 2048
    .kernarg_segment_align: 8
    .kernarg_segment_size: 88
    .language:       OpenCL C
    .language_version:
      - 2
      - 0
    .max_flat_workgroup_size: 128
    .name:           _ZN9rocsparseL19gebsrmvn_2xn_kernelILj128ELj4ELj16E21rocsparse_complex_numIdEEEvi20rocsparse_direction_NS_24const_host_device_scalarIT2_EEPKiS8_PKS5_SA_S6_PS5_21rocsparse_index_base_b
    .private_segment_fixed_size: 0
    .sgpr_count:     20
    .sgpr_spill_count: 0
    .symbol:         _ZN9rocsparseL19gebsrmvn_2xn_kernelILj128ELj4ELj16E21rocsparse_complex_numIdEEEvi20rocsparse_direction_NS_24const_host_device_scalarIT2_EEPKiS8_PKS5_SA_S6_PS5_21rocsparse_index_base_b.kd
    .uniform_work_group_size: 1
    .uses_dynamic_stack: false
    .vgpr_count:     74
    .vgpr_spill_count: 0
    .wavefront_size: 32
    .workgroup_processor_mode: 1
  - .args:
      - .offset:         0
        .size:           4
        .value_kind:     by_value
      - .offset:         4
        .size:           4
        .value_kind:     by_value
      - .offset:         8
        .size:           16
        .value_kind:     by_value
      - .actual_access:  read_only
        .address_space:  global
        .offset:         24
        .size:           8
        .value_kind:     global_buffer
      - .actual_access:  read_only
        .address_space:  global
        .offset:         32
        .size:           8
        .value_kind:     global_buffer
      - .actual_access:  read_only
        .address_space:  global
        .offset:         40
        .size:           8
        .value_kind:     global_buffer
      - .actual_access:  read_only
        .address_space:  global
        .offset:         48
        .size:           8
        .value_kind:     global_buffer
      - .offset:         56
        .size:           16
        .value_kind:     by_value
      - .address_space:  global
        .offset:         72
        .size:           8
        .value_kind:     global_buffer
      - .offset:         80
        .size:           4
        .value_kind:     by_value
      - .offset:         84
        .size:           1
        .value_kind:     by_value
    .group_segment_fixed_size: 2048
    .kernarg_segment_align: 8
    .kernarg_segment_size: 88
    .language:       OpenCL C
    .language_version:
      - 2
      - 0
    .max_flat_workgroup_size: 128
    .name:           _ZN9rocsparseL19gebsrmvn_2xn_kernelILj128ELj4ELj32E21rocsparse_complex_numIdEEEvi20rocsparse_direction_NS_24const_host_device_scalarIT2_EEPKiS8_PKS5_SA_S6_PS5_21rocsparse_index_base_b
    .private_segment_fixed_size: 0
    .sgpr_count:     20
    .sgpr_spill_count: 0
    .symbol:         _ZN9rocsparseL19gebsrmvn_2xn_kernelILj128ELj4ELj32E21rocsparse_complex_numIdEEEvi20rocsparse_direction_NS_24const_host_device_scalarIT2_EEPKiS8_PKS5_SA_S6_PS5_21rocsparse_index_base_b.kd
    .uniform_work_group_size: 1
    .uses_dynamic_stack: false
    .vgpr_count:     74
    .vgpr_spill_count: 0
    .wavefront_size: 32
    .workgroup_processor_mode: 1
  - .args:
      - .offset:         0
        .size:           4
        .value_kind:     by_value
      - .offset:         4
        .size:           4
        .value_kind:     by_value
      - .offset:         8
        .size:           16
        .value_kind:     by_value
      - .actual_access:  read_only
        .address_space:  global
        .offset:         24
        .size:           8
        .value_kind:     global_buffer
      - .actual_access:  read_only
        .address_space:  global
        .offset:         32
        .size:           8
        .value_kind:     global_buffer
      - .actual_access:  read_only
        .address_space:  global
        .offset:         40
        .size:           8
        .value_kind:     global_buffer
      - .actual_access:  read_only
        .address_space:  global
        .offset:         48
        .size:           8
        .value_kind:     global_buffer
      - .offset:         56
        .size:           16
        .value_kind:     by_value
      - .address_space:  global
        .offset:         72
        .size:           8
        .value_kind:     global_buffer
      - .offset:         80
        .size:           4
        .value_kind:     by_value
      - .offset:         84
        .size:           1
        .value_kind:     by_value
    .group_segment_fixed_size: 2048
    .kernarg_segment_align: 8
    .kernarg_segment_size: 88
    .language:       OpenCL C
    .language_version:
      - 2
      - 0
    .max_flat_workgroup_size: 128
    .name:           _ZN9rocsparseL19gebsrmvn_2xn_kernelILj128ELj4ELj64E21rocsparse_complex_numIdEEEvi20rocsparse_direction_NS_24const_host_device_scalarIT2_EEPKiS8_PKS5_SA_S6_PS5_21rocsparse_index_base_b
    .private_segment_fixed_size: 0
    .sgpr_count:     20
    .sgpr_spill_count: 0
    .symbol:         _ZN9rocsparseL19gebsrmvn_2xn_kernelILj128ELj4ELj64E21rocsparse_complex_numIdEEEvi20rocsparse_direction_NS_24const_host_device_scalarIT2_EEPKiS8_PKS5_SA_S6_PS5_21rocsparse_index_base_b.kd
    .uniform_work_group_size: 1
    .uses_dynamic_stack: false
    .vgpr_count:     74
    .vgpr_spill_count: 0
    .wavefront_size: 32
    .workgroup_processor_mode: 1
  - .args:
      - .offset:         0
        .size:           4
        .value_kind:     by_value
      - .offset:         4
        .size:           4
        .value_kind:     by_value
      - .offset:         8
        .size:           16
        .value_kind:     by_value
      - .actual_access:  read_only
        .address_space:  global
        .offset:         24
        .size:           8
        .value_kind:     global_buffer
      - .actual_access:  read_only
        .address_space:  global
        .offset:         32
        .size:           8
        .value_kind:     global_buffer
      - .actual_access:  read_only
        .address_space:  global
        .offset:         40
        .size:           8
        .value_kind:     global_buffer
      - .actual_access:  read_only
        .address_space:  global
        .offset:         48
        .size:           8
        .value_kind:     global_buffer
      - .offset:         56
        .size:           16
        .value_kind:     by_value
      - .address_space:  global
        .offset:         72
        .size:           8
        .value_kind:     global_buffer
      - .offset:         80
        .size:           4
        .value_kind:     by_value
      - .offset:         84
        .size:           1
        .value_kind:     by_value
    .group_segment_fixed_size: 2048
    .kernarg_segment_align: 8
    .kernarg_segment_size: 88
    .language:       OpenCL C
    .language_version:
      - 2
      - 0
    .max_flat_workgroup_size: 128
    .name:           _ZN9rocsparseL19gebsrmvn_2xn_kernelILj128ELj5ELj4E21rocsparse_complex_numIdEEEvi20rocsparse_direction_NS_24const_host_device_scalarIT2_EEPKiS8_PKS5_SA_S6_PS5_21rocsparse_index_base_b
    .private_segment_fixed_size: 0
    .sgpr_count:     20
    .sgpr_spill_count: 0
    .symbol:         _ZN9rocsparseL19gebsrmvn_2xn_kernelILj128ELj5ELj4E21rocsparse_complex_numIdEEEvi20rocsparse_direction_NS_24const_host_device_scalarIT2_EEPKiS8_PKS5_SA_S6_PS5_21rocsparse_index_base_b.kd
    .uniform_work_group_size: 1
    .uses_dynamic_stack: false
    .vgpr_count:     86
    .vgpr_spill_count: 0
    .wavefront_size: 32
    .workgroup_processor_mode: 1
  - .args:
      - .offset:         0
        .size:           4
        .value_kind:     by_value
      - .offset:         4
        .size:           4
        .value_kind:     by_value
      - .offset:         8
        .size:           16
        .value_kind:     by_value
      - .actual_access:  read_only
        .address_space:  global
        .offset:         24
        .size:           8
        .value_kind:     global_buffer
      - .actual_access:  read_only
        .address_space:  global
        .offset:         32
        .size:           8
        .value_kind:     global_buffer
      - .actual_access:  read_only
        .address_space:  global
        .offset:         40
        .size:           8
        .value_kind:     global_buffer
      - .actual_access:  read_only
        .address_space:  global
        .offset:         48
        .size:           8
        .value_kind:     global_buffer
      - .offset:         56
        .size:           16
        .value_kind:     by_value
      - .address_space:  global
        .offset:         72
        .size:           8
        .value_kind:     global_buffer
      - .offset:         80
        .size:           4
        .value_kind:     by_value
      - .offset:         84
        .size:           1
        .value_kind:     by_value
    .group_segment_fixed_size: 2048
    .kernarg_segment_align: 8
    .kernarg_segment_size: 88
    .language:       OpenCL C
    .language_version:
      - 2
      - 0
    .max_flat_workgroup_size: 128
    .name:           _ZN9rocsparseL19gebsrmvn_2xn_kernelILj128ELj5ELj8E21rocsparse_complex_numIdEEEvi20rocsparse_direction_NS_24const_host_device_scalarIT2_EEPKiS8_PKS5_SA_S6_PS5_21rocsparse_index_base_b
    .private_segment_fixed_size: 0
    .sgpr_count:     20
    .sgpr_spill_count: 0
    .symbol:         _ZN9rocsparseL19gebsrmvn_2xn_kernelILj128ELj5ELj8E21rocsparse_complex_numIdEEEvi20rocsparse_direction_NS_24const_host_device_scalarIT2_EEPKiS8_PKS5_SA_S6_PS5_21rocsparse_index_base_b.kd
    .uniform_work_group_size: 1
    .uses_dynamic_stack: false
    .vgpr_count:     86
    .vgpr_spill_count: 0
    .wavefront_size: 32
    .workgroup_processor_mode: 1
  - .args:
      - .offset:         0
        .size:           4
        .value_kind:     by_value
      - .offset:         4
        .size:           4
        .value_kind:     by_value
      - .offset:         8
        .size:           16
        .value_kind:     by_value
      - .actual_access:  read_only
        .address_space:  global
        .offset:         24
        .size:           8
        .value_kind:     global_buffer
      - .actual_access:  read_only
        .address_space:  global
        .offset:         32
        .size:           8
        .value_kind:     global_buffer
      - .actual_access:  read_only
        .address_space:  global
        .offset:         40
        .size:           8
        .value_kind:     global_buffer
      - .actual_access:  read_only
        .address_space:  global
        .offset:         48
        .size:           8
        .value_kind:     global_buffer
      - .offset:         56
        .size:           16
        .value_kind:     by_value
      - .address_space:  global
        .offset:         72
        .size:           8
        .value_kind:     global_buffer
      - .offset:         80
        .size:           4
        .value_kind:     by_value
      - .offset:         84
        .size:           1
        .value_kind:     by_value
    .group_segment_fixed_size: 2048
    .kernarg_segment_align: 8
    .kernarg_segment_size: 88
    .language:       OpenCL C
    .language_version:
      - 2
      - 0
    .max_flat_workgroup_size: 128
    .name:           _ZN9rocsparseL19gebsrmvn_2xn_kernelILj128ELj5ELj16E21rocsparse_complex_numIdEEEvi20rocsparse_direction_NS_24const_host_device_scalarIT2_EEPKiS8_PKS5_SA_S6_PS5_21rocsparse_index_base_b
    .private_segment_fixed_size: 0
    .sgpr_count:     20
    .sgpr_spill_count: 0
    .symbol:         _ZN9rocsparseL19gebsrmvn_2xn_kernelILj128ELj5ELj16E21rocsparse_complex_numIdEEEvi20rocsparse_direction_NS_24const_host_device_scalarIT2_EEPKiS8_PKS5_SA_S6_PS5_21rocsparse_index_base_b.kd
    .uniform_work_group_size: 1
    .uses_dynamic_stack: false
    .vgpr_count:     86
    .vgpr_spill_count: 0
    .wavefront_size: 32
    .workgroup_processor_mode: 1
  - .args:
      - .offset:         0
        .size:           4
        .value_kind:     by_value
      - .offset:         4
        .size:           4
        .value_kind:     by_value
      - .offset:         8
        .size:           16
        .value_kind:     by_value
      - .actual_access:  read_only
        .address_space:  global
        .offset:         24
        .size:           8
        .value_kind:     global_buffer
      - .actual_access:  read_only
        .address_space:  global
        .offset:         32
        .size:           8
        .value_kind:     global_buffer
      - .actual_access:  read_only
        .address_space:  global
        .offset:         40
        .size:           8
        .value_kind:     global_buffer
      - .actual_access:  read_only
        .address_space:  global
        .offset:         48
        .size:           8
        .value_kind:     global_buffer
      - .offset:         56
        .size:           16
        .value_kind:     by_value
      - .address_space:  global
        .offset:         72
        .size:           8
        .value_kind:     global_buffer
      - .offset:         80
        .size:           4
        .value_kind:     by_value
      - .offset:         84
        .size:           1
        .value_kind:     by_value
    .group_segment_fixed_size: 2048
    .kernarg_segment_align: 8
    .kernarg_segment_size: 88
    .language:       OpenCL C
    .language_version:
      - 2
      - 0
    .max_flat_workgroup_size: 128
    .name:           _ZN9rocsparseL19gebsrmvn_2xn_kernelILj128ELj5ELj32E21rocsparse_complex_numIdEEEvi20rocsparse_direction_NS_24const_host_device_scalarIT2_EEPKiS8_PKS5_SA_S6_PS5_21rocsparse_index_base_b
    .private_segment_fixed_size: 0
    .sgpr_count:     20
    .sgpr_spill_count: 0
    .symbol:         _ZN9rocsparseL19gebsrmvn_2xn_kernelILj128ELj5ELj32E21rocsparse_complex_numIdEEEvi20rocsparse_direction_NS_24const_host_device_scalarIT2_EEPKiS8_PKS5_SA_S6_PS5_21rocsparse_index_base_b.kd
    .uniform_work_group_size: 1
    .uses_dynamic_stack: false
    .vgpr_count:     86
    .vgpr_spill_count: 0
    .wavefront_size: 32
    .workgroup_processor_mode: 1
  - .args:
      - .offset:         0
        .size:           4
        .value_kind:     by_value
      - .offset:         4
        .size:           4
        .value_kind:     by_value
      - .offset:         8
        .size:           16
        .value_kind:     by_value
      - .actual_access:  read_only
        .address_space:  global
        .offset:         24
        .size:           8
        .value_kind:     global_buffer
      - .actual_access:  read_only
        .address_space:  global
        .offset:         32
        .size:           8
        .value_kind:     global_buffer
      - .actual_access:  read_only
        .address_space:  global
        .offset:         40
        .size:           8
        .value_kind:     global_buffer
      - .actual_access:  read_only
        .address_space:  global
        .offset:         48
        .size:           8
        .value_kind:     global_buffer
      - .offset:         56
        .size:           16
        .value_kind:     by_value
      - .address_space:  global
        .offset:         72
        .size:           8
        .value_kind:     global_buffer
      - .offset:         80
        .size:           4
        .value_kind:     by_value
      - .offset:         84
        .size:           1
        .value_kind:     by_value
    .group_segment_fixed_size: 2048
    .kernarg_segment_align: 8
    .kernarg_segment_size: 88
    .language:       OpenCL C
    .language_version:
      - 2
      - 0
    .max_flat_workgroup_size: 128
    .name:           _ZN9rocsparseL19gebsrmvn_2xn_kernelILj128ELj5ELj64E21rocsparse_complex_numIdEEEvi20rocsparse_direction_NS_24const_host_device_scalarIT2_EEPKiS8_PKS5_SA_S6_PS5_21rocsparse_index_base_b
    .private_segment_fixed_size: 0
    .sgpr_count:     20
    .sgpr_spill_count: 0
    .symbol:         _ZN9rocsparseL19gebsrmvn_2xn_kernelILj128ELj5ELj64E21rocsparse_complex_numIdEEEvi20rocsparse_direction_NS_24const_host_device_scalarIT2_EEPKiS8_PKS5_SA_S6_PS5_21rocsparse_index_base_b.kd
    .uniform_work_group_size: 1
    .uses_dynamic_stack: false
    .vgpr_count:     86
    .vgpr_spill_count: 0
    .wavefront_size: 32
    .workgroup_processor_mode: 1
  - .args:
      - .offset:         0
        .size:           4
        .value_kind:     by_value
      - .offset:         4
        .size:           4
        .value_kind:     by_value
      - .offset:         8
        .size:           16
        .value_kind:     by_value
      - .actual_access:  read_only
        .address_space:  global
        .offset:         24
        .size:           8
        .value_kind:     global_buffer
      - .actual_access:  read_only
        .address_space:  global
        .offset:         32
        .size:           8
        .value_kind:     global_buffer
      - .actual_access:  read_only
        .address_space:  global
        .offset:         40
        .size:           8
        .value_kind:     global_buffer
      - .actual_access:  read_only
        .address_space:  global
        .offset:         48
        .size:           8
        .value_kind:     global_buffer
      - .offset:         56
        .size:           16
        .value_kind:     by_value
      - .address_space:  global
        .offset:         72
        .size:           8
        .value_kind:     global_buffer
      - .offset:         80
        .size:           4
        .value_kind:     by_value
      - .offset:         84
        .size:           1
        .value_kind:     by_value
    .group_segment_fixed_size: 2048
    .kernarg_segment_align: 8
    .kernarg_segment_size: 88
    .language:       OpenCL C
    .language_version:
      - 2
      - 0
    .max_flat_workgroup_size: 128
    .name:           _ZN9rocsparseL19gebsrmvn_2xn_kernelILj128ELj6ELj4E21rocsparse_complex_numIdEEEvi20rocsparse_direction_NS_24const_host_device_scalarIT2_EEPKiS8_PKS5_SA_S6_PS5_21rocsparse_index_base_b
    .private_segment_fixed_size: 0
    .sgpr_count:     20
    .sgpr_spill_count: 0
    .symbol:         _ZN9rocsparseL19gebsrmvn_2xn_kernelILj128ELj6ELj4E21rocsparse_complex_numIdEEEvi20rocsparse_direction_NS_24const_host_device_scalarIT2_EEPKiS8_PKS5_SA_S6_PS5_21rocsparse_index_base_b.kd
    .uniform_work_group_size: 1
    .uses_dynamic_stack: false
    .vgpr_count:     92
    .vgpr_spill_count: 0
    .wavefront_size: 32
    .workgroup_processor_mode: 1
  - .args:
      - .offset:         0
        .size:           4
        .value_kind:     by_value
      - .offset:         4
        .size:           4
        .value_kind:     by_value
      - .offset:         8
        .size:           16
        .value_kind:     by_value
      - .actual_access:  read_only
        .address_space:  global
        .offset:         24
        .size:           8
        .value_kind:     global_buffer
      - .actual_access:  read_only
        .address_space:  global
        .offset:         32
        .size:           8
        .value_kind:     global_buffer
      - .actual_access:  read_only
        .address_space:  global
        .offset:         40
        .size:           8
        .value_kind:     global_buffer
      - .actual_access:  read_only
        .address_space:  global
        .offset:         48
        .size:           8
        .value_kind:     global_buffer
      - .offset:         56
        .size:           16
        .value_kind:     by_value
      - .address_space:  global
        .offset:         72
        .size:           8
        .value_kind:     global_buffer
      - .offset:         80
        .size:           4
        .value_kind:     by_value
      - .offset:         84
        .size:           1
        .value_kind:     by_value
    .group_segment_fixed_size: 2048
    .kernarg_segment_align: 8
    .kernarg_segment_size: 88
    .language:       OpenCL C
    .language_version:
      - 2
      - 0
    .max_flat_workgroup_size: 128
    .name:           _ZN9rocsparseL19gebsrmvn_2xn_kernelILj128ELj6ELj8E21rocsparse_complex_numIdEEEvi20rocsparse_direction_NS_24const_host_device_scalarIT2_EEPKiS8_PKS5_SA_S6_PS5_21rocsparse_index_base_b
    .private_segment_fixed_size: 0
    .sgpr_count:     20
    .sgpr_spill_count: 0
    .symbol:         _ZN9rocsparseL19gebsrmvn_2xn_kernelILj128ELj6ELj8E21rocsparse_complex_numIdEEEvi20rocsparse_direction_NS_24const_host_device_scalarIT2_EEPKiS8_PKS5_SA_S6_PS5_21rocsparse_index_base_b.kd
    .uniform_work_group_size: 1
    .uses_dynamic_stack: false
    .vgpr_count:     92
    .vgpr_spill_count: 0
    .wavefront_size: 32
    .workgroup_processor_mode: 1
  - .args:
      - .offset:         0
        .size:           4
        .value_kind:     by_value
      - .offset:         4
        .size:           4
        .value_kind:     by_value
      - .offset:         8
        .size:           16
        .value_kind:     by_value
      - .actual_access:  read_only
        .address_space:  global
        .offset:         24
        .size:           8
        .value_kind:     global_buffer
      - .actual_access:  read_only
        .address_space:  global
        .offset:         32
        .size:           8
        .value_kind:     global_buffer
      - .actual_access:  read_only
        .address_space:  global
        .offset:         40
        .size:           8
        .value_kind:     global_buffer
      - .actual_access:  read_only
        .address_space:  global
        .offset:         48
        .size:           8
        .value_kind:     global_buffer
      - .offset:         56
        .size:           16
        .value_kind:     by_value
      - .address_space:  global
        .offset:         72
        .size:           8
        .value_kind:     global_buffer
      - .offset:         80
        .size:           4
        .value_kind:     by_value
      - .offset:         84
        .size:           1
        .value_kind:     by_value
    .group_segment_fixed_size: 2048
    .kernarg_segment_align: 8
    .kernarg_segment_size: 88
    .language:       OpenCL C
    .language_version:
      - 2
      - 0
    .max_flat_workgroup_size: 128
    .name:           _ZN9rocsparseL19gebsrmvn_2xn_kernelILj128ELj6ELj16E21rocsparse_complex_numIdEEEvi20rocsparse_direction_NS_24const_host_device_scalarIT2_EEPKiS8_PKS5_SA_S6_PS5_21rocsparse_index_base_b
    .private_segment_fixed_size: 0
    .sgpr_count:     20
    .sgpr_spill_count: 0
    .symbol:         _ZN9rocsparseL19gebsrmvn_2xn_kernelILj128ELj6ELj16E21rocsparse_complex_numIdEEEvi20rocsparse_direction_NS_24const_host_device_scalarIT2_EEPKiS8_PKS5_SA_S6_PS5_21rocsparse_index_base_b.kd
    .uniform_work_group_size: 1
    .uses_dynamic_stack: false
    .vgpr_count:     92
    .vgpr_spill_count: 0
    .wavefront_size: 32
    .workgroup_processor_mode: 1
  - .args:
      - .offset:         0
        .size:           4
        .value_kind:     by_value
      - .offset:         4
        .size:           4
        .value_kind:     by_value
      - .offset:         8
        .size:           16
        .value_kind:     by_value
      - .actual_access:  read_only
        .address_space:  global
        .offset:         24
        .size:           8
        .value_kind:     global_buffer
      - .actual_access:  read_only
        .address_space:  global
        .offset:         32
        .size:           8
        .value_kind:     global_buffer
      - .actual_access:  read_only
        .address_space:  global
        .offset:         40
        .size:           8
        .value_kind:     global_buffer
      - .actual_access:  read_only
        .address_space:  global
        .offset:         48
        .size:           8
        .value_kind:     global_buffer
      - .offset:         56
        .size:           16
        .value_kind:     by_value
      - .address_space:  global
        .offset:         72
        .size:           8
        .value_kind:     global_buffer
      - .offset:         80
        .size:           4
        .value_kind:     by_value
      - .offset:         84
        .size:           1
        .value_kind:     by_value
    .group_segment_fixed_size: 2048
    .kernarg_segment_align: 8
    .kernarg_segment_size: 88
    .language:       OpenCL C
    .language_version:
      - 2
      - 0
    .max_flat_workgroup_size: 128
    .name:           _ZN9rocsparseL19gebsrmvn_2xn_kernelILj128ELj6ELj32E21rocsparse_complex_numIdEEEvi20rocsparse_direction_NS_24const_host_device_scalarIT2_EEPKiS8_PKS5_SA_S6_PS5_21rocsparse_index_base_b
    .private_segment_fixed_size: 0
    .sgpr_count:     20
    .sgpr_spill_count: 0
    .symbol:         _ZN9rocsparseL19gebsrmvn_2xn_kernelILj128ELj6ELj32E21rocsparse_complex_numIdEEEvi20rocsparse_direction_NS_24const_host_device_scalarIT2_EEPKiS8_PKS5_SA_S6_PS5_21rocsparse_index_base_b.kd
    .uniform_work_group_size: 1
    .uses_dynamic_stack: false
    .vgpr_count:     92
    .vgpr_spill_count: 0
    .wavefront_size: 32
    .workgroup_processor_mode: 1
  - .args:
      - .offset:         0
        .size:           4
        .value_kind:     by_value
      - .offset:         4
        .size:           4
        .value_kind:     by_value
      - .offset:         8
        .size:           16
        .value_kind:     by_value
      - .actual_access:  read_only
        .address_space:  global
        .offset:         24
        .size:           8
        .value_kind:     global_buffer
      - .actual_access:  read_only
        .address_space:  global
        .offset:         32
        .size:           8
        .value_kind:     global_buffer
      - .actual_access:  read_only
        .address_space:  global
        .offset:         40
        .size:           8
        .value_kind:     global_buffer
      - .actual_access:  read_only
        .address_space:  global
        .offset:         48
        .size:           8
        .value_kind:     global_buffer
      - .offset:         56
        .size:           16
        .value_kind:     by_value
      - .address_space:  global
        .offset:         72
        .size:           8
        .value_kind:     global_buffer
      - .offset:         80
        .size:           4
        .value_kind:     by_value
      - .offset:         84
        .size:           1
        .value_kind:     by_value
    .group_segment_fixed_size: 2048
    .kernarg_segment_align: 8
    .kernarg_segment_size: 88
    .language:       OpenCL C
    .language_version:
      - 2
      - 0
    .max_flat_workgroup_size: 128
    .name:           _ZN9rocsparseL19gebsrmvn_2xn_kernelILj128ELj6ELj64E21rocsparse_complex_numIdEEEvi20rocsparse_direction_NS_24const_host_device_scalarIT2_EEPKiS8_PKS5_SA_S6_PS5_21rocsparse_index_base_b
    .private_segment_fixed_size: 0
    .sgpr_count:     20
    .sgpr_spill_count: 0
    .symbol:         _ZN9rocsparseL19gebsrmvn_2xn_kernelILj128ELj6ELj64E21rocsparse_complex_numIdEEEvi20rocsparse_direction_NS_24const_host_device_scalarIT2_EEPKiS8_PKS5_SA_S6_PS5_21rocsparse_index_base_b.kd
    .uniform_work_group_size: 1
    .uses_dynamic_stack: false
    .vgpr_count:     92
    .vgpr_spill_count: 0
    .wavefront_size: 32
    .workgroup_processor_mode: 1
  - .args:
      - .offset:         0
        .size:           4
        .value_kind:     by_value
      - .offset:         4
        .size:           4
        .value_kind:     by_value
      - .offset:         8
        .size:           16
        .value_kind:     by_value
      - .actual_access:  read_only
        .address_space:  global
        .offset:         24
        .size:           8
        .value_kind:     global_buffer
      - .actual_access:  read_only
        .address_space:  global
        .offset:         32
        .size:           8
        .value_kind:     global_buffer
      - .actual_access:  read_only
        .address_space:  global
        .offset:         40
        .size:           8
        .value_kind:     global_buffer
      - .actual_access:  read_only
        .address_space:  global
        .offset:         48
        .size:           8
        .value_kind:     global_buffer
      - .offset:         56
        .size:           16
        .value_kind:     by_value
      - .address_space:  global
        .offset:         72
        .size:           8
        .value_kind:     global_buffer
      - .offset:         80
        .size:           4
        .value_kind:     by_value
      - .offset:         84
        .size:           1
        .value_kind:     by_value
    .group_segment_fixed_size: 2048
    .kernarg_segment_align: 8
    .kernarg_segment_size: 88
    .language:       OpenCL C
    .language_version:
      - 2
      - 0
    .max_flat_workgroup_size: 128
    .name:           _ZN9rocsparseL19gebsrmvn_2xn_kernelILj128ELj7ELj4E21rocsparse_complex_numIdEEEvi20rocsparse_direction_NS_24const_host_device_scalarIT2_EEPKiS8_PKS5_SA_S6_PS5_21rocsparse_index_base_b
    .private_segment_fixed_size: 0
    .sgpr_count:     20
    .sgpr_spill_count: 0
    .symbol:         _ZN9rocsparseL19gebsrmvn_2xn_kernelILj128ELj7ELj4E21rocsparse_complex_numIdEEEvi20rocsparse_direction_NS_24const_host_device_scalarIT2_EEPKiS8_PKS5_SA_S6_PS5_21rocsparse_index_base_b.kd
    .uniform_work_group_size: 1
    .uses_dynamic_stack: false
    .vgpr_count:     91
    .vgpr_spill_count: 0
    .wavefront_size: 32
    .workgroup_processor_mode: 1
  - .args:
      - .offset:         0
        .size:           4
        .value_kind:     by_value
      - .offset:         4
        .size:           4
        .value_kind:     by_value
      - .offset:         8
        .size:           16
        .value_kind:     by_value
      - .actual_access:  read_only
        .address_space:  global
        .offset:         24
        .size:           8
        .value_kind:     global_buffer
      - .actual_access:  read_only
        .address_space:  global
        .offset:         32
        .size:           8
        .value_kind:     global_buffer
      - .actual_access:  read_only
        .address_space:  global
        .offset:         40
        .size:           8
        .value_kind:     global_buffer
      - .actual_access:  read_only
        .address_space:  global
        .offset:         48
        .size:           8
        .value_kind:     global_buffer
      - .offset:         56
        .size:           16
        .value_kind:     by_value
      - .address_space:  global
        .offset:         72
        .size:           8
        .value_kind:     global_buffer
      - .offset:         80
        .size:           4
        .value_kind:     by_value
      - .offset:         84
        .size:           1
        .value_kind:     by_value
    .group_segment_fixed_size: 2048
    .kernarg_segment_align: 8
    .kernarg_segment_size: 88
    .language:       OpenCL C
    .language_version:
      - 2
      - 0
    .max_flat_workgroup_size: 128
    .name:           _ZN9rocsparseL19gebsrmvn_2xn_kernelILj128ELj7ELj8E21rocsparse_complex_numIdEEEvi20rocsparse_direction_NS_24const_host_device_scalarIT2_EEPKiS8_PKS5_SA_S6_PS5_21rocsparse_index_base_b
    .private_segment_fixed_size: 0
    .sgpr_count:     20
    .sgpr_spill_count: 0
    .symbol:         _ZN9rocsparseL19gebsrmvn_2xn_kernelILj128ELj7ELj8E21rocsparse_complex_numIdEEEvi20rocsparse_direction_NS_24const_host_device_scalarIT2_EEPKiS8_PKS5_SA_S6_PS5_21rocsparse_index_base_b.kd
    .uniform_work_group_size: 1
    .uses_dynamic_stack: false
    .vgpr_count:     91
    .vgpr_spill_count: 0
    .wavefront_size: 32
    .workgroup_processor_mode: 1
  - .args:
      - .offset:         0
        .size:           4
        .value_kind:     by_value
      - .offset:         4
        .size:           4
        .value_kind:     by_value
      - .offset:         8
        .size:           16
        .value_kind:     by_value
      - .actual_access:  read_only
        .address_space:  global
        .offset:         24
        .size:           8
        .value_kind:     global_buffer
      - .actual_access:  read_only
        .address_space:  global
        .offset:         32
        .size:           8
        .value_kind:     global_buffer
      - .actual_access:  read_only
        .address_space:  global
        .offset:         40
        .size:           8
        .value_kind:     global_buffer
      - .actual_access:  read_only
        .address_space:  global
        .offset:         48
        .size:           8
        .value_kind:     global_buffer
      - .offset:         56
        .size:           16
        .value_kind:     by_value
      - .address_space:  global
        .offset:         72
        .size:           8
        .value_kind:     global_buffer
      - .offset:         80
        .size:           4
        .value_kind:     by_value
      - .offset:         84
        .size:           1
        .value_kind:     by_value
    .group_segment_fixed_size: 2048
    .kernarg_segment_align: 8
    .kernarg_segment_size: 88
    .language:       OpenCL C
    .language_version:
      - 2
      - 0
    .max_flat_workgroup_size: 128
    .name:           _ZN9rocsparseL19gebsrmvn_2xn_kernelILj128ELj7ELj16E21rocsparse_complex_numIdEEEvi20rocsparse_direction_NS_24const_host_device_scalarIT2_EEPKiS8_PKS5_SA_S6_PS5_21rocsparse_index_base_b
    .private_segment_fixed_size: 0
    .sgpr_count:     20
    .sgpr_spill_count: 0
    .symbol:         _ZN9rocsparseL19gebsrmvn_2xn_kernelILj128ELj7ELj16E21rocsparse_complex_numIdEEEvi20rocsparse_direction_NS_24const_host_device_scalarIT2_EEPKiS8_PKS5_SA_S6_PS5_21rocsparse_index_base_b.kd
    .uniform_work_group_size: 1
    .uses_dynamic_stack: false
    .vgpr_count:     91
    .vgpr_spill_count: 0
    .wavefront_size: 32
    .workgroup_processor_mode: 1
  - .args:
      - .offset:         0
        .size:           4
        .value_kind:     by_value
      - .offset:         4
        .size:           4
        .value_kind:     by_value
      - .offset:         8
        .size:           16
        .value_kind:     by_value
      - .actual_access:  read_only
        .address_space:  global
        .offset:         24
        .size:           8
        .value_kind:     global_buffer
      - .actual_access:  read_only
        .address_space:  global
        .offset:         32
        .size:           8
        .value_kind:     global_buffer
      - .actual_access:  read_only
        .address_space:  global
        .offset:         40
        .size:           8
        .value_kind:     global_buffer
      - .actual_access:  read_only
        .address_space:  global
        .offset:         48
        .size:           8
        .value_kind:     global_buffer
      - .offset:         56
        .size:           16
        .value_kind:     by_value
      - .address_space:  global
        .offset:         72
        .size:           8
        .value_kind:     global_buffer
      - .offset:         80
        .size:           4
        .value_kind:     by_value
      - .offset:         84
        .size:           1
        .value_kind:     by_value
    .group_segment_fixed_size: 2048
    .kernarg_segment_align: 8
    .kernarg_segment_size: 88
    .language:       OpenCL C
    .language_version:
      - 2
      - 0
    .max_flat_workgroup_size: 128
    .name:           _ZN9rocsparseL19gebsrmvn_2xn_kernelILj128ELj7ELj32E21rocsparse_complex_numIdEEEvi20rocsparse_direction_NS_24const_host_device_scalarIT2_EEPKiS8_PKS5_SA_S6_PS5_21rocsparse_index_base_b
    .private_segment_fixed_size: 0
    .sgpr_count:     20
    .sgpr_spill_count: 0
    .symbol:         _ZN9rocsparseL19gebsrmvn_2xn_kernelILj128ELj7ELj32E21rocsparse_complex_numIdEEEvi20rocsparse_direction_NS_24const_host_device_scalarIT2_EEPKiS8_PKS5_SA_S6_PS5_21rocsparse_index_base_b.kd
    .uniform_work_group_size: 1
    .uses_dynamic_stack: false
    .vgpr_count:     91
    .vgpr_spill_count: 0
    .wavefront_size: 32
    .workgroup_processor_mode: 1
  - .args:
      - .offset:         0
        .size:           4
        .value_kind:     by_value
      - .offset:         4
        .size:           4
        .value_kind:     by_value
      - .offset:         8
        .size:           16
        .value_kind:     by_value
      - .actual_access:  read_only
        .address_space:  global
        .offset:         24
        .size:           8
        .value_kind:     global_buffer
      - .actual_access:  read_only
        .address_space:  global
        .offset:         32
        .size:           8
        .value_kind:     global_buffer
      - .actual_access:  read_only
        .address_space:  global
        .offset:         40
        .size:           8
        .value_kind:     global_buffer
      - .actual_access:  read_only
        .address_space:  global
        .offset:         48
        .size:           8
        .value_kind:     global_buffer
      - .offset:         56
        .size:           16
        .value_kind:     by_value
      - .address_space:  global
        .offset:         72
        .size:           8
        .value_kind:     global_buffer
      - .offset:         80
        .size:           4
        .value_kind:     by_value
      - .offset:         84
        .size:           1
        .value_kind:     by_value
    .group_segment_fixed_size: 2048
    .kernarg_segment_align: 8
    .kernarg_segment_size: 88
    .language:       OpenCL C
    .language_version:
      - 2
      - 0
    .max_flat_workgroup_size: 128
    .name:           _ZN9rocsparseL19gebsrmvn_2xn_kernelILj128ELj7ELj64E21rocsparse_complex_numIdEEEvi20rocsparse_direction_NS_24const_host_device_scalarIT2_EEPKiS8_PKS5_SA_S6_PS5_21rocsparse_index_base_b
    .private_segment_fixed_size: 0
    .sgpr_count:     20
    .sgpr_spill_count: 0
    .symbol:         _ZN9rocsparseL19gebsrmvn_2xn_kernelILj128ELj7ELj64E21rocsparse_complex_numIdEEEvi20rocsparse_direction_NS_24const_host_device_scalarIT2_EEPKiS8_PKS5_SA_S6_PS5_21rocsparse_index_base_b.kd
    .uniform_work_group_size: 1
    .uses_dynamic_stack: false
    .vgpr_count:     91
    .vgpr_spill_count: 0
    .wavefront_size: 32
    .workgroup_processor_mode: 1
  - .args:
      - .offset:         0
        .size:           4
        .value_kind:     by_value
      - .offset:         4
        .size:           4
        .value_kind:     by_value
      - .offset:         8
        .size:           16
        .value_kind:     by_value
      - .actual_access:  read_only
        .address_space:  global
        .offset:         24
        .size:           8
        .value_kind:     global_buffer
      - .actual_access:  read_only
        .address_space:  global
        .offset:         32
        .size:           8
        .value_kind:     global_buffer
      - .actual_access:  read_only
        .address_space:  global
        .offset:         40
        .size:           8
        .value_kind:     global_buffer
      - .actual_access:  read_only
        .address_space:  global
        .offset:         48
        .size:           8
        .value_kind:     global_buffer
      - .offset:         56
        .size:           16
        .value_kind:     by_value
      - .address_space:  global
        .offset:         72
        .size:           8
        .value_kind:     global_buffer
      - .offset:         80
        .size:           4
        .value_kind:     by_value
      - .offset:         84
        .size:           1
        .value_kind:     by_value
    .group_segment_fixed_size: 2048
    .kernarg_segment_align: 8
    .kernarg_segment_size: 88
    .language:       OpenCL C
    .language_version:
      - 2
      - 0
    .max_flat_workgroup_size: 128
    .name:           _ZN9rocsparseL19gebsrmvn_2xn_kernelILj128ELj8ELj4E21rocsparse_complex_numIdEEEvi20rocsparse_direction_NS_24const_host_device_scalarIT2_EEPKiS8_PKS5_SA_S6_PS5_21rocsparse_index_base_b
    .private_segment_fixed_size: 0
    .sgpr_count:     20
    .sgpr_spill_count: 0
    .symbol:         _ZN9rocsparseL19gebsrmvn_2xn_kernelILj128ELj8ELj4E21rocsparse_complex_numIdEEEvi20rocsparse_direction_NS_24const_host_device_scalarIT2_EEPKiS8_PKS5_SA_S6_PS5_21rocsparse_index_base_b.kd
    .uniform_work_group_size: 1
    .uses_dynamic_stack: false
    .vgpr_count:     94
    .vgpr_spill_count: 0
    .wavefront_size: 32
    .workgroup_processor_mode: 1
  - .args:
      - .offset:         0
        .size:           4
        .value_kind:     by_value
      - .offset:         4
        .size:           4
        .value_kind:     by_value
      - .offset:         8
        .size:           16
        .value_kind:     by_value
      - .actual_access:  read_only
        .address_space:  global
        .offset:         24
        .size:           8
        .value_kind:     global_buffer
      - .actual_access:  read_only
        .address_space:  global
        .offset:         32
        .size:           8
        .value_kind:     global_buffer
      - .actual_access:  read_only
        .address_space:  global
        .offset:         40
        .size:           8
        .value_kind:     global_buffer
      - .actual_access:  read_only
        .address_space:  global
        .offset:         48
        .size:           8
        .value_kind:     global_buffer
      - .offset:         56
        .size:           16
        .value_kind:     by_value
      - .address_space:  global
        .offset:         72
        .size:           8
        .value_kind:     global_buffer
      - .offset:         80
        .size:           4
        .value_kind:     by_value
      - .offset:         84
        .size:           1
        .value_kind:     by_value
    .group_segment_fixed_size: 2048
    .kernarg_segment_align: 8
    .kernarg_segment_size: 88
    .language:       OpenCL C
    .language_version:
      - 2
      - 0
    .max_flat_workgroup_size: 128
    .name:           _ZN9rocsparseL19gebsrmvn_2xn_kernelILj128ELj8ELj8E21rocsparse_complex_numIdEEEvi20rocsparse_direction_NS_24const_host_device_scalarIT2_EEPKiS8_PKS5_SA_S6_PS5_21rocsparse_index_base_b
    .private_segment_fixed_size: 0
    .sgpr_count:     20
    .sgpr_spill_count: 0
    .symbol:         _ZN9rocsparseL19gebsrmvn_2xn_kernelILj128ELj8ELj8E21rocsparse_complex_numIdEEEvi20rocsparse_direction_NS_24const_host_device_scalarIT2_EEPKiS8_PKS5_SA_S6_PS5_21rocsparse_index_base_b.kd
    .uniform_work_group_size: 1
    .uses_dynamic_stack: false
    .vgpr_count:     94
    .vgpr_spill_count: 0
    .wavefront_size: 32
    .workgroup_processor_mode: 1
  - .args:
      - .offset:         0
        .size:           4
        .value_kind:     by_value
      - .offset:         4
        .size:           4
        .value_kind:     by_value
      - .offset:         8
        .size:           16
        .value_kind:     by_value
      - .actual_access:  read_only
        .address_space:  global
        .offset:         24
        .size:           8
        .value_kind:     global_buffer
      - .actual_access:  read_only
        .address_space:  global
        .offset:         32
        .size:           8
        .value_kind:     global_buffer
      - .actual_access:  read_only
        .address_space:  global
        .offset:         40
        .size:           8
        .value_kind:     global_buffer
      - .actual_access:  read_only
        .address_space:  global
        .offset:         48
        .size:           8
        .value_kind:     global_buffer
      - .offset:         56
        .size:           16
        .value_kind:     by_value
      - .address_space:  global
        .offset:         72
        .size:           8
        .value_kind:     global_buffer
      - .offset:         80
        .size:           4
        .value_kind:     by_value
      - .offset:         84
        .size:           1
        .value_kind:     by_value
    .group_segment_fixed_size: 2048
    .kernarg_segment_align: 8
    .kernarg_segment_size: 88
    .language:       OpenCL C
    .language_version:
      - 2
      - 0
    .max_flat_workgroup_size: 128
    .name:           _ZN9rocsparseL19gebsrmvn_2xn_kernelILj128ELj8ELj16E21rocsparse_complex_numIdEEEvi20rocsparse_direction_NS_24const_host_device_scalarIT2_EEPKiS8_PKS5_SA_S6_PS5_21rocsparse_index_base_b
    .private_segment_fixed_size: 0
    .sgpr_count:     20
    .sgpr_spill_count: 0
    .symbol:         _ZN9rocsparseL19gebsrmvn_2xn_kernelILj128ELj8ELj16E21rocsparse_complex_numIdEEEvi20rocsparse_direction_NS_24const_host_device_scalarIT2_EEPKiS8_PKS5_SA_S6_PS5_21rocsparse_index_base_b.kd
    .uniform_work_group_size: 1
    .uses_dynamic_stack: false
    .vgpr_count:     94
    .vgpr_spill_count: 0
    .wavefront_size: 32
    .workgroup_processor_mode: 1
  - .args:
      - .offset:         0
        .size:           4
        .value_kind:     by_value
      - .offset:         4
        .size:           4
        .value_kind:     by_value
      - .offset:         8
        .size:           16
        .value_kind:     by_value
      - .actual_access:  read_only
        .address_space:  global
        .offset:         24
        .size:           8
        .value_kind:     global_buffer
      - .actual_access:  read_only
        .address_space:  global
        .offset:         32
        .size:           8
        .value_kind:     global_buffer
      - .actual_access:  read_only
        .address_space:  global
        .offset:         40
        .size:           8
        .value_kind:     global_buffer
      - .actual_access:  read_only
        .address_space:  global
        .offset:         48
        .size:           8
        .value_kind:     global_buffer
      - .offset:         56
        .size:           16
        .value_kind:     by_value
      - .address_space:  global
        .offset:         72
        .size:           8
        .value_kind:     global_buffer
      - .offset:         80
        .size:           4
        .value_kind:     by_value
      - .offset:         84
        .size:           1
        .value_kind:     by_value
    .group_segment_fixed_size: 2048
    .kernarg_segment_align: 8
    .kernarg_segment_size: 88
    .language:       OpenCL C
    .language_version:
      - 2
      - 0
    .max_flat_workgroup_size: 128
    .name:           _ZN9rocsparseL19gebsrmvn_2xn_kernelILj128ELj8ELj32E21rocsparse_complex_numIdEEEvi20rocsparse_direction_NS_24const_host_device_scalarIT2_EEPKiS8_PKS5_SA_S6_PS5_21rocsparse_index_base_b
    .private_segment_fixed_size: 0
    .sgpr_count:     20
    .sgpr_spill_count: 0
    .symbol:         _ZN9rocsparseL19gebsrmvn_2xn_kernelILj128ELj8ELj32E21rocsparse_complex_numIdEEEvi20rocsparse_direction_NS_24const_host_device_scalarIT2_EEPKiS8_PKS5_SA_S6_PS5_21rocsparse_index_base_b.kd
    .uniform_work_group_size: 1
    .uses_dynamic_stack: false
    .vgpr_count:     94
    .vgpr_spill_count: 0
    .wavefront_size: 32
    .workgroup_processor_mode: 1
  - .args:
      - .offset:         0
        .size:           4
        .value_kind:     by_value
      - .offset:         4
        .size:           4
        .value_kind:     by_value
      - .offset:         8
        .size:           16
        .value_kind:     by_value
      - .actual_access:  read_only
        .address_space:  global
        .offset:         24
        .size:           8
        .value_kind:     global_buffer
      - .actual_access:  read_only
        .address_space:  global
        .offset:         32
        .size:           8
        .value_kind:     global_buffer
      - .actual_access:  read_only
        .address_space:  global
        .offset:         40
        .size:           8
        .value_kind:     global_buffer
      - .actual_access:  read_only
        .address_space:  global
        .offset:         48
        .size:           8
        .value_kind:     global_buffer
      - .offset:         56
        .size:           16
        .value_kind:     by_value
      - .address_space:  global
        .offset:         72
        .size:           8
        .value_kind:     global_buffer
      - .offset:         80
        .size:           4
        .value_kind:     by_value
      - .offset:         84
        .size:           1
        .value_kind:     by_value
    .group_segment_fixed_size: 2048
    .kernarg_segment_align: 8
    .kernarg_segment_size: 88
    .language:       OpenCL C
    .language_version:
      - 2
      - 0
    .max_flat_workgroup_size: 128
    .name:           _ZN9rocsparseL19gebsrmvn_2xn_kernelILj128ELj8ELj64E21rocsparse_complex_numIdEEEvi20rocsparse_direction_NS_24const_host_device_scalarIT2_EEPKiS8_PKS5_SA_S6_PS5_21rocsparse_index_base_b
    .private_segment_fixed_size: 0
    .sgpr_count:     20
    .sgpr_spill_count: 0
    .symbol:         _ZN9rocsparseL19gebsrmvn_2xn_kernelILj128ELj8ELj64E21rocsparse_complex_numIdEEEvi20rocsparse_direction_NS_24const_host_device_scalarIT2_EEPKiS8_PKS5_SA_S6_PS5_21rocsparse_index_base_b.kd
    .uniform_work_group_size: 1
    .uses_dynamic_stack: false
    .vgpr_count:     94
    .vgpr_spill_count: 0
    .wavefront_size: 32
    .workgroup_processor_mode: 1
  - .args:
      - .offset:         0
        .size:           4
        .value_kind:     by_value
      - .offset:         4
        .size:           4
        .value_kind:     by_value
      - .offset:         8
        .size:           16
        .value_kind:     by_value
      - .actual_access:  read_only
        .address_space:  global
        .offset:         24
        .size:           8
        .value_kind:     global_buffer
      - .actual_access:  read_only
        .address_space:  global
        .offset:         32
        .size:           8
        .value_kind:     global_buffer
      - .actual_access:  read_only
        .address_space:  global
        .offset:         40
        .size:           8
        .value_kind:     global_buffer
      - .actual_access:  read_only
        .address_space:  global
        .offset:         48
        .size:           8
        .value_kind:     global_buffer
      - .offset:         56
        .size:           16
        .value_kind:     by_value
      - .address_space:  global
        .offset:         72
        .size:           8
        .value_kind:     global_buffer
      - .offset:         80
        .size:           4
        .value_kind:     by_value
      - .offset:         84
        .size:           1
        .value_kind:     by_value
    .group_segment_fixed_size: 2048
    .kernarg_segment_align: 8
    .kernarg_segment_size: 88
    .language:       OpenCL C
    .language_version:
      - 2
      - 0
    .max_flat_workgroup_size: 128
    .name:           _ZN9rocsparseL19gebsrmvn_2xn_kernelILj128ELj9ELj4E21rocsparse_complex_numIdEEEvi20rocsparse_direction_NS_24const_host_device_scalarIT2_EEPKiS8_PKS5_SA_S6_PS5_21rocsparse_index_base_b
    .private_segment_fixed_size: 0
    .sgpr_count:     20
    .sgpr_spill_count: 0
    .symbol:         _ZN9rocsparseL19gebsrmvn_2xn_kernelILj128ELj9ELj4E21rocsparse_complex_numIdEEEvi20rocsparse_direction_NS_24const_host_device_scalarIT2_EEPKiS8_PKS5_SA_S6_PS5_21rocsparse_index_base_b.kd
    .uniform_work_group_size: 1
    .uses_dynamic_stack: false
    .vgpr_count:     92
    .vgpr_spill_count: 0
    .wavefront_size: 32
    .workgroup_processor_mode: 1
  - .args:
      - .offset:         0
        .size:           4
        .value_kind:     by_value
      - .offset:         4
        .size:           4
        .value_kind:     by_value
      - .offset:         8
        .size:           16
        .value_kind:     by_value
      - .actual_access:  read_only
        .address_space:  global
        .offset:         24
        .size:           8
        .value_kind:     global_buffer
      - .actual_access:  read_only
        .address_space:  global
        .offset:         32
        .size:           8
        .value_kind:     global_buffer
      - .actual_access:  read_only
        .address_space:  global
        .offset:         40
        .size:           8
        .value_kind:     global_buffer
      - .actual_access:  read_only
        .address_space:  global
        .offset:         48
        .size:           8
        .value_kind:     global_buffer
      - .offset:         56
        .size:           16
        .value_kind:     by_value
      - .address_space:  global
        .offset:         72
        .size:           8
        .value_kind:     global_buffer
      - .offset:         80
        .size:           4
        .value_kind:     by_value
      - .offset:         84
        .size:           1
        .value_kind:     by_value
    .group_segment_fixed_size: 2048
    .kernarg_segment_align: 8
    .kernarg_segment_size: 88
    .language:       OpenCL C
    .language_version:
      - 2
      - 0
    .max_flat_workgroup_size: 128
    .name:           _ZN9rocsparseL19gebsrmvn_2xn_kernelILj128ELj9ELj8E21rocsparse_complex_numIdEEEvi20rocsparse_direction_NS_24const_host_device_scalarIT2_EEPKiS8_PKS5_SA_S6_PS5_21rocsparse_index_base_b
    .private_segment_fixed_size: 0
    .sgpr_count:     20
    .sgpr_spill_count: 0
    .symbol:         _ZN9rocsparseL19gebsrmvn_2xn_kernelILj128ELj9ELj8E21rocsparse_complex_numIdEEEvi20rocsparse_direction_NS_24const_host_device_scalarIT2_EEPKiS8_PKS5_SA_S6_PS5_21rocsparse_index_base_b.kd
    .uniform_work_group_size: 1
    .uses_dynamic_stack: false
    .vgpr_count:     92
    .vgpr_spill_count: 0
    .wavefront_size: 32
    .workgroup_processor_mode: 1
  - .args:
      - .offset:         0
        .size:           4
        .value_kind:     by_value
      - .offset:         4
        .size:           4
        .value_kind:     by_value
      - .offset:         8
        .size:           16
        .value_kind:     by_value
      - .actual_access:  read_only
        .address_space:  global
        .offset:         24
        .size:           8
        .value_kind:     global_buffer
      - .actual_access:  read_only
        .address_space:  global
        .offset:         32
        .size:           8
        .value_kind:     global_buffer
      - .actual_access:  read_only
        .address_space:  global
        .offset:         40
        .size:           8
        .value_kind:     global_buffer
      - .actual_access:  read_only
        .address_space:  global
        .offset:         48
        .size:           8
        .value_kind:     global_buffer
      - .offset:         56
        .size:           16
        .value_kind:     by_value
      - .address_space:  global
        .offset:         72
        .size:           8
        .value_kind:     global_buffer
      - .offset:         80
        .size:           4
        .value_kind:     by_value
      - .offset:         84
        .size:           1
        .value_kind:     by_value
    .group_segment_fixed_size: 2048
    .kernarg_segment_align: 8
    .kernarg_segment_size: 88
    .language:       OpenCL C
    .language_version:
      - 2
      - 0
    .max_flat_workgroup_size: 128
    .name:           _ZN9rocsparseL19gebsrmvn_2xn_kernelILj128ELj9ELj16E21rocsparse_complex_numIdEEEvi20rocsparse_direction_NS_24const_host_device_scalarIT2_EEPKiS8_PKS5_SA_S6_PS5_21rocsparse_index_base_b
    .private_segment_fixed_size: 0
    .sgpr_count:     20
    .sgpr_spill_count: 0
    .symbol:         _ZN9rocsparseL19gebsrmvn_2xn_kernelILj128ELj9ELj16E21rocsparse_complex_numIdEEEvi20rocsparse_direction_NS_24const_host_device_scalarIT2_EEPKiS8_PKS5_SA_S6_PS5_21rocsparse_index_base_b.kd
    .uniform_work_group_size: 1
    .uses_dynamic_stack: false
    .vgpr_count:     92
    .vgpr_spill_count: 0
    .wavefront_size: 32
    .workgroup_processor_mode: 1
  - .args:
      - .offset:         0
        .size:           4
        .value_kind:     by_value
      - .offset:         4
        .size:           4
        .value_kind:     by_value
      - .offset:         8
        .size:           16
        .value_kind:     by_value
      - .actual_access:  read_only
        .address_space:  global
        .offset:         24
        .size:           8
        .value_kind:     global_buffer
      - .actual_access:  read_only
        .address_space:  global
        .offset:         32
        .size:           8
        .value_kind:     global_buffer
      - .actual_access:  read_only
        .address_space:  global
        .offset:         40
        .size:           8
        .value_kind:     global_buffer
      - .actual_access:  read_only
        .address_space:  global
        .offset:         48
        .size:           8
        .value_kind:     global_buffer
      - .offset:         56
        .size:           16
        .value_kind:     by_value
      - .address_space:  global
        .offset:         72
        .size:           8
        .value_kind:     global_buffer
      - .offset:         80
        .size:           4
        .value_kind:     by_value
      - .offset:         84
        .size:           1
        .value_kind:     by_value
    .group_segment_fixed_size: 2048
    .kernarg_segment_align: 8
    .kernarg_segment_size: 88
    .language:       OpenCL C
    .language_version:
      - 2
      - 0
    .max_flat_workgroup_size: 128
    .name:           _ZN9rocsparseL19gebsrmvn_2xn_kernelILj128ELj9ELj32E21rocsparse_complex_numIdEEEvi20rocsparse_direction_NS_24const_host_device_scalarIT2_EEPKiS8_PKS5_SA_S6_PS5_21rocsparse_index_base_b
    .private_segment_fixed_size: 0
    .sgpr_count:     20
    .sgpr_spill_count: 0
    .symbol:         _ZN9rocsparseL19gebsrmvn_2xn_kernelILj128ELj9ELj32E21rocsparse_complex_numIdEEEvi20rocsparse_direction_NS_24const_host_device_scalarIT2_EEPKiS8_PKS5_SA_S6_PS5_21rocsparse_index_base_b.kd
    .uniform_work_group_size: 1
    .uses_dynamic_stack: false
    .vgpr_count:     92
    .vgpr_spill_count: 0
    .wavefront_size: 32
    .workgroup_processor_mode: 1
  - .args:
      - .offset:         0
        .size:           4
        .value_kind:     by_value
      - .offset:         4
        .size:           4
        .value_kind:     by_value
      - .offset:         8
        .size:           16
        .value_kind:     by_value
      - .actual_access:  read_only
        .address_space:  global
        .offset:         24
        .size:           8
        .value_kind:     global_buffer
      - .actual_access:  read_only
        .address_space:  global
        .offset:         32
        .size:           8
        .value_kind:     global_buffer
      - .actual_access:  read_only
        .address_space:  global
        .offset:         40
        .size:           8
        .value_kind:     global_buffer
      - .actual_access:  read_only
        .address_space:  global
        .offset:         48
        .size:           8
        .value_kind:     global_buffer
      - .offset:         56
        .size:           16
        .value_kind:     by_value
      - .address_space:  global
        .offset:         72
        .size:           8
        .value_kind:     global_buffer
      - .offset:         80
        .size:           4
        .value_kind:     by_value
      - .offset:         84
        .size:           1
        .value_kind:     by_value
    .group_segment_fixed_size: 2048
    .kernarg_segment_align: 8
    .kernarg_segment_size: 88
    .language:       OpenCL C
    .language_version:
      - 2
      - 0
    .max_flat_workgroup_size: 128
    .name:           _ZN9rocsparseL19gebsrmvn_2xn_kernelILj128ELj9ELj64E21rocsparse_complex_numIdEEEvi20rocsparse_direction_NS_24const_host_device_scalarIT2_EEPKiS8_PKS5_SA_S6_PS5_21rocsparse_index_base_b
    .private_segment_fixed_size: 0
    .sgpr_count:     20
    .sgpr_spill_count: 0
    .symbol:         _ZN9rocsparseL19gebsrmvn_2xn_kernelILj128ELj9ELj64E21rocsparse_complex_numIdEEEvi20rocsparse_direction_NS_24const_host_device_scalarIT2_EEPKiS8_PKS5_SA_S6_PS5_21rocsparse_index_base_b.kd
    .uniform_work_group_size: 1
    .uses_dynamic_stack: false
    .vgpr_count:     92
    .vgpr_spill_count: 0
    .wavefront_size: 32
    .workgroup_processor_mode: 1
  - .args:
      - .offset:         0
        .size:           4
        .value_kind:     by_value
      - .offset:         4
        .size:           4
        .value_kind:     by_value
      - .offset:         8
        .size:           16
        .value_kind:     by_value
      - .actual_access:  read_only
        .address_space:  global
        .offset:         24
        .size:           8
        .value_kind:     global_buffer
      - .actual_access:  read_only
        .address_space:  global
        .offset:         32
        .size:           8
        .value_kind:     global_buffer
      - .actual_access:  read_only
        .address_space:  global
        .offset:         40
        .size:           8
        .value_kind:     global_buffer
      - .actual_access:  read_only
        .address_space:  global
        .offset:         48
        .size:           8
        .value_kind:     global_buffer
      - .offset:         56
        .size:           16
        .value_kind:     by_value
      - .address_space:  global
        .offset:         72
        .size:           8
        .value_kind:     global_buffer
      - .offset:         80
        .size:           4
        .value_kind:     by_value
      - .offset:         84
        .size:           1
        .value_kind:     by_value
    .group_segment_fixed_size: 2048
    .kernarg_segment_align: 8
    .kernarg_segment_size: 88
    .language:       OpenCL C
    .language_version:
      - 2
      - 0
    .max_flat_workgroup_size: 128
    .name:           _ZN9rocsparseL19gebsrmvn_2xn_kernelILj128ELj10ELj4E21rocsparse_complex_numIdEEEvi20rocsparse_direction_NS_24const_host_device_scalarIT2_EEPKiS8_PKS5_SA_S6_PS5_21rocsparse_index_base_b
    .private_segment_fixed_size: 0
    .sgpr_count:     20
    .sgpr_spill_count: 0
    .symbol:         _ZN9rocsparseL19gebsrmvn_2xn_kernelILj128ELj10ELj4E21rocsparse_complex_numIdEEEvi20rocsparse_direction_NS_24const_host_device_scalarIT2_EEPKiS8_PKS5_SA_S6_PS5_21rocsparse_index_base_b.kd
    .uniform_work_group_size: 1
    .uses_dynamic_stack: false
    .vgpr_count:     50
    .vgpr_spill_count: 0
    .wavefront_size: 32
    .workgroup_processor_mode: 1
  - .args:
      - .offset:         0
        .size:           4
        .value_kind:     by_value
      - .offset:         4
        .size:           4
        .value_kind:     by_value
      - .offset:         8
        .size:           16
        .value_kind:     by_value
      - .actual_access:  read_only
        .address_space:  global
        .offset:         24
        .size:           8
        .value_kind:     global_buffer
      - .actual_access:  read_only
        .address_space:  global
        .offset:         32
        .size:           8
        .value_kind:     global_buffer
      - .actual_access:  read_only
        .address_space:  global
        .offset:         40
        .size:           8
        .value_kind:     global_buffer
      - .actual_access:  read_only
        .address_space:  global
        .offset:         48
        .size:           8
        .value_kind:     global_buffer
      - .offset:         56
        .size:           16
        .value_kind:     by_value
      - .address_space:  global
        .offset:         72
        .size:           8
        .value_kind:     global_buffer
      - .offset:         80
        .size:           4
        .value_kind:     by_value
      - .offset:         84
        .size:           1
        .value_kind:     by_value
    .group_segment_fixed_size: 2048
    .kernarg_segment_align: 8
    .kernarg_segment_size: 88
    .language:       OpenCL C
    .language_version:
      - 2
      - 0
    .max_flat_workgroup_size: 128
    .name:           _ZN9rocsparseL19gebsrmvn_2xn_kernelILj128ELj10ELj8E21rocsparse_complex_numIdEEEvi20rocsparse_direction_NS_24const_host_device_scalarIT2_EEPKiS8_PKS5_SA_S6_PS5_21rocsparse_index_base_b
    .private_segment_fixed_size: 0
    .sgpr_count:     20
    .sgpr_spill_count: 0
    .symbol:         _ZN9rocsparseL19gebsrmvn_2xn_kernelILj128ELj10ELj8E21rocsparse_complex_numIdEEEvi20rocsparse_direction_NS_24const_host_device_scalarIT2_EEPKiS8_PKS5_SA_S6_PS5_21rocsparse_index_base_b.kd
    .uniform_work_group_size: 1
    .uses_dynamic_stack: false
    .vgpr_count:     50
    .vgpr_spill_count: 0
    .wavefront_size: 32
    .workgroup_processor_mode: 1
  - .args:
      - .offset:         0
        .size:           4
        .value_kind:     by_value
      - .offset:         4
        .size:           4
        .value_kind:     by_value
      - .offset:         8
        .size:           16
        .value_kind:     by_value
      - .actual_access:  read_only
        .address_space:  global
        .offset:         24
        .size:           8
        .value_kind:     global_buffer
      - .actual_access:  read_only
        .address_space:  global
        .offset:         32
        .size:           8
        .value_kind:     global_buffer
      - .actual_access:  read_only
        .address_space:  global
        .offset:         40
        .size:           8
        .value_kind:     global_buffer
      - .actual_access:  read_only
        .address_space:  global
        .offset:         48
        .size:           8
        .value_kind:     global_buffer
      - .offset:         56
        .size:           16
        .value_kind:     by_value
      - .address_space:  global
        .offset:         72
        .size:           8
        .value_kind:     global_buffer
      - .offset:         80
        .size:           4
        .value_kind:     by_value
      - .offset:         84
        .size:           1
        .value_kind:     by_value
    .group_segment_fixed_size: 2048
    .kernarg_segment_align: 8
    .kernarg_segment_size: 88
    .language:       OpenCL C
    .language_version:
      - 2
      - 0
    .max_flat_workgroup_size: 128
    .name:           _ZN9rocsparseL19gebsrmvn_2xn_kernelILj128ELj10ELj16E21rocsparse_complex_numIdEEEvi20rocsparse_direction_NS_24const_host_device_scalarIT2_EEPKiS8_PKS5_SA_S6_PS5_21rocsparse_index_base_b
    .private_segment_fixed_size: 0
    .sgpr_count:     20
    .sgpr_spill_count: 0
    .symbol:         _ZN9rocsparseL19gebsrmvn_2xn_kernelILj128ELj10ELj16E21rocsparse_complex_numIdEEEvi20rocsparse_direction_NS_24const_host_device_scalarIT2_EEPKiS8_PKS5_SA_S6_PS5_21rocsparse_index_base_b.kd
    .uniform_work_group_size: 1
    .uses_dynamic_stack: false
    .vgpr_count:     50
    .vgpr_spill_count: 0
    .wavefront_size: 32
    .workgroup_processor_mode: 1
  - .args:
      - .offset:         0
        .size:           4
        .value_kind:     by_value
      - .offset:         4
        .size:           4
        .value_kind:     by_value
      - .offset:         8
        .size:           16
        .value_kind:     by_value
      - .actual_access:  read_only
        .address_space:  global
        .offset:         24
        .size:           8
        .value_kind:     global_buffer
      - .actual_access:  read_only
        .address_space:  global
        .offset:         32
        .size:           8
        .value_kind:     global_buffer
      - .actual_access:  read_only
        .address_space:  global
        .offset:         40
        .size:           8
        .value_kind:     global_buffer
      - .actual_access:  read_only
        .address_space:  global
        .offset:         48
        .size:           8
        .value_kind:     global_buffer
      - .offset:         56
        .size:           16
        .value_kind:     by_value
      - .address_space:  global
        .offset:         72
        .size:           8
        .value_kind:     global_buffer
      - .offset:         80
        .size:           4
        .value_kind:     by_value
      - .offset:         84
        .size:           1
        .value_kind:     by_value
    .group_segment_fixed_size: 2048
    .kernarg_segment_align: 8
    .kernarg_segment_size: 88
    .language:       OpenCL C
    .language_version:
      - 2
      - 0
    .max_flat_workgroup_size: 128
    .name:           _ZN9rocsparseL19gebsrmvn_2xn_kernelILj128ELj10ELj32E21rocsparse_complex_numIdEEEvi20rocsparse_direction_NS_24const_host_device_scalarIT2_EEPKiS8_PKS5_SA_S6_PS5_21rocsparse_index_base_b
    .private_segment_fixed_size: 0
    .sgpr_count:     20
    .sgpr_spill_count: 0
    .symbol:         _ZN9rocsparseL19gebsrmvn_2xn_kernelILj128ELj10ELj32E21rocsparse_complex_numIdEEEvi20rocsparse_direction_NS_24const_host_device_scalarIT2_EEPKiS8_PKS5_SA_S6_PS5_21rocsparse_index_base_b.kd
    .uniform_work_group_size: 1
    .uses_dynamic_stack: false
    .vgpr_count:     50
    .vgpr_spill_count: 0
    .wavefront_size: 32
    .workgroup_processor_mode: 1
  - .args:
      - .offset:         0
        .size:           4
        .value_kind:     by_value
      - .offset:         4
        .size:           4
        .value_kind:     by_value
      - .offset:         8
        .size:           16
        .value_kind:     by_value
      - .actual_access:  read_only
        .address_space:  global
        .offset:         24
        .size:           8
        .value_kind:     global_buffer
      - .actual_access:  read_only
        .address_space:  global
        .offset:         32
        .size:           8
        .value_kind:     global_buffer
      - .actual_access:  read_only
        .address_space:  global
        .offset:         40
        .size:           8
        .value_kind:     global_buffer
      - .actual_access:  read_only
        .address_space:  global
        .offset:         48
        .size:           8
        .value_kind:     global_buffer
      - .offset:         56
        .size:           16
        .value_kind:     by_value
      - .address_space:  global
        .offset:         72
        .size:           8
        .value_kind:     global_buffer
      - .offset:         80
        .size:           4
        .value_kind:     by_value
      - .offset:         84
        .size:           1
        .value_kind:     by_value
    .group_segment_fixed_size: 2048
    .kernarg_segment_align: 8
    .kernarg_segment_size: 88
    .language:       OpenCL C
    .language_version:
      - 2
      - 0
    .max_flat_workgroup_size: 128
    .name:           _ZN9rocsparseL19gebsrmvn_2xn_kernelILj128ELj10ELj64E21rocsparse_complex_numIdEEEvi20rocsparse_direction_NS_24const_host_device_scalarIT2_EEPKiS8_PKS5_SA_S6_PS5_21rocsparse_index_base_b
    .private_segment_fixed_size: 0
    .sgpr_count:     20
    .sgpr_spill_count: 0
    .symbol:         _ZN9rocsparseL19gebsrmvn_2xn_kernelILj128ELj10ELj64E21rocsparse_complex_numIdEEEvi20rocsparse_direction_NS_24const_host_device_scalarIT2_EEPKiS8_PKS5_SA_S6_PS5_21rocsparse_index_base_b.kd
    .uniform_work_group_size: 1
    .uses_dynamic_stack: false
    .vgpr_count:     50
    .vgpr_spill_count: 0
    .wavefront_size: 32
    .workgroup_processor_mode: 1
  - .args:
      - .offset:         0
        .size:           4
        .value_kind:     by_value
      - .offset:         4
        .size:           4
        .value_kind:     by_value
      - .offset:         8
        .size:           16
        .value_kind:     by_value
      - .actual_access:  read_only
        .address_space:  global
        .offset:         24
        .size:           8
        .value_kind:     global_buffer
      - .actual_access:  read_only
        .address_space:  global
        .offset:         32
        .size:           8
        .value_kind:     global_buffer
      - .actual_access:  read_only
        .address_space:  global
        .offset:         40
        .size:           8
        .value_kind:     global_buffer
      - .actual_access:  read_only
        .address_space:  global
        .offset:         48
        .size:           8
        .value_kind:     global_buffer
      - .offset:         56
        .size:           16
        .value_kind:     by_value
      - .address_space:  global
        .offset:         72
        .size:           8
        .value_kind:     global_buffer
      - .offset:         80
        .size:           4
        .value_kind:     by_value
      - .offset:         84
        .size:           1
        .value_kind:     by_value
    .group_segment_fixed_size: 2048
    .kernarg_segment_align: 8
    .kernarg_segment_size: 88
    .language:       OpenCL C
    .language_version:
      - 2
      - 0
    .max_flat_workgroup_size: 128
    .name:           _ZN9rocsparseL19gebsrmvn_2xn_kernelILj128ELj11ELj4E21rocsparse_complex_numIdEEEvi20rocsparse_direction_NS_24const_host_device_scalarIT2_EEPKiS8_PKS5_SA_S6_PS5_21rocsparse_index_base_b
    .private_segment_fixed_size: 0
    .sgpr_count:     20
    .sgpr_spill_count: 0
    .symbol:         _ZN9rocsparseL19gebsrmvn_2xn_kernelILj128ELj11ELj4E21rocsparse_complex_numIdEEEvi20rocsparse_direction_NS_24const_host_device_scalarIT2_EEPKiS8_PKS5_SA_S6_PS5_21rocsparse_index_base_b.kd
    .uniform_work_group_size: 1
    .uses_dynamic_stack: false
    .vgpr_count:     64
    .vgpr_spill_count: 0
    .wavefront_size: 32
    .workgroup_processor_mode: 1
  - .args:
      - .offset:         0
        .size:           4
        .value_kind:     by_value
      - .offset:         4
        .size:           4
        .value_kind:     by_value
      - .offset:         8
        .size:           16
        .value_kind:     by_value
      - .actual_access:  read_only
        .address_space:  global
        .offset:         24
        .size:           8
        .value_kind:     global_buffer
      - .actual_access:  read_only
        .address_space:  global
        .offset:         32
        .size:           8
        .value_kind:     global_buffer
      - .actual_access:  read_only
        .address_space:  global
        .offset:         40
        .size:           8
        .value_kind:     global_buffer
      - .actual_access:  read_only
        .address_space:  global
        .offset:         48
        .size:           8
        .value_kind:     global_buffer
      - .offset:         56
        .size:           16
        .value_kind:     by_value
      - .address_space:  global
        .offset:         72
        .size:           8
        .value_kind:     global_buffer
      - .offset:         80
        .size:           4
        .value_kind:     by_value
      - .offset:         84
        .size:           1
        .value_kind:     by_value
    .group_segment_fixed_size: 2048
    .kernarg_segment_align: 8
    .kernarg_segment_size: 88
    .language:       OpenCL C
    .language_version:
      - 2
      - 0
    .max_flat_workgroup_size: 128
    .name:           _ZN9rocsparseL19gebsrmvn_2xn_kernelILj128ELj11ELj8E21rocsparse_complex_numIdEEEvi20rocsparse_direction_NS_24const_host_device_scalarIT2_EEPKiS8_PKS5_SA_S6_PS5_21rocsparse_index_base_b
    .private_segment_fixed_size: 0
    .sgpr_count:     20
    .sgpr_spill_count: 0
    .symbol:         _ZN9rocsparseL19gebsrmvn_2xn_kernelILj128ELj11ELj8E21rocsparse_complex_numIdEEEvi20rocsparse_direction_NS_24const_host_device_scalarIT2_EEPKiS8_PKS5_SA_S6_PS5_21rocsparse_index_base_b.kd
    .uniform_work_group_size: 1
    .uses_dynamic_stack: false
    .vgpr_count:     64
    .vgpr_spill_count: 0
    .wavefront_size: 32
    .workgroup_processor_mode: 1
  - .args:
      - .offset:         0
        .size:           4
        .value_kind:     by_value
      - .offset:         4
        .size:           4
        .value_kind:     by_value
      - .offset:         8
        .size:           16
        .value_kind:     by_value
      - .actual_access:  read_only
        .address_space:  global
        .offset:         24
        .size:           8
        .value_kind:     global_buffer
      - .actual_access:  read_only
        .address_space:  global
        .offset:         32
        .size:           8
        .value_kind:     global_buffer
      - .actual_access:  read_only
        .address_space:  global
        .offset:         40
        .size:           8
        .value_kind:     global_buffer
      - .actual_access:  read_only
        .address_space:  global
        .offset:         48
        .size:           8
        .value_kind:     global_buffer
      - .offset:         56
        .size:           16
        .value_kind:     by_value
      - .address_space:  global
        .offset:         72
        .size:           8
        .value_kind:     global_buffer
      - .offset:         80
        .size:           4
        .value_kind:     by_value
      - .offset:         84
        .size:           1
        .value_kind:     by_value
    .group_segment_fixed_size: 2048
    .kernarg_segment_align: 8
    .kernarg_segment_size: 88
    .language:       OpenCL C
    .language_version:
      - 2
      - 0
    .max_flat_workgroup_size: 128
    .name:           _ZN9rocsparseL19gebsrmvn_2xn_kernelILj128ELj11ELj16E21rocsparse_complex_numIdEEEvi20rocsparse_direction_NS_24const_host_device_scalarIT2_EEPKiS8_PKS5_SA_S6_PS5_21rocsparse_index_base_b
    .private_segment_fixed_size: 0
    .sgpr_count:     20
    .sgpr_spill_count: 0
    .symbol:         _ZN9rocsparseL19gebsrmvn_2xn_kernelILj128ELj11ELj16E21rocsparse_complex_numIdEEEvi20rocsparse_direction_NS_24const_host_device_scalarIT2_EEPKiS8_PKS5_SA_S6_PS5_21rocsparse_index_base_b.kd
    .uniform_work_group_size: 1
    .uses_dynamic_stack: false
    .vgpr_count:     64
    .vgpr_spill_count: 0
    .wavefront_size: 32
    .workgroup_processor_mode: 1
  - .args:
      - .offset:         0
        .size:           4
        .value_kind:     by_value
      - .offset:         4
        .size:           4
        .value_kind:     by_value
      - .offset:         8
        .size:           16
        .value_kind:     by_value
      - .actual_access:  read_only
        .address_space:  global
        .offset:         24
        .size:           8
        .value_kind:     global_buffer
      - .actual_access:  read_only
        .address_space:  global
        .offset:         32
        .size:           8
        .value_kind:     global_buffer
      - .actual_access:  read_only
        .address_space:  global
        .offset:         40
        .size:           8
        .value_kind:     global_buffer
      - .actual_access:  read_only
        .address_space:  global
        .offset:         48
        .size:           8
        .value_kind:     global_buffer
      - .offset:         56
        .size:           16
        .value_kind:     by_value
      - .address_space:  global
        .offset:         72
        .size:           8
        .value_kind:     global_buffer
      - .offset:         80
        .size:           4
        .value_kind:     by_value
      - .offset:         84
        .size:           1
        .value_kind:     by_value
    .group_segment_fixed_size: 2048
    .kernarg_segment_align: 8
    .kernarg_segment_size: 88
    .language:       OpenCL C
    .language_version:
      - 2
      - 0
    .max_flat_workgroup_size: 128
    .name:           _ZN9rocsparseL19gebsrmvn_2xn_kernelILj128ELj11ELj32E21rocsparse_complex_numIdEEEvi20rocsparse_direction_NS_24const_host_device_scalarIT2_EEPKiS8_PKS5_SA_S6_PS5_21rocsparse_index_base_b
    .private_segment_fixed_size: 0
    .sgpr_count:     20
    .sgpr_spill_count: 0
    .symbol:         _ZN9rocsparseL19gebsrmvn_2xn_kernelILj128ELj11ELj32E21rocsparse_complex_numIdEEEvi20rocsparse_direction_NS_24const_host_device_scalarIT2_EEPKiS8_PKS5_SA_S6_PS5_21rocsparse_index_base_b.kd
    .uniform_work_group_size: 1
    .uses_dynamic_stack: false
    .vgpr_count:     64
    .vgpr_spill_count: 0
    .wavefront_size: 32
    .workgroup_processor_mode: 1
  - .args:
      - .offset:         0
        .size:           4
        .value_kind:     by_value
      - .offset:         4
        .size:           4
        .value_kind:     by_value
      - .offset:         8
        .size:           16
        .value_kind:     by_value
      - .actual_access:  read_only
        .address_space:  global
        .offset:         24
        .size:           8
        .value_kind:     global_buffer
      - .actual_access:  read_only
        .address_space:  global
        .offset:         32
        .size:           8
        .value_kind:     global_buffer
      - .actual_access:  read_only
        .address_space:  global
        .offset:         40
        .size:           8
        .value_kind:     global_buffer
      - .actual_access:  read_only
        .address_space:  global
        .offset:         48
        .size:           8
        .value_kind:     global_buffer
      - .offset:         56
        .size:           16
        .value_kind:     by_value
      - .address_space:  global
        .offset:         72
        .size:           8
        .value_kind:     global_buffer
      - .offset:         80
        .size:           4
        .value_kind:     by_value
      - .offset:         84
        .size:           1
        .value_kind:     by_value
    .group_segment_fixed_size: 2048
    .kernarg_segment_align: 8
    .kernarg_segment_size: 88
    .language:       OpenCL C
    .language_version:
      - 2
      - 0
    .max_flat_workgroup_size: 128
    .name:           _ZN9rocsparseL19gebsrmvn_2xn_kernelILj128ELj11ELj64E21rocsparse_complex_numIdEEEvi20rocsparse_direction_NS_24const_host_device_scalarIT2_EEPKiS8_PKS5_SA_S6_PS5_21rocsparse_index_base_b
    .private_segment_fixed_size: 0
    .sgpr_count:     20
    .sgpr_spill_count: 0
    .symbol:         _ZN9rocsparseL19gebsrmvn_2xn_kernelILj128ELj11ELj64E21rocsparse_complex_numIdEEEvi20rocsparse_direction_NS_24const_host_device_scalarIT2_EEPKiS8_PKS5_SA_S6_PS5_21rocsparse_index_base_b.kd
    .uniform_work_group_size: 1
    .uses_dynamic_stack: false
    .vgpr_count:     64
    .vgpr_spill_count: 0
    .wavefront_size: 32
    .workgroup_processor_mode: 1
  - .args:
      - .offset:         0
        .size:           4
        .value_kind:     by_value
      - .offset:         4
        .size:           4
        .value_kind:     by_value
      - .offset:         8
        .size:           16
        .value_kind:     by_value
      - .actual_access:  read_only
        .address_space:  global
        .offset:         24
        .size:           8
        .value_kind:     global_buffer
      - .actual_access:  read_only
        .address_space:  global
        .offset:         32
        .size:           8
        .value_kind:     global_buffer
      - .actual_access:  read_only
        .address_space:  global
        .offset:         40
        .size:           8
        .value_kind:     global_buffer
      - .actual_access:  read_only
        .address_space:  global
        .offset:         48
        .size:           8
        .value_kind:     global_buffer
      - .offset:         56
        .size:           16
        .value_kind:     by_value
      - .address_space:  global
        .offset:         72
        .size:           8
        .value_kind:     global_buffer
      - .offset:         80
        .size:           4
        .value_kind:     by_value
      - .offset:         84
        .size:           1
        .value_kind:     by_value
    .group_segment_fixed_size: 2048
    .kernarg_segment_align: 8
    .kernarg_segment_size: 88
    .language:       OpenCL C
    .language_version:
      - 2
      - 0
    .max_flat_workgroup_size: 128
    .name:           _ZN9rocsparseL19gebsrmvn_2xn_kernelILj128ELj12ELj4E21rocsparse_complex_numIdEEEvi20rocsparse_direction_NS_24const_host_device_scalarIT2_EEPKiS8_PKS5_SA_S6_PS5_21rocsparse_index_base_b
    .private_segment_fixed_size: 0
    .sgpr_count:     20
    .sgpr_spill_count: 0
    .symbol:         _ZN9rocsparseL19gebsrmvn_2xn_kernelILj128ELj12ELj4E21rocsparse_complex_numIdEEEvi20rocsparse_direction_NS_24const_host_device_scalarIT2_EEPKiS8_PKS5_SA_S6_PS5_21rocsparse_index_base_b.kd
    .uniform_work_group_size: 1
    .uses_dynamic_stack: false
    .vgpr_count:     76
    .vgpr_spill_count: 0
    .wavefront_size: 32
    .workgroup_processor_mode: 1
  - .args:
      - .offset:         0
        .size:           4
        .value_kind:     by_value
      - .offset:         4
        .size:           4
        .value_kind:     by_value
      - .offset:         8
        .size:           16
        .value_kind:     by_value
      - .actual_access:  read_only
        .address_space:  global
        .offset:         24
        .size:           8
        .value_kind:     global_buffer
      - .actual_access:  read_only
        .address_space:  global
        .offset:         32
        .size:           8
        .value_kind:     global_buffer
      - .actual_access:  read_only
        .address_space:  global
        .offset:         40
        .size:           8
        .value_kind:     global_buffer
      - .actual_access:  read_only
        .address_space:  global
        .offset:         48
        .size:           8
        .value_kind:     global_buffer
      - .offset:         56
        .size:           16
        .value_kind:     by_value
      - .address_space:  global
        .offset:         72
        .size:           8
        .value_kind:     global_buffer
      - .offset:         80
        .size:           4
        .value_kind:     by_value
      - .offset:         84
        .size:           1
        .value_kind:     by_value
    .group_segment_fixed_size: 2048
    .kernarg_segment_align: 8
    .kernarg_segment_size: 88
    .language:       OpenCL C
    .language_version:
      - 2
      - 0
    .max_flat_workgroup_size: 128
    .name:           _ZN9rocsparseL19gebsrmvn_2xn_kernelILj128ELj12ELj8E21rocsparse_complex_numIdEEEvi20rocsparse_direction_NS_24const_host_device_scalarIT2_EEPKiS8_PKS5_SA_S6_PS5_21rocsparse_index_base_b
    .private_segment_fixed_size: 0
    .sgpr_count:     20
    .sgpr_spill_count: 0
    .symbol:         _ZN9rocsparseL19gebsrmvn_2xn_kernelILj128ELj12ELj8E21rocsparse_complex_numIdEEEvi20rocsparse_direction_NS_24const_host_device_scalarIT2_EEPKiS8_PKS5_SA_S6_PS5_21rocsparse_index_base_b.kd
    .uniform_work_group_size: 1
    .uses_dynamic_stack: false
    .vgpr_count:     76
    .vgpr_spill_count: 0
    .wavefront_size: 32
    .workgroup_processor_mode: 1
  - .args:
      - .offset:         0
        .size:           4
        .value_kind:     by_value
      - .offset:         4
        .size:           4
        .value_kind:     by_value
      - .offset:         8
        .size:           16
        .value_kind:     by_value
      - .actual_access:  read_only
        .address_space:  global
        .offset:         24
        .size:           8
        .value_kind:     global_buffer
      - .actual_access:  read_only
        .address_space:  global
        .offset:         32
        .size:           8
        .value_kind:     global_buffer
      - .actual_access:  read_only
        .address_space:  global
        .offset:         40
        .size:           8
        .value_kind:     global_buffer
      - .actual_access:  read_only
        .address_space:  global
        .offset:         48
        .size:           8
        .value_kind:     global_buffer
      - .offset:         56
        .size:           16
        .value_kind:     by_value
      - .address_space:  global
        .offset:         72
        .size:           8
        .value_kind:     global_buffer
      - .offset:         80
        .size:           4
        .value_kind:     by_value
      - .offset:         84
        .size:           1
        .value_kind:     by_value
    .group_segment_fixed_size: 2048
    .kernarg_segment_align: 8
    .kernarg_segment_size: 88
    .language:       OpenCL C
    .language_version:
      - 2
      - 0
    .max_flat_workgroup_size: 128
    .name:           _ZN9rocsparseL19gebsrmvn_2xn_kernelILj128ELj12ELj16E21rocsparse_complex_numIdEEEvi20rocsparse_direction_NS_24const_host_device_scalarIT2_EEPKiS8_PKS5_SA_S6_PS5_21rocsparse_index_base_b
    .private_segment_fixed_size: 0
    .sgpr_count:     20
    .sgpr_spill_count: 0
    .symbol:         _ZN9rocsparseL19gebsrmvn_2xn_kernelILj128ELj12ELj16E21rocsparse_complex_numIdEEEvi20rocsparse_direction_NS_24const_host_device_scalarIT2_EEPKiS8_PKS5_SA_S6_PS5_21rocsparse_index_base_b.kd
    .uniform_work_group_size: 1
    .uses_dynamic_stack: false
    .vgpr_count:     76
    .vgpr_spill_count: 0
    .wavefront_size: 32
    .workgroup_processor_mode: 1
  - .args:
      - .offset:         0
        .size:           4
        .value_kind:     by_value
      - .offset:         4
        .size:           4
        .value_kind:     by_value
      - .offset:         8
        .size:           16
        .value_kind:     by_value
      - .actual_access:  read_only
        .address_space:  global
        .offset:         24
        .size:           8
        .value_kind:     global_buffer
      - .actual_access:  read_only
        .address_space:  global
        .offset:         32
        .size:           8
        .value_kind:     global_buffer
      - .actual_access:  read_only
        .address_space:  global
        .offset:         40
        .size:           8
        .value_kind:     global_buffer
      - .actual_access:  read_only
        .address_space:  global
        .offset:         48
        .size:           8
        .value_kind:     global_buffer
      - .offset:         56
        .size:           16
        .value_kind:     by_value
      - .address_space:  global
        .offset:         72
        .size:           8
        .value_kind:     global_buffer
      - .offset:         80
        .size:           4
        .value_kind:     by_value
      - .offset:         84
        .size:           1
        .value_kind:     by_value
    .group_segment_fixed_size: 2048
    .kernarg_segment_align: 8
    .kernarg_segment_size: 88
    .language:       OpenCL C
    .language_version:
      - 2
      - 0
    .max_flat_workgroup_size: 128
    .name:           _ZN9rocsparseL19gebsrmvn_2xn_kernelILj128ELj12ELj32E21rocsparse_complex_numIdEEEvi20rocsparse_direction_NS_24const_host_device_scalarIT2_EEPKiS8_PKS5_SA_S6_PS5_21rocsparse_index_base_b
    .private_segment_fixed_size: 0
    .sgpr_count:     20
    .sgpr_spill_count: 0
    .symbol:         _ZN9rocsparseL19gebsrmvn_2xn_kernelILj128ELj12ELj32E21rocsparse_complex_numIdEEEvi20rocsparse_direction_NS_24const_host_device_scalarIT2_EEPKiS8_PKS5_SA_S6_PS5_21rocsparse_index_base_b.kd
    .uniform_work_group_size: 1
    .uses_dynamic_stack: false
    .vgpr_count:     76
    .vgpr_spill_count: 0
    .wavefront_size: 32
    .workgroup_processor_mode: 1
  - .args:
      - .offset:         0
        .size:           4
        .value_kind:     by_value
      - .offset:         4
        .size:           4
        .value_kind:     by_value
      - .offset:         8
        .size:           16
        .value_kind:     by_value
      - .actual_access:  read_only
        .address_space:  global
        .offset:         24
        .size:           8
        .value_kind:     global_buffer
      - .actual_access:  read_only
        .address_space:  global
        .offset:         32
        .size:           8
        .value_kind:     global_buffer
      - .actual_access:  read_only
        .address_space:  global
        .offset:         40
        .size:           8
        .value_kind:     global_buffer
      - .actual_access:  read_only
        .address_space:  global
        .offset:         48
        .size:           8
        .value_kind:     global_buffer
      - .offset:         56
        .size:           16
        .value_kind:     by_value
      - .address_space:  global
        .offset:         72
        .size:           8
        .value_kind:     global_buffer
      - .offset:         80
        .size:           4
        .value_kind:     by_value
      - .offset:         84
        .size:           1
        .value_kind:     by_value
    .group_segment_fixed_size: 2048
    .kernarg_segment_align: 8
    .kernarg_segment_size: 88
    .language:       OpenCL C
    .language_version:
      - 2
      - 0
    .max_flat_workgroup_size: 128
    .name:           _ZN9rocsparseL19gebsrmvn_2xn_kernelILj128ELj12ELj64E21rocsparse_complex_numIdEEEvi20rocsparse_direction_NS_24const_host_device_scalarIT2_EEPKiS8_PKS5_SA_S6_PS5_21rocsparse_index_base_b
    .private_segment_fixed_size: 0
    .sgpr_count:     20
    .sgpr_spill_count: 0
    .symbol:         _ZN9rocsparseL19gebsrmvn_2xn_kernelILj128ELj12ELj64E21rocsparse_complex_numIdEEEvi20rocsparse_direction_NS_24const_host_device_scalarIT2_EEPKiS8_PKS5_SA_S6_PS5_21rocsparse_index_base_b.kd
    .uniform_work_group_size: 1
    .uses_dynamic_stack: false
    .vgpr_count:     76
    .vgpr_spill_count: 0
    .wavefront_size: 32
    .workgroup_processor_mode: 1
  - .args:
      - .offset:         0
        .size:           4
        .value_kind:     by_value
      - .offset:         4
        .size:           4
        .value_kind:     by_value
      - .offset:         8
        .size:           16
        .value_kind:     by_value
      - .actual_access:  read_only
        .address_space:  global
        .offset:         24
        .size:           8
        .value_kind:     global_buffer
      - .actual_access:  read_only
        .address_space:  global
        .offset:         32
        .size:           8
        .value_kind:     global_buffer
      - .actual_access:  read_only
        .address_space:  global
        .offset:         40
        .size:           8
        .value_kind:     global_buffer
      - .actual_access:  read_only
        .address_space:  global
        .offset:         48
        .size:           8
        .value_kind:     global_buffer
      - .offset:         56
        .size:           16
        .value_kind:     by_value
      - .address_space:  global
        .offset:         72
        .size:           8
        .value_kind:     global_buffer
      - .offset:         80
        .size:           4
        .value_kind:     by_value
      - .offset:         84
        .size:           1
        .value_kind:     by_value
    .group_segment_fixed_size: 2048
    .kernarg_segment_align: 8
    .kernarg_segment_size: 88
    .language:       OpenCL C
    .language_version:
      - 2
      - 0
    .max_flat_workgroup_size: 128
    .name:           _ZN9rocsparseL19gebsrmvn_2xn_kernelILj128ELj13ELj4E21rocsparse_complex_numIdEEEvi20rocsparse_direction_NS_24const_host_device_scalarIT2_EEPKiS8_PKS5_SA_S6_PS5_21rocsparse_index_base_b
    .private_segment_fixed_size: 0
    .sgpr_count:     20
    .sgpr_spill_count: 0
    .symbol:         _ZN9rocsparseL19gebsrmvn_2xn_kernelILj128ELj13ELj4E21rocsparse_complex_numIdEEEvi20rocsparse_direction_NS_24const_host_device_scalarIT2_EEPKiS8_PKS5_SA_S6_PS5_21rocsparse_index_base_b.kd
    .uniform_work_group_size: 1
    .uses_dynamic_stack: false
    .vgpr_count:     70
    .vgpr_spill_count: 0
    .wavefront_size: 32
    .workgroup_processor_mode: 1
  - .args:
      - .offset:         0
        .size:           4
        .value_kind:     by_value
      - .offset:         4
        .size:           4
        .value_kind:     by_value
      - .offset:         8
        .size:           16
        .value_kind:     by_value
      - .actual_access:  read_only
        .address_space:  global
        .offset:         24
        .size:           8
        .value_kind:     global_buffer
      - .actual_access:  read_only
        .address_space:  global
        .offset:         32
        .size:           8
        .value_kind:     global_buffer
      - .actual_access:  read_only
        .address_space:  global
        .offset:         40
        .size:           8
        .value_kind:     global_buffer
      - .actual_access:  read_only
        .address_space:  global
        .offset:         48
        .size:           8
        .value_kind:     global_buffer
      - .offset:         56
        .size:           16
        .value_kind:     by_value
      - .address_space:  global
        .offset:         72
        .size:           8
        .value_kind:     global_buffer
      - .offset:         80
        .size:           4
        .value_kind:     by_value
      - .offset:         84
        .size:           1
        .value_kind:     by_value
    .group_segment_fixed_size: 2048
    .kernarg_segment_align: 8
    .kernarg_segment_size: 88
    .language:       OpenCL C
    .language_version:
      - 2
      - 0
    .max_flat_workgroup_size: 128
    .name:           _ZN9rocsparseL19gebsrmvn_2xn_kernelILj128ELj13ELj8E21rocsparse_complex_numIdEEEvi20rocsparse_direction_NS_24const_host_device_scalarIT2_EEPKiS8_PKS5_SA_S6_PS5_21rocsparse_index_base_b
    .private_segment_fixed_size: 0
    .sgpr_count:     20
    .sgpr_spill_count: 0
    .symbol:         _ZN9rocsparseL19gebsrmvn_2xn_kernelILj128ELj13ELj8E21rocsparse_complex_numIdEEEvi20rocsparse_direction_NS_24const_host_device_scalarIT2_EEPKiS8_PKS5_SA_S6_PS5_21rocsparse_index_base_b.kd
    .uniform_work_group_size: 1
    .uses_dynamic_stack: false
    .vgpr_count:     70
    .vgpr_spill_count: 0
    .wavefront_size: 32
    .workgroup_processor_mode: 1
  - .args:
      - .offset:         0
        .size:           4
        .value_kind:     by_value
      - .offset:         4
        .size:           4
        .value_kind:     by_value
      - .offset:         8
        .size:           16
        .value_kind:     by_value
      - .actual_access:  read_only
        .address_space:  global
        .offset:         24
        .size:           8
        .value_kind:     global_buffer
      - .actual_access:  read_only
        .address_space:  global
        .offset:         32
        .size:           8
        .value_kind:     global_buffer
      - .actual_access:  read_only
        .address_space:  global
        .offset:         40
        .size:           8
        .value_kind:     global_buffer
      - .actual_access:  read_only
        .address_space:  global
        .offset:         48
        .size:           8
        .value_kind:     global_buffer
      - .offset:         56
        .size:           16
        .value_kind:     by_value
      - .address_space:  global
        .offset:         72
        .size:           8
        .value_kind:     global_buffer
      - .offset:         80
        .size:           4
        .value_kind:     by_value
      - .offset:         84
        .size:           1
        .value_kind:     by_value
    .group_segment_fixed_size: 2048
    .kernarg_segment_align: 8
    .kernarg_segment_size: 88
    .language:       OpenCL C
    .language_version:
      - 2
      - 0
    .max_flat_workgroup_size: 128
    .name:           _ZN9rocsparseL19gebsrmvn_2xn_kernelILj128ELj13ELj16E21rocsparse_complex_numIdEEEvi20rocsparse_direction_NS_24const_host_device_scalarIT2_EEPKiS8_PKS5_SA_S6_PS5_21rocsparse_index_base_b
    .private_segment_fixed_size: 0
    .sgpr_count:     20
    .sgpr_spill_count: 0
    .symbol:         _ZN9rocsparseL19gebsrmvn_2xn_kernelILj128ELj13ELj16E21rocsparse_complex_numIdEEEvi20rocsparse_direction_NS_24const_host_device_scalarIT2_EEPKiS8_PKS5_SA_S6_PS5_21rocsparse_index_base_b.kd
    .uniform_work_group_size: 1
    .uses_dynamic_stack: false
    .vgpr_count:     70
    .vgpr_spill_count: 0
    .wavefront_size: 32
    .workgroup_processor_mode: 1
  - .args:
      - .offset:         0
        .size:           4
        .value_kind:     by_value
      - .offset:         4
        .size:           4
        .value_kind:     by_value
      - .offset:         8
        .size:           16
        .value_kind:     by_value
      - .actual_access:  read_only
        .address_space:  global
        .offset:         24
        .size:           8
        .value_kind:     global_buffer
      - .actual_access:  read_only
        .address_space:  global
        .offset:         32
        .size:           8
        .value_kind:     global_buffer
      - .actual_access:  read_only
        .address_space:  global
        .offset:         40
        .size:           8
        .value_kind:     global_buffer
      - .actual_access:  read_only
        .address_space:  global
        .offset:         48
        .size:           8
        .value_kind:     global_buffer
      - .offset:         56
        .size:           16
        .value_kind:     by_value
      - .address_space:  global
        .offset:         72
        .size:           8
        .value_kind:     global_buffer
      - .offset:         80
        .size:           4
        .value_kind:     by_value
      - .offset:         84
        .size:           1
        .value_kind:     by_value
    .group_segment_fixed_size: 2048
    .kernarg_segment_align: 8
    .kernarg_segment_size: 88
    .language:       OpenCL C
    .language_version:
      - 2
      - 0
    .max_flat_workgroup_size: 128
    .name:           _ZN9rocsparseL19gebsrmvn_2xn_kernelILj128ELj13ELj32E21rocsparse_complex_numIdEEEvi20rocsparse_direction_NS_24const_host_device_scalarIT2_EEPKiS8_PKS5_SA_S6_PS5_21rocsparse_index_base_b
    .private_segment_fixed_size: 0
    .sgpr_count:     20
    .sgpr_spill_count: 0
    .symbol:         _ZN9rocsparseL19gebsrmvn_2xn_kernelILj128ELj13ELj32E21rocsparse_complex_numIdEEEvi20rocsparse_direction_NS_24const_host_device_scalarIT2_EEPKiS8_PKS5_SA_S6_PS5_21rocsparse_index_base_b.kd
    .uniform_work_group_size: 1
    .uses_dynamic_stack: false
    .vgpr_count:     70
    .vgpr_spill_count: 0
    .wavefront_size: 32
    .workgroup_processor_mode: 1
  - .args:
      - .offset:         0
        .size:           4
        .value_kind:     by_value
      - .offset:         4
        .size:           4
        .value_kind:     by_value
      - .offset:         8
        .size:           16
        .value_kind:     by_value
      - .actual_access:  read_only
        .address_space:  global
        .offset:         24
        .size:           8
        .value_kind:     global_buffer
      - .actual_access:  read_only
        .address_space:  global
        .offset:         32
        .size:           8
        .value_kind:     global_buffer
      - .actual_access:  read_only
        .address_space:  global
        .offset:         40
        .size:           8
        .value_kind:     global_buffer
      - .actual_access:  read_only
        .address_space:  global
        .offset:         48
        .size:           8
        .value_kind:     global_buffer
      - .offset:         56
        .size:           16
        .value_kind:     by_value
      - .address_space:  global
        .offset:         72
        .size:           8
        .value_kind:     global_buffer
      - .offset:         80
        .size:           4
        .value_kind:     by_value
      - .offset:         84
        .size:           1
        .value_kind:     by_value
    .group_segment_fixed_size: 2048
    .kernarg_segment_align: 8
    .kernarg_segment_size: 88
    .language:       OpenCL C
    .language_version:
      - 2
      - 0
    .max_flat_workgroup_size: 128
    .name:           _ZN9rocsparseL19gebsrmvn_2xn_kernelILj128ELj13ELj64E21rocsparse_complex_numIdEEEvi20rocsparse_direction_NS_24const_host_device_scalarIT2_EEPKiS8_PKS5_SA_S6_PS5_21rocsparse_index_base_b
    .private_segment_fixed_size: 0
    .sgpr_count:     20
    .sgpr_spill_count: 0
    .symbol:         _ZN9rocsparseL19gebsrmvn_2xn_kernelILj128ELj13ELj64E21rocsparse_complex_numIdEEEvi20rocsparse_direction_NS_24const_host_device_scalarIT2_EEPKiS8_PKS5_SA_S6_PS5_21rocsparse_index_base_b.kd
    .uniform_work_group_size: 1
    .uses_dynamic_stack: false
    .vgpr_count:     70
    .vgpr_spill_count: 0
    .wavefront_size: 32
    .workgroup_processor_mode: 1
  - .args:
      - .offset:         0
        .size:           4
        .value_kind:     by_value
      - .offset:         4
        .size:           4
        .value_kind:     by_value
      - .offset:         8
        .size:           16
        .value_kind:     by_value
      - .actual_access:  read_only
        .address_space:  global
        .offset:         24
        .size:           8
        .value_kind:     global_buffer
      - .actual_access:  read_only
        .address_space:  global
        .offset:         32
        .size:           8
        .value_kind:     global_buffer
      - .actual_access:  read_only
        .address_space:  global
        .offset:         40
        .size:           8
        .value_kind:     global_buffer
      - .actual_access:  read_only
        .address_space:  global
        .offset:         48
        .size:           8
        .value_kind:     global_buffer
      - .offset:         56
        .size:           16
        .value_kind:     by_value
      - .address_space:  global
        .offset:         72
        .size:           8
        .value_kind:     global_buffer
      - .offset:         80
        .size:           4
        .value_kind:     by_value
      - .offset:         84
        .size:           1
        .value_kind:     by_value
    .group_segment_fixed_size: 2048
    .kernarg_segment_align: 8
    .kernarg_segment_size: 88
    .language:       OpenCL C
    .language_version:
      - 2
      - 0
    .max_flat_workgroup_size: 128
    .name:           _ZN9rocsparseL19gebsrmvn_2xn_kernelILj128ELj14ELj4E21rocsparse_complex_numIdEEEvi20rocsparse_direction_NS_24const_host_device_scalarIT2_EEPKiS8_PKS5_SA_S6_PS5_21rocsparse_index_base_b
    .private_segment_fixed_size: 0
    .sgpr_count:     20
    .sgpr_spill_count: 0
    .symbol:         _ZN9rocsparseL19gebsrmvn_2xn_kernelILj128ELj14ELj4E21rocsparse_complex_numIdEEEvi20rocsparse_direction_NS_24const_host_device_scalarIT2_EEPKiS8_PKS5_SA_S6_PS5_21rocsparse_index_base_b.kd
    .uniform_work_group_size: 1
    .uses_dynamic_stack: false
    .vgpr_count:     50
    .vgpr_spill_count: 0
    .wavefront_size: 32
    .workgroup_processor_mode: 1
  - .args:
      - .offset:         0
        .size:           4
        .value_kind:     by_value
      - .offset:         4
        .size:           4
        .value_kind:     by_value
      - .offset:         8
        .size:           16
        .value_kind:     by_value
      - .actual_access:  read_only
        .address_space:  global
        .offset:         24
        .size:           8
        .value_kind:     global_buffer
      - .actual_access:  read_only
        .address_space:  global
        .offset:         32
        .size:           8
        .value_kind:     global_buffer
      - .actual_access:  read_only
        .address_space:  global
        .offset:         40
        .size:           8
        .value_kind:     global_buffer
      - .actual_access:  read_only
        .address_space:  global
        .offset:         48
        .size:           8
        .value_kind:     global_buffer
      - .offset:         56
        .size:           16
        .value_kind:     by_value
      - .address_space:  global
        .offset:         72
        .size:           8
        .value_kind:     global_buffer
      - .offset:         80
        .size:           4
        .value_kind:     by_value
      - .offset:         84
        .size:           1
        .value_kind:     by_value
    .group_segment_fixed_size: 2048
    .kernarg_segment_align: 8
    .kernarg_segment_size: 88
    .language:       OpenCL C
    .language_version:
      - 2
      - 0
    .max_flat_workgroup_size: 128
    .name:           _ZN9rocsparseL19gebsrmvn_2xn_kernelILj128ELj14ELj8E21rocsparse_complex_numIdEEEvi20rocsparse_direction_NS_24const_host_device_scalarIT2_EEPKiS8_PKS5_SA_S6_PS5_21rocsparse_index_base_b
    .private_segment_fixed_size: 0
    .sgpr_count:     20
    .sgpr_spill_count: 0
    .symbol:         _ZN9rocsparseL19gebsrmvn_2xn_kernelILj128ELj14ELj8E21rocsparse_complex_numIdEEEvi20rocsparse_direction_NS_24const_host_device_scalarIT2_EEPKiS8_PKS5_SA_S6_PS5_21rocsparse_index_base_b.kd
    .uniform_work_group_size: 1
    .uses_dynamic_stack: false
    .vgpr_count:     50
    .vgpr_spill_count: 0
    .wavefront_size: 32
    .workgroup_processor_mode: 1
  - .args:
      - .offset:         0
        .size:           4
        .value_kind:     by_value
      - .offset:         4
        .size:           4
        .value_kind:     by_value
      - .offset:         8
        .size:           16
        .value_kind:     by_value
      - .actual_access:  read_only
        .address_space:  global
        .offset:         24
        .size:           8
        .value_kind:     global_buffer
      - .actual_access:  read_only
        .address_space:  global
        .offset:         32
        .size:           8
        .value_kind:     global_buffer
      - .actual_access:  read_only
        .address_space:  global
        .offset:         40
        .size:           8
        .value_kind:     global_buffer
      - .actual_access:  read_only
        .address_space:  global
        .offset:         48
        .size:           8
        .value_kind:     global_buffer
      - .offset:         56
        .size:           16
        .value_kind:     by_value
      - .address_space:  global
        .offset:         72
        .size:           8
        .value_kind:     global_buffer
      - .offset:         80
        .size:           4
        .value_kind:     by_value
      - .offset:         84
        .size:           1
        .value_kind:     by_value
    .group_segment_fixed_size: 2048
    .kernarg_segment_align: 8
    .kernarg_segment_size: 88
    .language:       OpenCL C
    .language_version:
      - 2
      - 0
    .max_flat_workgroup_size: 128
    .name:           _ZN9rocsparseL19gebsrmvn_2xn_kernelILj128ELj14ELj16E21rocsparse_complex_numIdEEEvi20rocsparse_direction_NS_24const_host_device_scalarIT2_EEPKiS8_PKS5_SA_S6_PS5_21rocsparse_index_base_b
    .private_segment_fixed_size: 0
    .sgpr_count:     20
    .sgpr_spill_count: 0
    .symbol:         _ZN9rocsparseL19gebsrmvn_2xn_kernelILj128ELj14ELj16E21rocsparse_complex_numIdEEEvi20rocsparse_direction_NS_24const_host_device_scalarIT2_EEPKiS8_PKS5_SA_S6_PS5_21rocsparse_index_base_b.kd
    .uniform_work_group_size: 1
    .uses_dynamic_stack: false
    .vgpr_count:     50
    .vgpr_spill_count: 0
    .wavefront_size: 32
    .workgroup_processor_mode: 1
  - .args:
      - .offset:         0
        .size:           4
        .value_kind:     by_value
      - .offset:         4
        .size:           4
        .value_kind:     by_value
      - .offset:         8
        .size:           16
        .value_kind:     by_value
      - .actual_access:  read_only
        .address_space:  global
        .offset:         24
        .size:           8
        .value_kind:     global_buffer
      - .actual_access:  read_only
        .address_space:  global
        .offset:         32
        .size:           8
        .value_kind:     global_buffer
      - .actual_access:  read_only
        .address_space:  global
        .offset:         40
        .size:           8
        .value_kind:     global_buffer
      - .actual_access:  read_only
        .address_space:  global
        .offset:         48
        .size:           8
        .value_kind:     global_buffer
      - .offset:         56
        .size:           16
        .value_kind:     by_value
      - .address_space:  global
        .offset:         72
        .size:           8
        .value_kind:     global_buffer
      - .offset:         80
        .size:           4
        .value_kind:     by_value
      - .offset:         84
        .size:           1
        .value_kind:     by_value
    .group_segment_fixed_size: 2048
    .kernarg_segment_align: 8
    .kernarg_segment_size: 88
    .language:       OpenCL C
    .language_version:
      - 2
      - 0
    .max_flat_workgroup_size: 128
    .name:           _ZN9rocsparseL19gebsrmvn_2xn_kernelILj128ELj14ELj32E21rocsparse_complex_numIdEEEvi20rocsparse_direction_NS_24const_host_device_scalarIT2_EEPKiS8_PKS5_SA_S6_PS5_21rocsparse_index_base_b
    .private_segment_fixed_size: 0
    .sgpr_count:     20
    .sgpr_spill_count: 0
    .symbol:         _ZN9rocsparseL19gebsrmvn_2xn_kernelILj128ELj14ELj32E21rocsparse_complex_numIdEEEvi20rocsparse_direction_NS_24const_host_device_scalarIT2_EEPKiS8_PKS5_SA_S6_PS5_21rocsparse_index_base_b.kd
    .uniform_work_group_size: 1
    .uses_dynamic_stack: false
    .vgpr_count:     50
    .vgpr_spill_count: 0
    .wavefront_size: 32
    .workgroup_processor_mode: 1
  - .args:
      - .offset:         0
        .size:           4
        .value_kind:     by_value
      - .offset:         4
        .size:           4
        .value_kind:     by_value
      - .offset:         8
        .size:           16
        .value_kind:     by_value
      - .actual_access:  read_only
        .address_space:  global
        .offset:         24
        .size:           8
        .value_kind:     global_buffer
      - .actual_access:  read_only
        .address_space:  global
        .offset:         32
        .size:           8
        .value_kind:     global_buffer
      - .actual_access:  read_only
        .address_space:  global
        .offset:         40
        .size:           8
        .value_kind:     global_buffer
      - .actual_access:  read_only
        .address_space:  global
        .offset:         48
        .size:           8
        .value_kind:     global_buffer
      - .offset:         56
        .size:           16
        .value_kind:     by_value
      - .address_space:  global
        .offset:         72
        .size:           8
        .value_kind:     global_buffer
      - .offset:         80
        .size:           4
        .value_kind:     by_value
      - .offset:         84
        .size:           1
        .value_kind:     by_value
    .group_segment_fixed_size: 2048
    .kernarg_segment_align: 8
    .kernarg_segment_size: 88
    .language:       OpenCL C
    .language_version:
      - 2
      - 0
    .max_flat_workgroup_size: 128
    .name:           _ZN9rocsparseL19gebsrmvn_2xn_kernelILj128ELj14ELj64E21rocsparse_complex_numIdEEEvi20rocsparse_direction_NS_24const_host_device_scalarIT2_EEPKiS8_PKS5_SA_S6_PS5_21rocsparse_index_base_b
    .private_segment_fixed_size: 0
    .sgpr_count:     20
    .sgpr_spill_count: 0
    .symbol:         _ZN9rocsparseL19gebsrmvn_2xn_kernelILj128ELj14ELj64E21rocsparse_complex_numIdEEEvi20rocsparse_direction_NS_24const_host_device_scalarIT2_EEPKiS8_PKS5_SA_S6_PS5_21rocsparse_index_base_b.kd
    .uniform_work_group_size: 1
    .uses_dynamic_stack: false
    .vgpr_count:     50
    .vgpr_spill_count: 0
    .wavefront_size: 32
    .workgroup_processor_mode: 1
  - .args:
      - .offset:         0
        .size:           4
        .value_kind:     by_value
      - .offset:         4
        .size:           4
        .value_kind:     by_value
      - .offset:         8
        .size:           16
        .value_kind:     by_value
      - .actual_access:  read_only
        .address_space:  global
        .offset:         24
        .size:           8
        .value_kind:     global_buffer
      - .actual_access:  read_only
        .address_space:  global
        .offset:         32
        .size:           8
        .value_kind:     global_buffer
      - .actual_access:  read_only
        .address_space:  global
        .offset:         40
        .size:           8
        .value_kind:     global_buffer
      - .actual_access:  read_only
        .address_space:  global
        .offset:         48
        .size:           8
        .value_kind:     global_buffer
      - .offset:         56
        .size:           16
        .value_kind:     by_value
      - .address_space:  global
        .offset:         72
        .size:           8
        .value_kind:     global_buffer
      - .offset:         80
        .size:           4
        .value_kind:     by_value
      - .offset:         84
        .size:           1
        .value_kind:     by_value
    .group_segment_fixed_size: 2048
    .kernarg_segment_align: 8
    .kernarg_segment_size: 88
    .language:       OpenCL C
    .language_version:
      - 2
      - 0
    .max_flat_workgroup_size: 128
    .name:           _ZN9rocsparseL19gebsrmvn_2xn_kernelILj128ELj15ELj4E21rocsparse_complex_numIdEEEvi20rocsparse_direction_NS_24const_host_device_scalarIT2_EEPKiS8_PKS5_SA_S6_PS5_21rocsparse_index_base_b
    .private_segment_fixed_size: 0
    .sgpr_count:     20
    .sgpr_spill_count: 0
    .symbol:         _ZN9rocsparseL19gebsrmvn_2xn_kernelILj128ELj15ELj4E21rocsparse_complex_numIdEEEvi20rocsparse_direction_NS_24const_host_device_scalarIT2_EEPKiS8_PKS5_SA_S6_PS5_21rocsparse_index_base_b.kd
    .uniform_work_group_size: 1
    .uses_dynamic_stack: false
    .vgpr_count:     62
    .vgpr_spill_count: 0
    .wavefront_size: 32
    .workgroup_processor_mode: 1
  - .args:
      - .offset:         0
        .size:           4
        .value_kind:     by_value
      - .offset:         4
        .size:           4
        .value_kind:     by_value
      - .offset:         8
        .size:           16
        .value_kind:     by_value
      - .actual_access:  read_only
        .address_space:  global
        .offset:         24
        .size:           8
        .value_kind:     global_buffer
      - .actual_access:  read_only
        .address_space:  global
        .offset:         32
        .size:           8
        .value_kind:     global_buffer
      - .actual_access:  read_only
        .address_space:  global
        .offset:         40
        .size:           8
        .value_kind:     global_buffer
      - .actual_access:  read_only
        .address_space:  global
        .offset:         48
        .size:           8
        .value_kind:     global_buffer
      - .offset:         56
        .size:           16
        .value_kind:     by_value
      - .address_space:  global
        .offset:         72
        .size:           8
        .value_kind:     global_buffer
      - .offset:         80
        .size:           4
        .value_kind:     by_value
      - .offset:         84
        .size:           1
        .value_kind:     by_value
    .group_segment_fixed_size: 2048
    .kernarg_segment_align: 8
    .kernarg_segment_size: 88
    .language:       OpenCL C
    .language_version:
      - 2
      - 0
    .max_flat_workgroup_size: 128
    .name:           _ZN9rocsparseL19gebsrmvn_2xn_kernelILj128ELj15ELj8E21rocsparse_complex_numIdEEEvi20rocsparse_direction_NS_24const_host_device_scalarIT2_EEPKiS8_PKS5_SA_S6_PS5_21rocsparse_index_base_b
    .private_segment_fixed_size: 0
    .sgpr_count:     20
    .sgpr_spill_count: 0
    .symbol:         _ZN9rocsparseL19gebsrmvn_2xn_kernelILj128ELj15ELj8E21rocsparse_complex_numIdEEEvi20rocsparse_direction_NS_24const_host_device_scalarIT2_EEPKiS8_PKS5_SA_S6_PS5_21rocsparse_index_base_b.kd
    .uniform_work_group_size: 1
    .uses_dynamic_stack: false
    .vgpr_count:     62
    .vgpr_spill_count: 0
    .wavefront_size: 32
    .workgroup_processor_mode: 1
  - .args:
      - .offset:         0
        .size:           4
        .value_kind:     by_value
      - .offset:         4
        .size:           4
        .value_kind:     by_value
      - .offset:         8
        .size:           16
        .value_kind:     by_value
      - .actual_access:  read_only
        .address_space:  global
        .offset:         24
        .size:           8
        .value_kind:     global_buffer
      - .actual_access:  read_only
        .address_space:  global
        .offset:         32
        .size:           8
        .value_kind:     global_buffer
      - .actual_access:  read_only
        .address_space:  global
        .offset:         40
        .size:           8
        .value_kind:     global_buffer
      - .actual_access:  read_only
        .address_space:  global
        .offset:         48
        .size:           8
        .value_kind:     global_buffer
      - .offset:         56
        .size:           16
        .value_kind:     by_value
      - .address_space:  global
        .offset:         72
        .size:           8
        .value_kind:     global_buffer
      - .offset:         80
        .size:           4
        .value_kind:     by_value
      - .offset:         84
        .size:           1
        .value_kind:     by_value
    .group_segment_fixed_size: 2048
    .kernarg_segment_align: 8
    .kernarg_segment_size: 88
    .language:       OpenCL C
    .language_version:
      - 2
      - 0
    .max_flat_workgroup_size: 128
    .name:           _ZN9rocsparseL19gebsrmvn_2xn_kernelILj128ELj15ELj16E21rocsparse_complex_numIdEEEvi20rocsparse_direction_NS_24const_host_device_scalarIT2_EEPKiS8_PKS5_SA_S6_PS5_21rocsparse_index_base_b
    .private_segment_fixed_size: 0
    .sgpr_count:     20
    .sgpr_spill_count: 0
    .symbol:         _ZN9rocsparseL19gebsrmvn_2xn_kernelILj128ELj15ELj16E21rocsparse_complex_numIdEEEvi20rocsparse_direction_NS_24const_host_device_scalarIT2_EEPKiS8_PKS5_SA_S6_PS5_21rocsparse_index_base_b.kd
    .uniform_work_group_size: 1
    .uses_dynamic_stack: false
    .vgpr_count:     62
    .vgpr_spill_count: 0
    .wavefront_size: 32
    .workgroup_processor_mode: 1
  - .args:
      - .offset:         0
        .size:           4
        .value_kind:     by_value
      - .offset:         4
        .size:           4
        .value_kind:     by_value
      - .offset:         8
        .size:           16
        .value_kind:     by_value
      - .actual_access:  read_only
        .address_space:  global
        .offset:         24
        .size:           8
        .value_kind:     global_buffer
      - .actual_access:  read_only
        .address_space:  global
        .offset:         32
        .size:           8
        .value_kind:     global_buffer
      - .actual_access:  read_only
        .address_space:  global
        .offset:         40
        .size:           8
        .value_kind:     global_buffer
      - .actual_access:  read_only
        .address_space:  global
        .offset:         48
        .size:           8
        .value_kind:     global_buffer
      - .offset:         56
        .size:           16
        .value_kind:     by_value
      - .address_space:  global
        .offset:         72
        .size:           8
        .value_kind:     global_buffer
      - .offset:         80
        .size:           4
        .value_kind:     by_value
      - .offset:         84
        .size:           1
        .value_kind:     by_value
    .group_segment_fixed_size: 2048
    .kernarg_segment_align: 8
    .kernarg_segment_size: 88
    .language:       OpenCL C
    .language_version:
      - 2
      - 0
    .max_flat_workgroup_size: 128
    .name:           _ZN9rocsparseL19gebsrmvn_2xn_kernelILj128ELj15ELj32E21rocsparse_complex_numIdEEEvi20rocsparse_direction_NS_24const_host_device_scalarIT2_EEPKiS8_PKS5_SA_S6_PS5_21rocsparse_index_base_b
    .private_segment_fixed_size: 0
    .sgpr_count:     20
    .sgpr_spill_count: 0
    .symbol:         _ZN9rocsparseL19gebsrmvn_2xn_kernelILj128ELj15ELj32E21rocsparse_complex_numIdEEEvi20rocsparse_direction_NS_24const_host_device_scalarIT2_EEPKiS8_PKS5_SA_S6_PS5_21rocsparse_index_base_b.kd
    .uniform_work_group_size: 1
    .uses_dynamic_stack: false
    .vgpr_count:     62
    .vgpr_spill_count: 0
    .wavefront_size: 32
    .workgroup_processor_mode: 1
  - .args:
      - .offset:         0
        .size:           4
        .value_kind:     by_value
      - .offset:         4
        .size:           4
        .value_kind:     by_value
      - .offset:         8
        .size:           16
        .value_kind:     by_value
      - .actual_access:  read_only
        .address_space:  global
        .offset:         24
        .size:           8
        .value_kind:     global_buffer
      - .actual_access:  read_only
        .address_space:  global
        .offset:         32
        .size:           8
        .value_kind:     global_buffer
      - .actual_access:  read_only
        .address_space:  global
        .offset:         40
        .size:           8
        .value_kind:     global_buffer
      - .actual_access:  read_only
        .address_space:  global
        .offset:         48
        .size:           8
        .value_kind:     global_buffer
      - .offset:         56
        .size:           16
        .value_kind:     by_value
      - .address_space:  global
        .offset:         72
        .size:           8
        .value_kind:     global_buffer
      - .offset:         80
        .size:           4
        .value_kind:     by_value
      - .offset:         84
        .size:           1
        .value_kind:     by_value
    .group_segment_fixed_size: 2048
    .kernarg_segment_align: 8
    .kernarg_segment_size: 88
    .language:       OpenCL C
    .language_version:
      - 2
      - 0
    .max_flat_workgroup_size: 128
    .name:           _ZN9rocsparseL19gebsrmvn_2xn_kernelILj128ELj15ELj64E21rocsparse_complex_numIdEEEvi20rocsparse_direction_NS_24const_host_device_scalarIT2_EEPKiS8_PKS5_SA_S6_PS5_21rocsparse_index_base_b
    .private_segment_fixed_size: 0
    .sgpr_count:     20
    .sgpr_spill_count: 0
    .symbol:         _ZN9rocsparseL19gebsrmvn_2xn_kernelILj128ELj15ELj64E21rocsparse_complex_numIdEEEvi20rocsparse_direction_NS_24const_host_device_scalarIT2_EEPKiS8_PKS5_SA_S6_PS5_21rocsparse_index_base_b.kd
    .uniform_work_group_size: 1
    .uses_dynamic_stack: false
    .vgpr_count:     62
    .vgpr_spill_count: 0
    .wavefront_size: 32
    .workgroup_processor_mode: 1
  - .args:
      - .offset:         0
        .size:           4
        .value_kind:     by_value
      - .offset:         4
        .size:           4
        .value_kind:     by_value
      - .offset:         8
        .size:           16
        .value_kind:     by_value
      - .actual_access:  read_only
        .address_space:  global
        .offset:         24
        .size:           8
        .value_kind:     global_buffer
      - .actual_access:  read_only
        .address_space:  global
        .offset:         32
        .size:           8
        .value_kind:     global_buffer
      - .actual_access:  read_only
        .address_space:  global
        .offset:         40
        .size:           8
        .value_kind:     global_buffer
      - .actual_access:  read_only
        .address_space:  global
        .offset:         48
        .size:           8
        .value_kind:     global_buffer
      - .offset:         56
        .size:           16
        .value_kind:     by_value
      - .address_space:  global
        .offset:         72
        .size:           8
        .value_kind:     global_buffer
      - .offset:         80
        .size:           4
        .value_kind:     by_value
      - .offset:         84
        .size:           1
        .value_kind:     by_value
    .group_segment_fixed_size: 2048
    .kernarg_segment_align: 8
    .kernarg_segment_size: 88
    .language:       OpenCL C
    .language_version:
      - 2
      - 0
    .max_flat_workgroup_size: 128
    .name:           _ZN9rocsparseL19gebsrmvn_2xn_kernelILj128ELj16ELj4E21rocsparse_complex_numIdEEEvi20rocsparse_direction_NS_24const_host_device_scalarIT2_EEPKiS8_PKS5_SA_S6_PS5_21rocsparse_index_base_b
    .private_segment_fixed_size: 0
    .sgpr_count:     20
    .sgpr_spill_count: 0
    .symbol:         _ZN9rocsparseL19gebsrmvn_2xn_kernelILj128ELj16ELj4E21rocsparse_complex_numIdEEEvi20rocsparse_direction_NS_24const_host_device_scalarIT2_EEPKiS8_PKS5_SA_S6_PS5_21rocsparse_index_base_b.kd
    .uniform_work_group_size: 1
    .uses_dynamic_stack: false
    .vgpr_count:     78
    .vgpr_spill_count: 0
    .wavefront_size: 32
    .workgroup_processor_mode: 1
  - .args:
      - .offset:         0
        .size:           4
        .value_kind:     by_value
      - .offset:         4
        .size:           4
        .value_kind:     by_value
      - .offset:         8
        .size:           16
        .value_kind:     by_value
      - .actual_access:  read_only
        .address_space:  global
        .offset:         24
        .size:           8
        .value_kind:     global_buffer
      - .actual_access:  read_only
        .address_space:  global
        .offset:         32
        .size:           8
        .value_kind:     global_buffer
      - .actual_access:  read_only
        .address_space:  global
        .offset:         40
        .size:           8
        .value_kind:     global_buffer
      - .actual_access:  read_only
        .address_space:  global
        .offset:         48
        .size:           8
        .value_kind:     global_buffer
      - .offset:         56
        .size:           16
        .value_kind:     by_value
      - .address_space:  global
        .offset:         72
        .size:           8
        .value_kind:     global_buffer
      - .offset:         80
        .size:           4
        .value_kind:     by_value
      - .offset:         84
        .size:           1
        .value_kind:     by_value
    .group_segment_fixed_size: 2048
    .kernarg_segment_align: 8
    .kernarg_segment_size: 88
    .language:       OpenCL C
    .language_version:
      - 2
      - 0
    .max_flat_workgroup_size: 128
    .name:           _ZN9rocsparseL19gebsrmvn_2xn_kernelILj128ELj16ELj8E21rocsparse_complex_numIdEEEvi20rocsparse_direction_NS_24const_host_device_scalarIT2_EEPKiS8_PKS5_SA_S6_PS5_21rocsparse_index_base_b
    .private_segment_fixed_size: 0
    .sgpr_count:     20
    .sgpr_spill_count: 0
    .symbol:         _ZN9rocsparseL19gebsrmvn_2xn_kernelILj128ELj16ELj8E21rocsparse_complex_numIdEEEvi20rocsparse_direction_NS_24const_host_device_scalarIT2_EEPKiS8_PKS5_SA_S6_PS5_21rocsparse_index_base_b.kd
    .uniform_work_group_size: 1
    .uses_dynamic_stack: false
    .vgpr_count:     78
    .vgpr_spill_count: 0
    .wavefront_size: 32
    .workgroup_processor_mode: 1
  - .args:
      - .offset:         0
        .size:           4
        .value_kind:     by_value
      - .offset:         4
        .size:           4
        .value_kind:     by_value
      - .offset:         8
        .size:           16
        .value_kind:     by_value
      - .actual_access:  read_only
        .address_space:  global
        .offset:         24
        .size:           8
        .value_kind:     global_buffer
      - .actual_access:  read_only
        .address_space:  global
        .offset:         32
        .size:           8
        .value_kind:     global_buffer
      - .actual_access:  read_only
        .address_space:  global
        .offset:         40
        .size:           8
        .value_kind:     global_buffer
      - .actual_access:  read_only
        .address_space:  global
        .offset:         48
        .size:           8
        .value_kind:     global_buffer
      - .offset:         56
        .size:           16
        .value_kind:     by_value
      - .address_space:  global
        .offset:         72
        .size:           8
        .value_kind:     global_buffer
      - .offset:         80
        .size:           4
        .value_kind:     by_value
      - .offset:         84
        .size:           1
        .value_kind:     by_value
    .group_segment_fixed_size: 2048
    .kernarg_segment_align: 8
    .kernarg_segment_size: 88
    .language:       OpenCL C
    .language_version:
      - 2
      - 0
    .max_flat_workgroup_size: 128
    .name:           _ZN9rocsparseL19gebsrmvn_2xn_kernelILj128ELj16ELj16E21rocsparse_complex_numIdEEEvi20rocsparse_direction_NS_24const_host_device_scalarIT2_EEPKiS8_PKS5_SA_S6_PS5_21rocsparse_index_base_b
    .private_segment_fixed_size: 0
    .sgpr_count:     20
    .sgpr_spill_count: 0
    .symbol:         _ZN9rocsparseL19gebsrmvn_2xn_kernelILj128ELj16ELj16E21rocsparse_complex_numIdEEEvi20rocsparse_direction_NS_24const_host_device_scalarIT2_EEPKiS8_PKS5_SA_S6_PS5_21rocsparse_index_base_b.kd
    .uniform_work_group_size: 1
    .uses_dynamic_stack: false
    .vgpr_count:     78
    .vgpr_spill_count: 0
    .wavefront_size: 32
    .workgroup_processor_mode: 1
  - .args:
      - .offset:         0
        .size:           4
        .value_kind:     by_value
      - .offset:         4
        .size:           4
        .value_kind:     by_value
      - .offset:         8
        .size:           16
        .value_kind:     by_value
      - .actual_access:  read_only
        .address_space:  global
        .offset:         24
        .size:           8
        .value_kind:     global_buffer
      - .actual_access:  read_only
        .address_space:  global
        .offset:         32
        .size:           8
        .value_kind:     global_buffer
      - .actual_access:  read_only
        .address_space:  global
        .offset:         40
        .size:           8
        .value_kind:     global_buffer
      - .actual_access:  read_only
        .address_space:  global
        .offset:         48
        .size:           8
        .value_kind:     global_buffer
      - .offset:         56
        .size:           16
        .value_kind:     by_value
      - .address_space:  global
        .offset:         72
        .size:           8
        .value_kind:     global_buffer
      - .offset:         80
        .size:           4
        .value_kind:     by_value
      - .offset:         84
        .size:           1
        .value_kind:     by_value
    .group_segment_fixed_size: 2048
    .kernarg_segment_align: 8
    .kernarg_segment_size: 88
    .language:       OpenCL C
    .language_version:
      - 2
      - 0
    .max_flat_workgroup_size: 128
    .name:           _ZN9rocsparseL19gebsrmvn_2xn_kernelILj128ELj16ELj32E21rocsparse_complex_numIdEEEvi20rocsparse_direction_NS_24const_host_device_scalarIT2_EEPKiS8_PKS5_SA_S6_PS5_21rocsparse_index_base_b
    .private_segment_fixed_size: 0
    .sgpr_count:     20
    .sgpr_spill_count: 0
    .symbol:         _ZN9rocsparseL19gebsrmvn_2xn_kernelILj128ELj16ELj32E21rocsparse_complex_numIdEEEvi20rocsparse_direction_NS_24const_host_device_scalarIT2_EEPKiS8_PKS5_SA_S6_PS5_21rocsparse_index_base_b.kd
    .uniform_work_group_size: 1
    .uses_dynamic_stack: false
    .vgpr_count:     78
    .vgpr_spill_count: 0
    .wavefront_size: 32
    .workgroup_processor_mode: 1
  - .args:
      - .offset:         0
        .size:           4
        .value_kind:     by_value
      - .offset:         4
        .size:           4
        .value_kind:     by_value
      - .offset:         8
        .size:           16
        .value_kind:     by_value
      - .actual_access:  read_only
        .address_space:  global
        .offset:         24
        .size:           8
        .value_kind:     global_buffer
      - .actual_access:  read_only
        .address_space:  global
        .offset:         32
        .size:           8
        .value_kind:     global_buffer
      - .actual_access:  read_only
        .address_space:  global
        .offset:         40
        .size:           8
        .value_kind:     global_buffer
      - .actual_access:  read_only
        .address_space:  global
        .offset:         48
        .size:           8
        .value_kind:     global_buffer
      - .offset:         56
        .size:           16
        .value_kind:     by_value
      - .address_space:  global
        .offset:         72
        .size:           8
        .value_kind:     global_buffer
      - .offset:         80
        .size:           4
        .value_kind:     by_value
      - .offset:         84
        .size:           1
        .value_kind:     by_value
    .group_segment_fixed_size: 2048
    .kernarg_segment_align: 8
    .kernarg_segment_size: 88
    .language:       OpenCL C
    .language_version:
      - 2
      - 0
    .max_flat_workgroup_size: 128
    .name:           _ZN9rocsparseL19gebsrmvn_2xn_kernelILj128ELj16ELj64E21rocsparse_complex_numIdEEEvi20rocsparse_direction_NS_24const_host_device_scalarIT2_EEPKiS8_PKS5_SA_S6_PS5_21rocsparse_index_base_b
    .private_segment_fixed_size: 0
    .sgpr_count:     20
    .sgpr_spill_count: 0
    .symbol:         _ZN9rocsparseL19gebsrmvn_2xn_kernelILj128ELj16ELj64E21rocsparse_complex_numIdEEEvi20rocsparse_direction_NS_24const_host_device_scalarIT2_EEPKiS8_PKS5_SA_S6_PS5_21rocsparse_index_base_b.kd
    .uniform_work_group_size: 1
    .uses_dynamic_stack: false
    .vgpr_count:     78
    .vgpr_spill_count: 0
    .wavefront_size: 32
    .workgroup_processor_mode: 1
  - .args:
      - .offset:         0
        .size:           4
        .value_kind:     by_value
      - .offset:         4
        .size:           4
        .value_kind:     by_value
      - .offset:         8
        .size:           16
        .value_kind:     by_value
      - .actual_access:  read_only
        .address_space:  global
        .offset:         24
        .size:           8
        .value_kind:     global_buffer
      - .actual_access:  read_only
        .address_space:  global
        .offset:         32
        .size:           8
        .value_kind:     global_buffer
      - .actual_access:  read_only
        .address_space:  global
        .offset:         40
        .size:           8
        .value_kind:     global_buffer
      - .offset:         48
        .size:           4
        .value_kind:     by_value
      - .offset:         52
        .size:           4
        .value_kind:     by_value
      - .actual_access:  read_only
        .address_space:  global
        .offset:         56
        .size:           8
        .value_kind:     global_buffer
      - .offset:         64
        .size:           16
        .value_kind:     by_value
      - .address_space:  global
        .offset:         80
        .size:           8
        .value_kind:     global_buffer
      - .offset:         88
        .size:           4
        .value_kind:     by_value
      - .offset:         92
        .size:           1
        .value_kind:     by_value
    .group_segment_fixed_size: 512
    .kernarg_segment_align: 8
    .kernarg_segment_size: 96
    .language:       OpenCL C
    .language_version:
      - 2
      - 0
    .max_flat_workgroup_size: 32
    .name:           _ZN9rocsparseL23gebsrmvn_general_kernelILj32ELj32E21rocsparse_complex_numIdEEEvi20rocsparse_direction_NS_24const_host_device_scalarIT1_EEPKiS8_PKS5_iiSA_S6_PS5_21rocsparse_index_base_b
    .private_segment_fixed_size: 0
    .sgpr_count:     28
    .sgpr_spill_count: 0
    .symbol:         _ZN9rocsparseL23gebsrmvn_general_kernelILj32ELj32E21rocsparse_complex_numIdEEEvi20rocsparse_direction_NS_24const_host_device_scalarIT1_EEPKiS8_PKS5_iiSA_S6_PS5_21rocsparse_index_base_b.kd
    .uniform_work_group_size: 1
    .uses_dynamic_stack: false
    .vgpr_count:     32
    .vgpr_spill_count: 0
    .wavefront_size: 32
    .workgroup_processor_mode: 1
amdhsa.target:   amdgcn-amd-amdhsa--gfx1100
amdhsa.version:
  - 1
  - 2
...

	.end_amdgpu_metadata
